;; amdgpu-corpus repo=ggml-org/llama.cpp kind=compiled arch=gfx906 opt=O3
	.amdgcn_target "amdgcn-amd-amdhsa--gfx906"
	.amdhsa_code_object_version 6
	.section	.text._ZL15flash_attn_tileILi112ELi112ELi8ELi8ELb0EEvPKcS1_S1_S1_S1_PKiPfP15HIP_vector_typeIfLj2EEffffjfiS5_IjLj3EEiiiiiiiiiiiliiliiiiil,"axG",@progbits,_ZL15flash_attn_tileILi112ELi112ELi8ELi8ELb0EEvPKcS1_S1_S1_S1_PKiPfP15HIP_vector_typeIfLj2EEffffjfiS5_IjLj3EEiiiiiiiiiiiliiliiiiil,comdat
	.globl	_ZL15flash_attn_tileILi112ELi112ELi8ELi8ELb0EEvPKcS1_S1_S1_S1_PKiPfP15HIP_vector_typeIfLj2EEffffjfiS5_IjLj3EEiiiiiiiiiiiliiliiiiil ; -- Begin function _ZL15flash_attn_tileILi112ELi112ELi8ELi8ELb0EEvPKcS1_S1_S1_S1_PKiPfP15HIP_vector_typeIfLj2EEffffjfiS5_IjLj3EEiiiiiiiiiiiliiliiiiil
	.p2align	8
	.type	_ZL15flash_attn_tileILi112ELi112ELi8ELi8ELb0EEvPKcS1_S1_S1_S1_PKiPfP15HIP_vector_typeIfLj2EEffffjfiS5_IjLj3EEiiiiiiiiiiiliiliiiiil,@function
_ZL15flash_attn_tileILi112ELi112ELi8ELi8ELb0EEvPKcS1_S1_S1_S1_PKiPfP15HIP_vector_typeIfLj2EEffffjfiS5_IjLj3EEiiiiiiiiiiiliiliiiiil: ; @_ZL15flash_attn_tileILi112ELi112ELi8ELi8ELb0EEvPKcS1_S1_S1_S1_PKiPfP15HIP_vector_typeIfLj2EEffffjfiS5_IjLj3EEiiiiiiiiiiiliiliiiiil
; %bb.0:
	s_mov_b64 s[82:83], s[2:3]
	s_mov_b64 s[80:81], s[0:1]
	s_add_u32 s80, s80, s9
	s_addc_u32 s81, s81, 0
	buffer_store_dword v0, off, s[80:83], 0 offset:284 ; 4-byte Folded Spill
	s_nop 0
	buffer_store_dword v1, off, s[80:83], 0 offset:288 ; 4-byte Folded Spill
	s_load_dwordx4 s[60:63], s[4:5], 0x5c
	s_load_dwordx2 s[64:65], s[4:5], 0x80
	s_load_dwordx16 s[44:59], s[4:5], 0x0
	s_mov_b64 s[66:67], 0
	s_waitcnt lgkmcnt(0)
	s_ashr_i32 s0, s63, 31
	s_lshr_b32 s0, s0, 29
	s_add_i32 s0, s63, s0
	s_ashr_i32 s0, s0, 3
	v_cvt_f32_u32_e32 v0, s0
	s_sub_i32 s1, 0, s0
	v_rcp_iflag_f32_e32 v0, v0
	v_mul_f32_e32 v0, 0x4f7ffffe, v0
	v_cvt_u32_f32_e32 v0, v0
	v_readfirstlane_b32 s2, v0
	s_mul_i32 s1, s1, s2
	s_mul_hi_u32 s1, s2, s1
	s_add_i32 s2, s2, s1
	s_mul_hi_u32 s1, s8, s2
	s_mul_i32 s2, s1, s0
	s_sub_i32 s2, s8, s2
	s_add_i32 s3, s1, 1
	s_sub_i32 s9, s2, s0
	s_cmp_ge_u32 s2, s0
	s_cselect_b32 s1, s3, s1
	s_cselect_b32 s2, s9, s2
	s_add_i32 s3, s1, 1
	s_cmp_ge_u32 s2, s0
	s_cselect_b32 s33, s3, s1
	s_abs_i32 s1, s65
	v_cvt_f32_u32_e32 v0, s1
	s_lshl_b32 s0, s8, 3
	s_sub_i32 s8, 0, s1
	s_abs_i32 s3, s63
	v_rcp_iflag_f32_e32 v0, v0
	s_xor_b32 s2, s63, s65
	s_ashr_i32 s2, s2, 31
	v_mul_f32_e32 v0, 0x4f7ffffe, v0
	v_cvt_u32_f32_e32 v0, v0
	v_readfirstlane_b32 s9, v0
	s_mul_i32 s8, s8, s9
	s_mul_hi_u32 s8, s9, s8
	s_add_i32 s9, s9, s8
	s_mul_hi_u32 s8, s3, s9
	s_mul_i32 s9, s8, s1
	s_sub_i32 s3, s3, s9
	s_add_i32 s10, s8, 1
	s_sub_i32 s9, s3, s1
	s_cmp_ge_u32 s3, s1
	s_cselect_b32 s8, s10, s8
	s_cselect_b32 s3, s9, s3
	s_add_i32 s9, s8, 1
	s_cmp_ge_u32 s3, s1
	s_cselect_b32 s1, s9, s8
	s_xor_b32 s1, s1, s2
	s_sub_i32 s15, s1, s2
	s_abs_i32 s14, s15
	v_cvt_f32_u32_e32 v0, s14
	s_load_dwordx2 s[2:3], s[4:5], 0xb8
	s_mul_i32 s1, s33, s63
	s_cmp_eq_u64 s[50:51], 0
	v_rcp_iflag_f32_e32 v0, v0
	v_mul_f32_e32 v0, 0x4f7ffffe, v0
	v_cvt_u32_f32_e32 v0, v0
	v_readfirstlane_b32 s16, v0
	s_cbranch_scc1 .LBB0_2
; %bb.1:
	s_waitcnt lgkmcnt(0)
	s_abs_i32 s2, s2
	v_cvt_f32_u32_e32 v0, s2
	s_sub_i32 s12, 0, s2
	s_abs_i32 s11, s33
	s_ashr_i32 s10, s33, 31
	v_rcp_iflag_f32_e32 v0, v0
	s_load_dwordx2 s[8:9], s[4:5], 0xc8
	v_mul_f32_e32 v0, 0x4f7ffffe, v0
	v_cvt_u32_f32_e32 v0, v0
	v_readfirstlane_b32 s13, v0
	s_mul_i32 s12, s12, s13
	s_mul_hi_u32 s12, s13, s12
	s_add_i32 s13, s13, s12
	s_mul_hi_u32 s12, s11, s13
	s_mul_i32 s12, s12, s2
	s_sub_i32 s11, s11, s12
	s_sub_i32 s12, s11, s2
	s_cmp_ge_u32 s11, s2
	s_cselect_b32 s11, s12, s11
	s_sub_i32 s12, s11, s2
	s_cmp_ge_u32 s11, s2
	s_cselect_b32 s2, s12, s11
	s_xor_b32 s2, s2, s10
	s_sub_i32 s2, s2, s10
	s_ashr_i32 s10, s2, 31
	s_waitcnt lgkmcnt(0)
	s_mul_hi_u32 s11, s8, s2
	s_mul_i32 s10, s8, s10
	s_mul_i32 s9, s9, s2
	s_add_i32 s10, s11, s10
	s_add_i32 s10, s10, s9
	s_mul_i32 s2, s8, s2
	s_add_u32 s66, s50, s2
	s_addc_u32 s67, s51, s10
.LBB0_2:
	buffer_load_dword v2, off, s[80:83], 0 offset:284 ; 4-byte Folded Reload
	buffer_load_dword v3, off, s[80:83], 0 offset:288 ; 4-byte Folded Reload
	v_lshl_add_u32 v4, s6, 3, v1
	v_mul_hi_u32 v0, s60, v4
	s_sub_i32 s60, s0, s1
	v_add_u32_e32 v0, v4, v0
	v_lshrrev_b32_e32 v0, s61, v0
	v_mul_lo_u32 v0, v0, s62
	s_waitcnt vmcnt(0)
	v_mov_b32_e32 v3, v2
	v_lshlrev_b32_e32 v2, 2, v3
	v_cmp_gt_u32_e64 s[0:1], 28, v3
	buffer_store_dword v2, off, s[80:83], 0 offset:292 ; 4-byte Folded Spill
	s_nop 0
	buffer_store_dword v3, off, s[80:83], 0 offset:296 ; 4-byte Folded Spill
	buffer_store_dword v4, off, s[80:83], 0 offset:300 ; 4-byte Folded Spill
	v_sub_u32_e32 v2, v4, v0
	v_lshlrev_b32_e32 v0, 3, v3
	buffer_store_dword v0, off, s[80:83], 0 offset:164 ; 4-byte Folded Spill
	s_and_saveexec_b64 s[12:13], s[0:1]
	s_cbranch_execz .LBB0_4
; %bb.3:
	s_load_dwordx4 s[8:11], s[4:5], 0x70
	s_waitcnt lgkmcnt(0)
	s_mul_i32 s2, s33, s10
	s_ashr_i32 s17, s2, 31
	s_mul_i32 s11, s60, s9
	s_add_u32 s2, s44, s2
	s_addc_u32 s17, s45, s17
	s_ashr_i32 s18, s11, 31
	s_add_u32 s2, s2, s11
	s_mov_b32 s10, s8
	s_addc_u32 s17, s17, s18
	s_ashr_i32 s11, s8, 31
	s_lshr_b64 s[18:19], s[10:11], 2
	v_mad_u64_u32 v[3:4], s[18:19], s18, v2, 0
	s_lshr_b32 s8, s11, 2
	s_ashr_i32 s19, s9, 31
	v_mov_b32_e32 v0, v4
	v_mad_u64_u32 v[4:5], s[10:11], s8, v2, v[0:1]
	v_mov_b32_e32 v0, s17
	s_mov_b32 s18, s9
	v_lshlrev_b64 v[3:4], 2, v[3:4]
	s_and_b32 s8, s9, -4
	v_add_co_u32_e32 v3, vcc, s2, v3
	v_addc_co_u32_e32 v0, vcc, v0, v4, vcc
	buffer_load_dword v4, off, s[80:83], 0 offset:284 ; 4-byte Folded Reload
	buffer_load_dword v5, off, s[80:83], 0 offset:288 ; 4-byte Folded Reload
	s_lshr_b64 s[10:11], s[18:19], 2
	s_lshl_b64 s[20:21], s[10:11], 3
	s_and_b32 s9, s19, 0x3fffffff
	s_lshr_b32 s2, s19, 2
	s_waitcnt vmcnt(1)
	v_lshlrev_b32_e32 v4, 2, v4
	v_lshlrev_b32_e32 v4, 2, v4
	v_add_co_u32_e32 v27, vcc, v3, v4
	v_addc_co_u32_e32 v28, vcc, 0, v0, vcc
	v_mov_b32_e32 v0, s19
	v_add_co_u32_e32 v7, vcc, s8, v27
	v_addc_co_u32_e32 v8, vcc, v28, v0, vcc
	v_mov_b32_e32 v0, s21
	v_add_co_u32_e32 v11, vcc, s20, v27
	v_mad_u64_u32 v[15:16], s[20:21], s10, 12, v[27:28]
	v_addc_co_u32_e32 v12, vcc, v28, v0, vcc
	v_mov_b32_e32 v0, v16
	s_lshl_b64 s[8:9], s[8:9], 2
	v_mad_u64_u32 v[16:17], s[20:21], s2, 12, v[0:1]
	v_mov_b32_e32 v0, s9
	v_add_co_u32_e32 v19, vcc, s8, v27
	v_mad_u64_u32 v[23:24], s[8:9], s10, 20, v[27:28]
	v_mad_u64_u32 v[29:30], s[8:9], s10, 24, v[27:28]
	v_addc_co_u32_e32 v20, vcc, v28, v0, vcc
	v_mov_b32_e32 v0, v24
	v_mad_u64_u32 v[24:25], s[8:9], s2, 20, v[0:1]
	v_mov_b32_e32 v0, v30
	v_mad_u64_u32 v[30:31], s[8:9], s2, 24, v[0:1]
	v_mad_u64_u32 v[31:32], s[8:9], s10, 28, v[27:28]
	global_load_dwordx4 v[3:6], v[27:28], off
	v_mov_b32_e32 v0, v32
	global_load_dwordx4 v[7:10], v[7:8], off
	v_mad_u64_u32 v[32:33], s[8:9], s2, 28, v[0:1]
	buffer_load_dword v0, off, s[80:83], 0 offset:164 ; 4-byte Folded Reload
	s_load_dword s2, s[4:5], 0x40
	global_load_dwordx4 v[11:14], v[11:12], off
	s_movk_i32 s8, 0x700
	global_load_dwordx4 v[15:18], v[15:16], off
	s_waitcnt vmcnt(3) lgkmcnt(0)
	v_fma_mixlo_f16 v7, s2, v7, 0
	global_load_dwordx4 v[19:22], v[19:20], off
	v_fma_mixlo_f16 v8, s2, v8, 0
	global_load_dwordx4 v[23:26], v[23:24], off
	;; [unrolled: 2-line block ×4, first 2 shown]
	v_fma_mixlo_f16 v5, s2, v5, 0
	v_fma_mixlo_f16 v6, s2, v6, 0
	v_lshlrev_b32_e32 v4, 16, v4
	v_and_b32_e32 v3, 0xffff, v3
	v_lshlrev_b32_e32 v6, 16, v6
	v_and_b32_e32 v5, 0xffff, v5
	v_fma_mixlo_f16 v9, s2, v9, 0
	v_fma_mixlo_f16 v10, s2, v10, 0
	v_or_b32_e32 v3, v4, v3
	v_or3_b32 v4, v6, v5, 0
	v_lshlrev_b32_e32 v5, 16, v8
	v_and_b32_e32 v6, 0xffff, v7
	v_lshlrev_b32_e32 v7, 16, v10
	v_and_b32_e32 v8, 0xffff, v9
	v_or_b32_e32 v5, v5, v6
	s_waitcnt vmcnt(6)
	v_mad_u32_u24 v0, v1, s8, v0
	v_or3_b32 v3, 0, 0, v3
	v_or3_b32 v6, v7, v8, 0
	;; [unrolled: 1-line block ×3, first 2 shown]
	s_waitcnt vmcnt(5)
	v_fma_mixlo_f16 v11, s2, v11, 0
	ds_write2_b64 v0, v[3:4], v[5:6] offset1:28
	v_fma_mixlo_f16 v3, s2, v12, 0
	v_lshlrev_b32_e32 v3, 16, v3
	v_and_b32_e32 v4, 0xffff, v11
	v_or_b32_e32 v3, v3, v4
	v_fma_mixlo_f16 v4, s2, v13, 0
	v_fma_mixlo_f16 v5, s2, v14, 0
	v_lshlrev_b32_e32 v5, 16, v5
	v_and_b32_e32 v4, 0xffff, v4
	v_or3_b32 v4, v5, v4, 0
	s_waitcnt vmcnt(4)
	v_fma_mixlo_f16 v5, s2, v15, 0
	v_fma_mixlo_f16 v6, s2, v16, 0
	v_lshlrev_b32_e32 v6, 16, v6
	v_and_b32_e32 v5, 0xffff, v5
	v_or_b32_e32 v5, v6, v5
	v_fma_mixlo_f16 v6, s2, v17, 0
	v_fma_mixlo_f16 v7, s2, v18, 0
	v_lshlrev_b32_e32 v7, 16, v7
	v_and_b32_e32 v6, 0xffff, v6
	v_or3_b32 v3, 0, 0, v3
	v_or3_b32 v6, v7, v6, 0
	;; [unrolled: 1-line block ×3, first 2 shown]
	ds_write2_b64 v0, v[3:4], v[5:6] offset0:56 offset1:84
	s_waitcnt vmcnt(3)
	v_fma_mixlo_f16 v3, s2, v19, 0
	v_fma_mixlo_f16 v4, s2, v20, 0
	v_lshlrev_b32_e32 v4, 16, v4
	v_and_b32_e32 v3, 0xffff, v3
	v_or_b32_e32 v3, v4, v3
	v_fma_mixlo_f16 v4, s2, v21, 0
	v_fma_mixlo_f16 v5, s2, v22, 0
	v_lshlrev_b32_e32 v5, 16, v5
	v_and_b32_e32 v4, 0xffff, v4
	v_or3_b32 v4, v5, v4, 0
	s_waitcnt vmcnt(2)
	v_fma_mixlo_f16 v5, s2, v23, 0
	v_fma_mixlo_f16 v6, s2, v24, 0
	v_lshlrev_b32_e32 v6, 16, v6
	v_and_b32_e32 v5, 0xffff, v5
	v_or_b32_e32 v5, v6, v5
	v_fma_mixlo_f16 v6, s2, v25, 0
	v_fma_mixlo_f16 v7, s2, v26, 0
	v_lshlrev_b32_e32 v7, 16, v7
	v_and_b32_e32 v6, 0xffff, v6
	v_or3_b32 v3, 0, 0, v3
	v_or3_b32 v6, v7, v6, 0
	;; [unrolled: 1-line block ×3, first 2 shown]
	ds_write2_b64 v0, v[3:4], v[5:6] offset0:112 offset1:140
	s_waitcnt vmcnt(1)
	v_fma_mixlo_f16 v3, s2, v27, 0
	v_fma_mixlo_f16 v4, s2, v28, 0
	v_lshlrev_b32_e32 v4, 16, v4
	v_and_b32_e32 v3, 0xffff, v3
	v_or_b32_e32 v3, v4, v3
	v_fma_mixlo_f16 v4, s2, v29, 0
	v_fma_mixlo_f16 v5, s2, v30, 0
	v_lshlrev_b32_e32 v5, 16, v5
	v_and_b32_e32 v4, 0xffff, v4
	v_or3_b32 v4, v5, v4, 0
	s_waitcnt vmcnt(0)
	v_fma_mixlo_f16 v5, s2, v31, 0
	v_fma_mixlo_f16 v6, s2, v32, 0
	v_lshlrev_b32_e32 v6, 16, v6
	v_and_b32_e32 v5, 0xffff, v5
	v_or_b32_e32 v5, v6, v5
	v_fma_mixlo_f16 v6, s2, v33, 0
	v_fma_mixlo_f16 v7, s2, v34, 0
	v_lshlrev_b32_e32 v7, 16, v7
	v_and_b32_e32 v6, 0xffff, v6
	v_or3_b32 v3, 0, 0, v3
	v_or3_b32 v6, v7, v6, 0
	;; [unrolled: 1-line block ×3, first 2 shown]
	ds_write2_b64 v0, v[3:4], v[5:6] offset0:168 offset1:196
.LBB0_4:
	s_or_b64 exec, exec, s[12:13]
	s_cmp_eq_u64 s[54:55], 0
	s_waitcnt vmcnt(0) lgkmcnt(0)
	s_barrier
	s_cbranch_scc1 .LBB0_6
; %bb.5:
	s_load_dword s2, s[4:5], 0xd0
	s_mov_b32 s9, 0
	s_waitcnt lgkmcnt(0)
	s_mul_i32 s2, s2, s33
	s_add_i32 s8, s2, s6
	s_lshl_b64 s[8:9], s[8:9], 2
	s_add_u32 s8, s54, s8
	s_addc_u32 s9, s55, s9
	s_load_dword s64, s[8:9], 0x0
.LBB0_6:
	s_lshl_b32 s6, s7, 5
	s_waitcnt lgkmcnt(0)
	s_cmp_lt_i32 s6, s64
	v_mbcnt_lo_u32_b32 v0, -1, 0
	s_cbranch_scc1 .LBB0_9
; %bb.7:
	v_mbcnt_hi_u32_b32 v4, -1, v0
	v_and_b32_e32 v3, 0x60, v4
	v_add_u32_e32 v3, 32, v3
	buffer_store_dword v3, off, s[80:83], 0 offset:168 ; 4-byte Folded Spill
	v_xor_b32_e32 v3, 16, v4
	buffer_store_dword v3, off, s[80:83], 0 offset:172 ; 4-byte Folded Spill
	v_xor_b32_e32 v3, 8, v4
	;; [unrolled: 2-line block ×4, first 2 shown]
	buffer_store_dword v3, off, s[80:83], 0 offset:184 ; 4-byte Folded Spill
	buffer_store_dword v4, off, s[80:83], 0 offset:160 ; 4-byte Folded Spill
	v_xor_b32_e32 v3, 1, v4
	buffer_store_dword v3, off, s[80:83], 0 offset:188 ; 4-byte Folded Spill
	s_cbranch_execz .LBB0_10
; %bb.8:
	v_mov_b32_e32 v68, 0
	v_mov_b32_e32 v101, 0
	;; [unrolled: 1-line block ×32, first 2 shown]
	s_branch .LBB0_38
.LBB0_9:
                                        ; implicit-def: $vgpr3
                                        ; kill: killed $vgpr3
                                        ; implicit-def: $vgpr3
                                        ; kill: killed $vgpr3
	;; [unrolled: 2-line block ×7, first 2 shown]
.LBB0_10:
	s_load_dwordx2 s[12:13], s[4:5], 0x8c
	s_load_dwordx4 s[8:11], s[4:5], 0x98
	buffer_load_dword v3, off, s[80:83], 0 offset:284 ; 4-byte Folded Reload
	buffer_load_dword v4, off, s[80:83], 0 offset:288 ; 4-byte Folded Reload
	s_sub_i32 s2, 0, s14
	s_mul_i32 s2, s2, s16
	s_waitcnt lgkmcnt(0)
	s_ashr_i32 s65, s12, 2
	s_ashr_i32 s61, s10, 2
	;; [unrolled: 1-line block ×4, first 2 shown]
	s_mul_hi_u32 s12, s8, s33
	s_mul_i32 s20, s8, s3
	s_mul_hi_u32 s2, s16, s2
	s_add_i32 s12, s12, s20
	s_mul_i32 s9, s9, s33
	s_abs_i32 s18, s60
	s_add_i32 s16, s16, s2
	s_ashr_i32 s19, s60, 31
	s_ashr_i32 s15, s15, 31
	s_add_i32 s12, s12, s9
	s_mul_i32 s8, s8, s33
	s_mul_hi_u32 s2, s18, s16
	s_add_u32 s8, s46, s8
	s_addc_u32 s9, s47, s12
	s_xor_b32 s12, s19, s15
	s_mul_i32 s15, s2, s14
	s_sub_i32 s15, s18, s15
	s_add_i32 s18, s2, 1
	s_sub_i32 s19, s15, s14
	s_cmp_ge_u32 s15, s14
	s_cselect_b32 s2, s18, s2
	s_cselect_b32 s15, s19, s15
	s_add_i32 s18, s2, 1
	s_cmp_ge_u32 s15, s14
	s_load_dwordx2 s[16:17], s[4:5], 0xa8
	s_cselect_b32 s2, s18, s2
	s_xor_b32 s2, s2, s12
	s_sub_i32 s2, s2, s12
	s_mul_i32 s12, s2, s13
	s_ashr_i32 s13, s12, 31
	s_add_u32 s70, s8, s12
	s_waitcnt lgkmcnt(0)
	s_mul_hi_u32 s8, s16, s33
	s_mul_i32 s3, s16, s3
	s_addc_u32 s71, s9, s13
	s_add_i32 s3, s8, s3
	s_mul_i32 s8, s17, s33
	s_add_i32 s3, s3, s8
	s_mul_i32 s8, s16, s33
	s_add_u32 s8, s48, s8
	s_mul_i32 s2, s2, s11
	s_addc_u32 s3, s49, s3
	s_ashr_i32 s9, s2, 31
	s_add_u32 s72, s8, s2
	s_addc_u32 s73, s3, s9
	v_mul_u32_u24_e32 v106, 0x700, v1
	s_movk_i32 s15, 0x3880
	s_movk_i32 s14, 0x3800
	v_mbcnt_hi_u32_b32 v0, -1, v0
	s_add_u32 s54, s4, 0xd0
	v_mov_b32_e32 v53, 0
	s_addc_u32 s55, s5, 0
	s_mov_b32 s74, 0x3fb8aa3b
	s_mov_b32 s75, 0xc2ce8ed0
	;; [unrolled: 1-line block ×4, first 2 shown]
	v_mov_b32_e32 v54, 0
	v_mov_b32_e32 v56, 0
	v_mov_b32_e32 v55, 0
	v_mov_b32_e32 v58, 0
	v_mov_b32_e32 v57, 0
	v_mov_b32_e32 v60, 0
	v_mov_b32_e32 v59, 0
	v_mov_b32_e32 v63, 0
	v_mov_b32_e32 v61, 0
	v_mov_b32_e32 v65, 0
	v_mov_b32_e32 v64, 0
	v_mov_b32_e32 v67, 0
	v_mov_b32_e32 v66, 0
	v_mov_b32_e32 v69, 0
	v_mov_b32_e32 v68, 0
	s_waitcnt vmcnt(1)
	v_mov_b32_e32 v15, v3
	v_lshl_add_u32 v3, v1, 5, v15
	s_waitcnt vmcnt(0)
	v_lshrrev_b32_e32 v4, 1, v15
	v_cmp_gt_u32_e32 vcc, 32, v3
	v_lshl_add_u32 v9, v1, 4, v4
	v_lshrrev_b32_e32 v4, 2, v15
	v_mul_lo_u32 v3, s65, v3
	v_lshl_add_u32 v10, v1, 3, v4
	v_lshlrev_b32_e32 v4, 7, v15
	v_lshlrev_b32_e32 v17, 2, v15
	v_add_u32_e32 v5, 0x3800, v4
	v_and_b32_e32 v13, 4, v17
	v_and_b32_e32 v14, 12, v17
	v_mad_u64_u32 v[18:19], s[8:9], v2, s10, v[15:16]
	v_mov_b32_e32 v2, 0x4840
	buffer_store_dword v5, off, s[80:83], 0 ; 4-byte Folded Spill
	v_add_u32_e32 v4, 0x3860, v4
	v_mul_lo_u32 v5, s65, v9
	v_lshlrev_b32_e32 v11, 2, v13
	v_lshlrev_b32_e32 v12, 2, v14
	v_lshl_add_u32 v105, v1, 9, v2
	v_lshrrev_b32_e32 v2, 3, v15
	v_cmp_gt_u32_e64 s[2:3], 32, v9
	v_cmp_gt_u32_e64 s[48:49], 32, v10
	buffer_store_dword v4, off, s[80:83], 0 offset:192 ; 4-byte Folded Spill
	v_ashrrev_i32_e32 v4, 31, v3
	v_lshl_or_b32 v6, v9, 7, v11
	v_mul_lo_u32 v7, s65, v10
	v_lshl_or_b32 v8, v10, 7, v12
	v_lshlrev_b32_e32 v16, 4, v15
	v_cmp_gt_u32_e64 s[8:9], 16, v9
	v_cmp_gt_u32_e64 s[10:11], 16, v10
	v_lshl_add_u32 v15, v1, 2, v2
	v_mul_lo_u32 v1, s61, v9
	v_mul_u32_u24_e32 v2, 0xe0, v9
	v_mul_lo_u32 v9, s61, v10
	v_mul_u32_u24_e32 v10, 0xe0, v10
	v_and_b32_e32 v17, 28, v17
	v_cmp_gt_u32_e64 s[12:13], 16, v15
	v_or_b32_e32 v2, v2, v11
	v_add3_u32 v10, v10, v12, s15
	v_mul_lo_u32 v11, s61, v15
	v_mul_u32_u24_e32 v12, 0xe0, v15
	v_lshlrev_b32_e32 v15, 2, v17
	v_lshlrev_b64 v[3:4], 2, v[3:4]
	v_add_u32_e32 v6, 0x3840, v6
	v_add_u32_e32 v8, 0x3800, v8
	;; [unrolled: 1-line block ×3, first 2 shown]
	v_add3_u32 v12, v12, v15, s14
	buffer_store_dword v6, off, s[80:83], 0 offset:196 ; 4-byte Folded Spill
	v_ashrrev_i32_e32 v6, 31, v5
	buffer_store_dword v8, off, s[80:83], 0 offset:200 ; 4-byte Folded Spill
	buffer_store_dword v18, off, s[80:83], 0 offset:204 ; 4-byte Folded Spill
	s_nop 0
	buffer_store_dword v19, off, s[80:83], 0 offset:208 ; 4-byte Folded Spill
	buffer_store_dword v2, off, s[80:83], 0 offset:216 ; 4-byte Folded Spill
	;; [unrolled: 1-line block ×6, first 2 shown]
	s_nop 0
	buffer_store_dword v4, off, s[80:83], 0 offset:236 ; 4-byte Folded Spill
	v_lshlrev_b64 v[3:4], 2, v[5:6]
	v_ashrrev_i32_e32 v8, 31, v7
	buffer_store_dword v3, off, s[80:83], 0 offset:240 ; 4-byte Folded Spill
	s_nop 0
	buffer_store_dword v4, off, s[80:83], 0 offset:244 ; 4-byte Folded Spill
	v_lshlrev_b64 v[3:4], 2, v[7:8]
	buffer_store_dword v3, off, s[80:83], 0 offset:248 ; 4-byte Folded Spill
	s_nop 0
	buffer_store_dword v4, off, s[80:83], 0 offset:252 ; 4-byte Folded Spill
	v_ashrrev_i32_e32 v2, 31, v1
	v_add_u32_e32 v3, v105, v16
	buffer_store_dword v3, off, s[80:83], 0 offset:256 ; 4-byte Folded Spill
	v_lshlrev_b32_e32 v3, 2, v13
	buffer_store_dword v0, off, s[80:83], 0 offset:160 ; 4-byte Folded Spill
	v_lshlrev_b64 v[0:1], 2, v[1:2]
	buffer_store_dword v3, off, s[80:83], 0 offset:4 ; 4-byte Folded Spill
	v_lshlrev_b32_e32 v3, 2, v14
	v_ashrrev_i32_e32 v10, 31, v9
	buffer_store_dword v3, off, s[80:83], 0 offset:8 ; 4-byte Folded Spill
	buffer_store_dword v0, off, s[80:83], 0 offset:260 ; 4-byte Folded Spill
	s_nop 0
	buffer_store_dword v1, off, s[80:83], 0 offset:264 ; 4-byte Folded Spill
	v_lshlrev_b64 v[0:1], 2, v[9:10]
	v_ashrrev_i32_e32 v12, 31, v11
	buffer_store_dword v0, off, s[80:83], 0 offset:268 ; 4-byte Folded Spill
	s_nop 0
	buffer_store_dword v1, off, s[80:83], 0 offset:272 ; 4-byte Folded Spill
	v_lshlrev_b64 v[0:1], 2, v[11:12]
	buffer_store_dword v0, off, s[80:83], 0 offset:276 ; 4-byte Folded Spill
	s_nop 0
	buffer_store_dword v1, off, s[80:83], 0 offset:280 ; 4-byte Folded Spill
	v_mov_b32_e32 v0, 0
	buffer_store_dword v0, off, s[80:83], 0 offset:80 ; 4-byte Folded Spill
	v_mov_b32_e32 v0, 0
	;; [unrolled: 2-line block ×7, first 2 shown]
	v_mov_b32_e32 v15, 0xfeffffff
	v_mov_b32_e32 v16, 0xfeffffff
	;; [unrolled: 1-line block ×8, first 2 shown]
	buffer_store_dword v0, off, s[80:83], 0 offset:104 ; 4-byte Folded Spill
	v_mov_b32_e32 v0, 0
	buffer_store_dword v0, off, s[80:83], 0 offset:108 ; 4-byte Folded Spill
	buffer_store_dword v105, off, s[80:83], 0 offset:212 ; 4-byte Folded Spill
.LBB0_11:                               ; =>This Inner Loop Header: Depth=1
	s_mul_hi_i32 s15, s6, s65
	s_mul_i32 s14, s6, s65
	s_lshl_b64 s[14:15], s[14:15], 2
	s_add_u32 s18, s70, s14
	s_addc_u32 s19, s71, s15
	s_and_saveexec_b64 s[16:17], vcc
	s_cbranch_execnz .LBB0_33
; %bb.12:                               ;   in Loop: Header=BB0_11 Depth=1
	s_or_b64 exec, exec, s[16:17]
	s_and_saveexec_b64 s[16:17], s[2:3]
	s_cbranch_execnz .LBB0_34
.LBB0_13:                               ;   in Loop: Header=BB0_11 Depth=1
	s_or_b64 exec, exec, s[16:17]
	s_and_saveexec_b64 s[16:17], s[48:49]
	s_cbranch_execz .LBB0_15
.LBB0_14:                               ;   in Loop: Header=BB0_11 Depth=1
	buffer_load_dword v1, off, s[80:83], 0 offset:248 ; 4-byte Folded Reload
	buffer_load_dword v2, off, s[80:83], 0 offset:252 ; 4-byte Folded Reload
	v_mov_b32_e32 v0, s19
	buffer_load_dword v4, off, s[80:83], 0 offset:200 ; 4-byte Folded Reload
	s_waitcnt vmcnt(2)
	v_add_co_u32_e64 v1, s[14:15], s18, v1
	s_waitcnt vmcnt(1)
	v_addc_co_u32_e64 v2, s[14:15], v0, v2, s[14:15]
	buffer_load_dword v0, off, s[80:83], 0 offset:8 ; 4-byte Folded Reload
	s_waitcnt vmcnt(0)
	v_add_co_u32_e64 v0, s[14:15], v1, v0
	v_addc_co_u32_e64 v1, s[14:15], 0, v2, s[14:15]
	global_load_dwordx4 v[0:3], v[0:1], off
	s_waitcnt vmcnt(0)
	ds_write_b128 v4, v[0:3]
.LBB0_15:                               ;   in Loop: Header=BB0_11 Depth=1
	s_or_b64 exec, exec, s[16:17]
	s_waitcnt vmcnt(0) lgkmcnt(0)
	s_barrier
	buffer_load_dword v62, off, s[80:83], 0 ; 4-byte Folded Reload
	v_mov_b32_e32 v8, 0
	v_mov_b32_e32 v5, 0
	;; [unrolled: 1-line block ×5, first 2 shown]
	s_waitcnt vmcnt(0)
	ds_read_b128 v[17:20], v62
	ds_read_b128 v[0:3], v106
	ds_read_b128 v[21:24], v106 offset:224
	ds_read_b128 v[25:28], v106 offset:448
	;; [unrolled: 1-line block ×7, first 2 shown]
	s_waitcnt lgkmcnt(7)
	;;#ASMSTART
	v_dot2_f32_f16 v8, v17, v0, v8
	;;#ASMEND
	;;#ASMSTART
	v_dot2_f32_f16 v8, v18, v1, v8
	;;#ASMEND
	;;#ASMSTART
	v_dot2_f32_f16 v8, v19, v2, v8
	;;#ASMEND
	;;#ASMSTART
	v_dot2_f32_f16 v8, v20, v3, v8
	;;#ASMEND
	s_waitcnt lgkmcnt(6)
	;;#ASMSTART
	v_dot2_f32_f16 v5, v17, v21, v5
	;;#ASMEND
	;;#ASMSTART
	v_dot2_f32_f16 v5, v18, v22, v5
	;;#ASMEND
	;;#ASMSTART
	v_dot2_f32_f16 v5, v19, v23, v5
	;;#ASMEND
	v_mov_b32_e32 v3, 0
	;;#ASMSTART
	v_dot2_f32_f16 v5, v20, v24, v5
	;;#ASMEND
	s_waitcnt lgkmcnt(5)
	;;#ASMSTART
	v_dot2_f32_f16 v3, v17, v25, v3
	;;#ASMEND
	;;#ASMSTART
	v_dot2_f32_f16 v3, v18, v26, v3
	;;#ASMEND
	;;#ASMSTART
	v_dot2_f32_f16 v3, v19, v27, v3
	;;#ASMEND
	v_mov_b32_e32 v1, 0
	;;#ASMSTART
	v_dot2_f32_f16 v3, v20, v28, v3
	;;#ASMEND
	;; [unrolled: 14-line block ×3, first 2 shown]
	s_waitcnt lgkmcnt(3)
	;;#ASMSTART
	v_dot2_f32_f16 v2, v17, v33, v2
	;;#ASMEND
	;;#ASMSTART
	v_dot2_f32_f16 v2, v18, v34, v2
	;;#ASMEND
	;;#ASMSTART
	v_dot2_f32_f16 v2, v19, v35, v2
	;;#ASMEND
	;;#ASMSTART
	v_dot2_f32_f16 v2, v20, v36, v2
	;;#ASMEND
	s_waitcnt lgkmcnt(2)
	;;#ASMSTART
	v_dot2_f32_f16 v4, v17, v37, v4
	;;#ASMEND
	;;#ASMSTART
	v_dot2_f32_f16 v4, v18, v38, v4
	;;#ASMEND
	;;#ASMSTART
	v_dot2_f32_f16 v4, v19, v39, v4
	;;#ASMEND
	;;#ASMSTART
	v_dot2_f32_f16 v4, v20, v40, v4
	;;#ASMEND
	;; [unrolled: 13-line block ×4, first 2 shown]
	ds_read_b128 v[17:20], v62 offset:16
	ds_read_b128 v[21:24], v106 offset:16
	;; [unrolled: 1-line block ×9, first 2 shown]
	s_waitcnt lgkmcnt(7)
	;;#ASMSTART
	v_dot2_f32_f16 v8, v17, v21, v8
	;;#ASMEND
	;;#ASMSTART
	v_dot2_f32_f16 v8, v18, v22, v8
	;;#ASMEND
	;;#ASMSTART
	v_dot2_f32_f16 v8, v19, v23, v8
	;;#ASMEND
	;;#ASMSTART
	v_dot2_f32_f16 v8, v20, v24, v8
	;;#ASMEND
	s_waitcnt lgkmcnt(6)
	;;#ASMSTART
	v_dot2_f32_f16 v5, v17, v25, v5
	;;#ASMEND
	;;#ASMSTART
	v_dot2_f32_f16 v5, v18, v26, v5
	;;#ASMEND
	;;#ASMSTART
	v_dot2_f32_f16 v5, v19, v27, v5
	;;#ASMEND
	;;#ASMSTART
	v_dot2_f32_f16 v5, v20, v28, v5
	;;#ASMEND
	;; [unrolled: 13-line block ×8, first 2 shown]
	ds_read_b128 v[17:20], v62 offset:32
	ds_read_b128 v[21:24], v106 offset:32
	;; [unrolled: 1-line block ×9, first 2 shown]
	s_waitcnt lgkmcnt(7)
	;;#ASMSTART
	v_dot2_f32_f16 v8, v17, v21, v8
	;;#ASMEND
	;;#ASMSTART
	v_dot2_f32_f16 v8, v18, v22, v8
	;;#ASMEND
	;;#ASMSTART
	v_dot2_f32_f16 v8, v19, v23, v8
	;;#ASMEND
	;;#ASMSTART
	v_dot2_f32_f16 v8, v20, v24, v8
	;;#ASMEND
	s_waitcnt lgkmcnt(6)
	;;#ASMSTART
	v_dot2_f32_f16 v5, v17, v25, v5
	;;#ASMEND
	;;#ASMSTART
	v_dot2_f32_f16 v5, v18, v26, v5
	;;#ASMEND
	;;#ASMSTART
	v_dot2_f32_f16 v5, v19, v27, v5
	;;#ASMEND
	;;#ASMSTART
	v_dot2_f32_f16 v5, v20, v28, v5
	;;#ASMEND
	;; [unrolled: 13-line block ×8, first 2 shown]
	ds_read_b128 v[17:20], v62 offset:48
	ds_read_b128 v[21:24], v106 offset:48
	;; [unrolled: 1-line block ×9, first 2 shown]
	s_waitcnt lgkmcnt(7)
	;;#ASMSTART
	v_dot2_f32_f16 v8, v17, v21, v8
	;;#ASMEND
	;;#ASMSTART
	v_dot2_f32_f16 v8, v18, v22, v8
	;;#ASMEND
	;;#ASMSTART
	v_dot2_f32_f16 v8, v19, v23, v8
	;;#ASMEND
	;;#ASMSTART
	v_dot2_f32_f16 v8, v20, v24, v8
	;;#ASMEND
	s_waitcnt lgkmcnt(6)
	;;#ASMSTART
	v_dot2_f32_f16 v5, v17, v25, v5
	;;#ASMEND
	;;#ASMSTART
	v_dot2_f32_f16 v5, v18, v26, v5
	;;#ASMEND
	;;#ASMSTART
	v_dot2_f32_f16 v5, v19, v27, v5
	;;#ASMEND
	;;#ASMSTART
	v_dot2_f32_f16 v5, v20, v28, v5
	;;#ASMEND
	;; [unrolled: 13-line block ×8, first 2 shown]
	ds_read_b128 v[17:20], v62 offset:64
	ds_read_b128 v[21:24], v106 offset:64
	;; [unrolled: 1-line block ×9, first 2 shown]
	s_waitcnt lgkmcnt(7)
	;;#ASMSTART
	v_dot2_f32_f16 v8, v17, v21, v8
	;;#ASMEND
	;;#ASMSTART
	v_dot2_f32_f16 v8, v18, v22, v8
	;;#ASMEND
	;;#ASMSTART
	v_dot2_f32_f16 v8, v19, v23, v8
	;;#ASMEND
	;;#ASMSTART
	v_dot2_f32_f16 v8, v20, v24, v8
	;;#ASMEND
	s_waitcnt lgkmcnt(6)
	;;#ASMSTART
	v_dot2_f32_f16 v5, v17, v25, v5
	;;#ASMEND
	;;#ASMSTART
	v_dot2_f32_f16 v5, v18, v26, v5
	;;#ASMEND
	;;#ASMSTART
	v_dot2_f32_f16 v5, v19, v27, v5
	;;#ASMEND
	;;#ASMSTART
	v_dot2_f32_f16 v5, v20, v28, v5
	;;#ASMEND
	;; [unrolled: 13-line block ×8, first 2 shown]
	ds_read_b128 v[17:20], v62 offset:80
	ds_read_b128 v[21:24], v106 offset:80
	;; [unrolled: 1-line block ×9, first 2 shown]
	s_waitcnt lgkmcnt(7)
	;;#ASMSTART
	v_dot2_f32_f16 v8, v17, v21, v8
	;;#ASMEND
	;;#ASMSTART
	v_dot2_f32_f16 v8, v18, v22, v8
	;;#ASMEND
	;;#ASMSTART
	v_dot2_f32_f16 v8, v19, v23, v8
	;;#ASMEND
	;;#ASMSTART
	v_dot2_f32_f16 v8, v20, v24, v8
	;;#ASMEND
	s_waitcnt lgkmcnt(6)
	;;#ASMSTART
	v_dot2_f32_f16 v5, v17, v25, v5
	;;#ASMEND
	;;#ASMSTART
	v_dot2_f32_f16 v5, v18, v26, v5
	;;#ASMEND
	;;#ASMSTART
	v_dot2_f32_f16 v5, v19, v27, v5
	;;#ASMEND
	;;#ASMSTART
	v_dot2_f32_f16 v5, v20, v28, v5
	;;#ASMEND
	;; [unrolled: 13-line block ×8, first 2 shown]
	ds_read_b128 v[17:20], v62 offset:96
	ds_read_b128 v[21:24], v106 offset:96
	;; [unrolled: 1-line block ×9, first 2 shown]
	s_waitcnt lgkmcnt(7)
	;;#ASMSTART
	v_dot2_f32_f16 v8, v17, v21, v8
	;;#ASMEND
	;;#ASMSTART
	v_dot2_f32_f16 v8, v18, v22, v8
	;;#ASMEND
	;;#ASMSTART
	v_dot2_f32_f16 v8, v19, v23, v8
	;;#ASMEND
	;;#ASMSTART
	v_dot2_f32_f16 v8, v20, v24, v8
	;;#ASMEND
	s_waitcnt lgkmcnt(6)
	;;#ASMSTART
	v_dot2_f32_f16 v5, v17, v25, v5
	;;#ASMEND
	;;#ASMSTART
	v_dot2_f32_f16 v5, v18, v26, v5
	;;#ASMEND
	;;#ASMSTART
	v_dot2_f32_f16 v5, v19, v27, v5
	;;#ASMEND
	;;#ASMSTART
	v_dot2_f32_f16 v5, v20, v28, v5
	;;#ASMEND
	;; [unrolled: 13-line block ×8, first 2 shown]
	s_barrier
	s_and_saveexec_b64 s[16:17], vcc
	s_cbranch_execnz .LBB0_35
; %bb.16:                               ;   in Loop: Header=BB0_11 Depth=1
	s_or_b64 exec, exec, s[16:17]
	s_and_saveexec_b64 s[16:17], s[2:3]
	s_cbranch_execnz .LBB0_36
.LBB0_17:                               ;   in Loop: Header=BB0_11 Depth=1
	s_or_b64 exec, exec, s[16:17]
	s_and_saveexec_b64 s[16:17], s[48:49]
	s_cbranch_execz .LBB0_19
.LBB0_18:                               ;   in Loop: Header=BB0_11 Depth=1
	buffer_load_dword v17, off, s[80:83], 0 offset:248 ; 4-byte Folded Reload
	buffer_load_dword v18, off, s[80:83], 0 offset:252 ; 4-byte Folded Reload
	v_mov_b32_e32 v0, s19
	s_waitcnt vmcnt(1)
	v_add_co_u32_e64 v17, s[14:15], s18, v17
	s_waitcnt vmcnt(0)
	v_addc_co_u32_e64 v0, s[14:15], v0, v18, s[14:15]
	buffer_load_dword v18, off, s[80:83], 0 offset:8 ; 4-byte Folded Reload
	s_waitcnt vmcnt(0)
	v_add_co_u32_e64 v17, s[14:15], v17, v18
	v_addc_co_u32_e64 v18, s[14:15], 0, v0, s[14:15]
	global_load_dwordx4 v[17:20], v[17:18], off offset:112
	s_nop 0
	buffer_load_dword v0, off, s[80:83], 0 offset:200 ; 4-byte Folded Reload
	s_waitcnt vmcnt(0)
	ds_write_b128 v0, v[17:20]
.LBB0_19:                               ;   in Loop: Header=BB0_11 Depth=1
	s_or_b64 exec, exec, s[16:17]
	s_waitcnt lgkmcnt(0)
	s_barrier
	buffer_load_dword v0, off, s[80:83], 0  ; 4-byte Folded Reload
	s_mul_hi_i32 s51, s6, s61
	s_mul_i32 s50, s6, s61
	s_lshl_b64 s[50:51], s[50:51], 2
	s_add_u32 s78, s72, s50
	s_addc_u32 s79, s73, s51
	s_waitcnt vmcnt(0)
	ds_read_b128 v[17:20], v0
	ds_read_b128 v[21:24], v106 offset:112
	ds_read_b128 v[25:28], v106 offset:336
	ds_read_b128 v[29:32], v106 offset:560
	ds_read_b128 v[33:36], v106 offset:784
	ds_read_b128 v[37:40], v106 offset:1008
	ds_read_b128 v[41:44], v106 offset:1232
	ds_read_b128 v[45:48], v106 offset:1456
	ds_read_b128 v[49:52], v106 offset:1680
	s_waitcnt lgkmcnt(7)
	;;#ASMSTART
	v_dot2_f32_f16 v8, v17, v21, v8
	;;#ASMEND
	;;#ASMSTART
	v_dot2_f32_f16 v8, v18, v22, v8
	;;#ASMEND
	;;#ASMSTART
	v_dot2_f32_f16 v8, v19, v23, v8
	;;#ASMEND
	;;#ASMSTART
	v_dot2_f32_f16 v8, v20, v24, v8
	;;#ASMEND
	s_waitcnt lgkmcnt(6)
	;;#ASMSTART
	v_dot2_f32_f16 v5, v17, v25, v5
	;;#ASMEND
	;;#ASMSTART
	v_dot2_f32_f16 v5, v18, v26, v5
	;;#ASMEND
	;;#ASMSTART
	v_dot2_f32_f16 v5, v19, v27, v5
	;;#ASMEND
	;;#ASMSTART
	v_dot2_f32_f16 v5, v20, v28, v5
	;;#ASMEND
	;; [unrolled: 13-line block ×8, first 2 shown]
	ds_read_b128 v[17:20], v0 offset:16
	ds_read_b128 v[21:24], v106 offset:128
	;; [unrolled: 1-line block ×9, first 2 shown]
	s_waitcnt lgkmcnt(7)
	;;#ASMSTART
	v_dot2_f32_f16 v8, v17, v21, v8
	;;#ASMEND
	;;#ASMSTART
	v_dot2_f32_f16 v8, v18, v22, v8
	;;#ASMEND
	;;#ASMSTART
	v_dot2_f32_f16 v8, v19, v23, v8
	;;#ASMEND
	;;#ASMSTART
	v_dot2_f32_f16 v8, v20, v24, v8
	;;#ASMEND
	s_waitcnt lgkmcnt(6)
	;;#ASMSTART
	v_dot2_f32_f16 v5, v17, v25, v5
	;;#ASMEND
	;;#ASMSTART
	v_dot2_f32_f16 v5, v18, v26, v5
	;;#ASMEND
	;;#ASMSTART
	v_dot2_f32_f16 v5, v19, v27, v5
	;;#ASMEND
	;;#ASMSTART
	v_dot2_f32_f16 v5, v20, v28, v5
	;;#ASMEND
	;; [unrolled: 13-line block ×8, first 2 shown]
	ds_read_b128 v[17:20], v0 offset:32
	ds_read_b128 v[21:24], v106 offset:144
	;; [unrolled: 1-line block ×9, first 2 shown]
	s_waitcnt lgkmcnt(7)
	;;#ASMSTART
	v_dot2_f32_f16 v8, v17, v21, v8
	;;#ASMEND
	;;#ASMSTART
	v_dot2_f32_f16 v8, v18, v22, v8
	;;#ASMEND
	;;#ASMSTART
	v_dot2_f32_f16 v8, v19, v23, v8
	;;#ASMEND
	;;#ASMSTART
	v_dot2_f32_f16 v8, v20, v24, v8
	;;#ASMEND
	s_waitcnt lgkmcnt(6)
	;;#ASMSTART
	v_dot2_f32_f16 v5, v17, v25, v5
	;;#ASMEND
	;;#ASMSTART
	v_dot2_f32_f16 v5, v18, v26, v5
	;;#ASMEND
	;;#ASMSTART
	v_dot2_f32_f16 v5, v19, v27, v5
	;;#ASMEND
	;;#ASMSTART
	v_dot2_f32_f16 v5, v20, v28, v5
	;;#ASMEND
	s_waitcnt lgkmcnt(5)
	;;#ASMSTART
	v_dot2_f32_f16 v3, v17, v29, v3
	;;#ASMEND
	;;#ASMSTART
	v_dot2_f32_f16 v3, v18, v30, v3
	;;#ASMEND
	;;#ASMSTART
	v_dot2_f32_f16 v3, v19, v31, v3
	;;#ASMEND
	;;#ASMSTART
	v_dot2_f32_f16 v3, v20, v32, v3
	;;#ASMEND
	s_waitcnt lgkmcnt(4)
	;;#ASMSTART
	v_dot2_f32_f16 v1, v17, v33, v1
	;;#ASMEND
	;;#ASMSTART
	v_dot2_f32_f16 v1, v18, v34, v1
	;;#ASMEND
	;;#ASMSTART
	v_dot2_f32_f16 v1, v19, v35, v1
	;;#ASMEND
	;;#ASMSTART
	v_dot2_f32_f16 v1, v20, v36, v1
	;;#ASMEND
	s_waitcnt lgkmcnt(3)
	;;#ASMSTART
	v_dot2_f32_f16 v2, v17, v37, v2
	;;#ASMEND
	;;#ASMSTART
	v_dot2_f32_f16 v2, v18, v38, v2
	;;#ASMEND
	;;#ASMSTART
	v_dot2_f32_f16 v2, v19, v39, v2
	;;#ASMEND
	;;#ASMSTART
	v_dot2_f32_f16 v2, v20, v40, v2
	;;#ASMEND
	s_waitcnt lgkmcnt(2)
	;;#ASMSTART
	v_dot2_f32_f16 v4, v17, v41, v4
	;;#ASMEND
	;;#ASMSTART
	v_dot2_f32_f16 v4, v18, v42, v4
	;;#ASMEND
	;;#ASMSTART
	v_dot2_f32_f16 v4, v19, v43, v4
	;;#ASMEND
	;;#ASMSTART
	v_dot2_f32_f16 v4, v20, v44, v4
	;;#ASMEND
	s_waitcnt lgkmcnt(1)
	;;#ASMSTART
	v_dot2_f32_f16 v7, v17, v45, v7
	;;#ASMEND
	;;#ASMSTART
	v_dot2_f32_f16 v7, v18, v46, v7
	;;#ASMEND
	;;#ASMSTART
	v_dot2_f32_f16 v7, v19, v47, v7
	;;#ASMEND
	;;#ASMSTART
	v_dot2_f32_f16 v7, v20, v48, v7
	;;#ASMEND
	s_waitcnt lgkmcnt(0)
	;;#ASMSTART
	v_dot2_f32_f16 v6, v17, v49, v6
	;;#ASMEND
	;;#ASMSTART
	v_dot2_f32_f16 v6, v18, v50, v6
	;;#ASMEND
	;;#ASMSTART
	v_dot2_f32_f16 v6, v19, v51, v6
	;;#ASMEND
	;;#ASMSTART
	v_dot2_f32_f16 v6, v20, v52, v6
	;;#ASMEND
	ds_read_b128 v[17:20], v0 offset:48
	ds_read_b128 v[21:24], v106 offset:160
	;; [unrolled: 1-line block ×9, first 2 shown]
	s_waitcnt lgkmcnt(7)
	;;#ASMSTART
	v_dot2_f32_f16 v8, v17, v21, v8
	;;#ASMEND
	;;#ASMSTART
	v_dot2_f32_f16 v8, v18, v22, v8
	;;#ASMEND
	;;#ASMSTART
	v_dot2_f32_f16 v8, v19, v23, v8
	;;#ASMEND
	;;#ASMSTART
	v_dot2_f32_f16 v8, v20, v24, v8
	;;#ASMEND
	s_waitcnt lgkmcnt(6)
	;;#ASMSTART
	v_dot2_f32_f16 v5, v17, v25, v5
	;;#ASMEND
	;;#ASMSTART
	v_dot2_f32_f16 v5, v18, v26, v5
	;;#ASMEND
	;;#ASMSTART
	v_dot2_f32_f16 v5, v19, v27, v5
	;;#ASMEND
	;;#ASMSTART
	v_dot2_f32_f16 v5, v20, v28, v5
	;;#ASMEND
	;; [unrolled: 13-line block ×8, first 2 shown]
	ds_read_b128 v[17:20], v0 offset:64
	ds_read_b128 v[21:24], v106 offset:176
	;; [unrolled: 1-line block ×9, first 2 shown]
	s_waitcnt lgkmcnt(7)
	;;#ASMSTART
	v_dot2_f32_f16 v8, v17, v21, v8
	;;#ASMEND
	;;#ASMSTART
	v_dot2_f32_f16 v8, v18, v22, v8
	;;#ASMEND
	;;#ASMSTART
	v_dot2_f32_f16 v8, v19, v23, v8
	;;#ASMEND
	;;#ASMSTART
	v_dot2_f32_f16 v8, v20, v24, v8
	;;#ASMEND
	s_waitcnt lgkmcnt(6)
	;;#ASMSTART
	v_dot2_f32_f16 v5, v17, v25, v5
	;;#ASMEND
	;;#ASMSTART
	v_dot2_f32_f16 v5, v18, v26, v5
	;;#ASMEND
	;;#ASMSTART
	v_dot2_f32_f16 v5, v19, v27, v5
	;;#ASMEND
	;;#ASMSTART
	v_dot2_f32_f16 v5, v20, v28, v5
	;;#ASMEND
	;; [unrolled: 13-line block ×8, first 2 shown]
	ds_read_b128 v[17:20], v0 offset:80
	ds_read_b128 v[21:24], v106 offset:192
	;; [unrolled: 1-line block ×9, first 2 shown]
	s_waitcnt lgkmcnt(7)
	;;#ASMSTART
	v_dot2_f32_f16 v8, v17, v21, v8
	;;#ASMEND
	;;#ASMSTART
	v_dot2_f32_f16 v8, v18, v22, v8
	;;#ASMEND
	;;#ASMSTART
	v_dot2_f32_f16 v8, v19, v23, v8
	;;#ASMEND
	;;#ASMSTART
	v_dot2_f32_f16 v8, v20, v24, v8
	;;#ASMEND
	s_waitcnt lgkmcnt(6)
	;;#ASMSTART
	v_dot2_f32_f16 v5, v17, v25, v5
	;;#ASMEND
	;;#ASMSTART
	v_dot2_f32_f16 v5, v18, v26, v5
	;;#ASMEND
	;;#ASMSTART
	v_dot2_f32_f16 v5, v19, v27, v5
	;;#ASMEND
	;;#ASMSTART
	v_dot2_f32_f16 v5, v20, v28, v5
	;;#ASMEND
	;; [unrolled: 13-line block ×8, first 2 shown]
	ds_read_b128 v[17:20], v0 offset:96
	ds_read_b128 v[21:24], v106 offset:208
	;; [unrolled: 1-line block ×9, first 2 shown]
	s_waitcnt lgkmcnt(7)
	;;#ASMSTART
	v_dot2_f32_f16 v8, v17, v21, v8
	;;#ASMEND
	;;#ASMSTART
	v_dot2_f32_f16 v8, v18, v22, v8
	;;#ASMEND
	;;#ASMSTART
	v_dot2_f32_f16 v8, v19, v23, v8
	;;#ASMEND
	;;#ASMSTART
	v_dot2_f32_f16 v8, v20, v24, v8
	;;#ASMEND
	s_waitcnt lgkmcnt(6)
	;;#ASMSTART
	v_dot2_f32_f16 v5, v17, v25, v5
	;;#ASMEND
	;;#ASMSTART
	v_dot2_f32_f16 v5, v18, v26, v5
	;;#ASMEND
	;;#ASMSTART
	v_dot2_f32_f16 v5, v19, v27, v5
	;;#ASMEND
	;;#ASMSTART
	v_dot2_f32_f16 v5, v20, v28, v5
	;;#ASMEND
	;; [unrolled: 13-line block ×8, first 2 shown]
	buffer_load_dword v17, off, s[80:83], 0 offset:204 ; 4-byte Folded Reload
	buffer_load_dword v18, off, s[80:83], 0 offset:208 ; 4-byte Folded Reload
	v_mov_b32_e32 v0, s67
	buffer_load_dword v25, off, s[80:83], 0 offset:160 ; 4-byte Folded Reload
	v_max_f32_e32 v20, v15, v15
	v_max_f32_e32 v24, v16, v16
	;; [unrolled: 1-line block ×3, first 2 shown]
	s_waitcnt vmcnt(2)
	v_add_u32_e32 v17, s6, v17
	s_waitcnt vmcnt(1)
	v_ashrrev_i32_e32 v18, 31, v17
	v_lshlrev_b64 v[17:18], 1, v[17:18]
	s_waitcnt vmcnt(0)
	v_xor_b32_e32 v21, 4, v25
	v_add_co_u32_e64 v17, s[14:15], s66, v17
	v_addc_co_u32_e64 v18, s[14:15], v0, v18, s[14:15]
	global_load_ushort v0, v[17:18], off
	v_and_b32_e32 v17, 0x60, v25
	v_add_u32_e32 v26, 32, v17
	v_xor_b32_e32 v17, 16, v25
	v_cmp_lt_i32_e64 s[14:15], v17, v26
	buffer_store_dword v17, off, s[80:83], 0 offset:172 ; 4-byte Folded Spill
	v_cndmask_b32_e64 v17, v25, v17, s[14:15]
	v_lshlrev_b32_e32 v17, 2, v17
	v_xor_b32_e32 v18, 8, v25
	v_cmp_lt_i32_e64 s[14:15], v18, v26
	buffer_store_dword v18, off, s[80:83], 0 offset:176 ; 4-byte Folded Spill
	v_cndmask_b32_e64 v18, v25, v18, s[14:15]
	v_lshlrev_b32_e32 v18, 2, v18
	v_cmp_lt_i32_e64 s[14:15], v21, v26
	buffer_store_dword v21, off, s[80:83], 0 offset:180 ; 4-byte Folded Spill
	v_cndmask_b32_e64 v21, v25, v21, s[14:15]
	v_lshlrev_b32_e32 v21, 2, v21
	v_xor_b32_e32 v22, 2, v25
	v_cmp_lt_i32_e64 s[14:15], v22, v26
	buffer_store_dword v22, off, s[80:83], 0 offset:184 ; 4-byte Folded Spill
	v_cndmask_b32_e64 v22, v25, v22, s[14:15]
	v_lshlrev_b32_e32 v22, 2, v22
	v_xor_b32_e32 v27, 1, v25
	buffer_store_dword v26, off, s[80:83], 0 offset:168 ; 4-byte Folded Spill
	v_cmp_lt_i32_e64 s[14:15], v27, v26
	v_max_f32_e32 v26, v14, v14
	v_cndmask_b32_e64 v25, v25, v27, s[14:15]
	v_lshlrev_b32_e32 v25, 2, v25
	buffer_store_dword v27, off, s[80:83], 0 offset:188 ; 4-byte Folded Spill
	s_waitcnt vmcnt(0)
	s_barrier
	v_cvt_f32_f16_e32 v0, v0
	v_add_f32_e32 v19, v8, v0
	v_add_f32_e32 v8, 0x40051340, v19
	v_max_f32_e32 v8, v20, v8
	ds_bpermute_b32 v20, v17, v8
	v_add_f32_e32 v23, v5, v0
	v_add_f32_e32 v5, 0x40051340, v23
	v_max_f32_e32 v5, v24, v5
	ds_bpermute_b32 v24, v17, v5
	s_waitcnt lgkmcnt(1)
	v_max_f32_e32 v20, v20, v20
	v_max_f32_e32 v8, v8, v20
	ds_bpermute_b32 v20, v18, v8
	s_waitcnt lgkmcnt(1)
	v_max_f32_e32 v24, v24, v24
	;; [unrolled: 4-line block ×5, first 2 shown]
	v_max_f32_e32 v8, v8, v20
	v_max_f32_e32 v20, v24, v24
	v_add_f32_e32 v24, v3, v0
	v_max_f32_e32 v5, v5, v20
	v_add_f32_e32 v3, 0x40051340, v24
	ds_bpermute_b32 v20, v21, v5
	v_max_f32_e32 v3, v26, v3
	ds_bpermute_b32 v26, v17, v3
	ds_bpermute_b32 v27, v25, v8
	s_waitcnt lgkmcnt(2)
	v_max_f32_e32 v20, v20, v20
	v_max_f32_e32 v5, v5, v20
	s_waitcnt lgkmcnt(1)
	v_max_f32_e32 v26, v26, v26
	ds_bpermute_b32 v20, v22, v5
	v_max_f32_e32 v3, v3, v26
	ds_bpermute_b32 v26, v18, v3
	s_waitcnt lgkmcnt(2)
	v_max_f32_e32 v27, v27, v27
	v_max_f32_e32 v32, v8, v27
	s_waitcnt lgkmcnt(1)
	v_max_f32_e32 v20, v20, v20
	v_max_f32_e32 v5, v5, v20
	s_waitcnt lgkmcnt(0)
	v_max_f32_e32 v20, v26, v26
	v_add_f32_e32 v26, v1, v0
	v_max_f32_e32 v3, v3, v20
	v_add_f32_e32 v1, 0x40051340, v26
	ds_bpermute_b32 v20, v21, v3
	v_max_f32_e32 v1, v28, v1
	ds_bpermute_b32 v28, v17, v1
	ds_bpermute_b32 v29, v25, v5
	v_sub_f32_e32 v113, v15, v32
	s_waitcnt lgkmcnt(2)
	v_max_f32_e32 v20, v20, v20
	v_max_f32_e32 v3, v3, v20
	s_waitcnt lgkmcnt(1)
	v_max_f32_e32 v28, v28, v28
	ds_bpermute_b32 v20, v22, v3
	v_max_f32_e32 v28, v1, v28
	ds_bpermute_b32 v30, v18, v28
	s_waitcnt lgkmcnt(2)
	v_max_f32_e32 v8, v29, v29
	v_max_f32_e32 v29, v12, v12
	s_waitcnt lgkmcnt(1)
	v_max_f32_e32 v20, v20, v20
	v_max_f32_e32 v3, v3, v20
	;; [unrolled: 3-line block ×3, first 2 shown]
	v_add_f32_e32 v28, v2, v0
	v_add_f32_e32 v2, 0x40051340, v28
	v_max_f32_e32 v2, v29, v2
	ds_bpermute_b32 v29, v17, v2
	ds_bpermute_b32 v27, v21, v20
	;; [unrolled: 1-line block ×3, first 2 shown]
	v_max_f32_e32 v33, v5, v8
	v_sub_f32_e32 v114, v16, v33
	s_waitcnt lgkmcnt(2)
	v_max_f32_e32 v29, v29, v29
	v_max_f32_e32 v29, v2, v29
	ds_bpermute_b32 v31, v18, v29
	s_waitcnt lgkmcnt(2)
	v_max_f32_e32 v27, v27, v27
	v_max_f32_e32 v20, v20, v27
	ds_bpermute_b32 v27, v22, v20
	s_waitcnt lgkmcnt(2)
	v_max_f32_e32 v5, v30, v30
	s_waitcnt lgkmcnt(1)
	v_max_f32_e32 v8, v31, v31
	v_max_f32_e32 v8, v29, v8
	v_add_f32_e32 v29, v4, v0
	v_add_f32_e32 v4, 0x40051340, v29
	v_max_f32_e32 v30, v11, v11
	v_max_f32_e32 v34, v3, v5
	s_waitcnt lgkmcnt(0)
	v_max_f32_e32 v5, v27, v27
	ds_bpermute_b32 v27, v21, v8
	v_max_f32_e32 v4, v30, v4
	ds_bpermute_b32 v30, v17, v4
	v_max_f32_e32 v5, v20, v5
	v_sub_f32_e32 v115, v14, v34
	s_waitcnt lgkmcnt(1)
	v_max_f32_e32 v20, v27, v27
	v_max_f32_e32 v8, v8, v20
	s_waitcnt lgkmcnt(0)
	v_max_f32_e32 v27, v30, v30
	ds_bpermute_b32 v20, v22, v8
	v_max_f32_e32 v4, v4, v27
	ds_bpermute_b32 v27, v18, v4
	ds_bpermute_b32 v30, v25, v5
	v_mov_b32_e32 v1, 0x7f800000
	s_waitcnt lgkmcnt(2)
	v_max_f32_e32 v20, v20, v20
	v_max_f32_e32 v8, v8, v20
	s_waitcnt lgkmcnt(1)
	v_max_f32_e32 v27, v27, v27
	ds_bpermute_b32 v20, v25, v8
	v_max_f32_e32 v27, v4, v27
	ds_bpermute_b32 v31, v21, v27
	s_waitcnt lgkmcnt(2)
	v_max_f32_e32 v4, v30, v30
	v_max_f32_e32 v35, v5, v4
	s_waitcnt lgkmcnt(1)
	v_max_f32_e32 v5, v20, v20
	v_max_f32_e32 v36, v8, v5
	s_waitcnt lgkmcnt(0)
	v_max_f32_e32 v8, v31, v31
	v_add_f32_e32 v20, v7, v0
	v_max_f32_e32 v8, v27, v8
	v_add_f32_e32 v7, 0x40051340, v20
	;; [unrolled: 2-line block ×4, first 2 shown]
	v_max_f32_e32 v30, v9, v9
	ds_bpermute_b32 v27, v17, v7
	v_max_f32_e32 v6, v30, v6
	ds_bpermute_b32 v17, v17, v6
	ds_bpermute_b32 v30, v22, v8
	v_sub_f32_e32 v116, v13, v35
	s_waitcnt lgkmcnt(2)
	v_max_f32_e32 v27, v27, v27
	v_max_f32_e32 v7, v7, v27
	s_waitcnt lgkmcnt(1)
	v_max_f32_e32 v17, v17, v17
	ds_bpermute_b32 v27, v18, v7
	v_max_f32_e32 v6, v6, v17
	ds_bpermute_b32 v17, v18, v6
	s_waitcnt lgkmcnt(2)
	v_max_f32_e32 v18, v30, v30
	v_max_f32_e32 v8, v8, v18
	s_waitcnt lgkmcnt(1)
	v_max_f32_e32 v27, v27, v27
	v_max_f32_e32 v7, v7, v27
	s_waitcnt lgkmcnt(0)
	v_max_f32_e32 v17, v17, v17
	ds_bpermute_b32 v27, v21, v7
	v_max_f32_e32 v6, v6, v17
	ds_bpermute_b32 v17, v21, v6
	ds_bpermute_b32 v21, v25, v8
	v_sub_f32_e32 v117, v12, v36
	s_waitcnt lgkmcnt(2)
	v_max_f32_e32 v18, v27, v27
	v_max_f32_e32 v7, v7, v18
	s_waitcnt lgkmcnt(1)
	v_max_f32_e32 v17, v17, v17
	ds_bpermute_b32 v18, v22, v7
	v_max_f32_e32 v6, v6, v17
	ds_bpermute_b32 v17, v22, v6
	v_cmp_ngt_f32_e64 s[40:41], s75, v113
	v_cmp_nlt_f32_e64 s[42:43], s76, v113
	s_waitcnt lgkmcnt(1)
	v_max_f32_e32 v18, v18, v18
	v_max_f32_e32 v7, v7, v18
	s_waitcnt lgkmcnt(0)
	v_max_f32_e32 v17, v17, v17
	ds_bpermute_b32 v18, v25, v7
	v_max_f32_e32 v17, v6, v17
	ds_bpermute_b32 v22, v25, v17
	v_max_f32_e32 v6, v21, v21
	v_max_f32_e32 v37, v8, v6
	s_waitcnt lgkmcnt(1)
	v_max_f32_e32 v8, v18, v18
	v_max_f32_e32 v38, v7, v8
	s_waitcnt lgkmcnt(0)
	v_max_f32_e32 v8, v22, v22
	v_max_f32_e32 v39, v17, v8
	v_sub_f32_e32 v17, v19, v32
	v_mul_f32_e32 v18, 0x3fb8aa3b, v17
	v_fma_f32 v19, v17, s74, -v18
	v_rndne_f32_e32 v21, v18
	v_fmac_f32_e32 v19, 0x32a5705f, v17
	v_sub_f32_e32 v18, v18, v21
	v_add_f32_e32 v18, v18, v19
	v_exp_f32_e32 v18, v18
	v_cvt_i32_f32_e32 v19, v21
	v_cmp_ngt_f32_e64 s[14:15], s75, v17
	v_sub_f32_e32 v121, v11, v37
	v_sub_f32_e32 v0, v0, v39
	v_ldexp_f32 v15, v18, v19
	v_cndmask_b32_e64 v15, 0, v15, s[14:15]
	v_cmp_nlt_f32_e64 s[14:15], s76, v17
	v_sub_f32_e32 v17, v23, v33
	v_mul_f32_e32 v18, 0x3fb8aa3b, v17
	v_fma_f32 v19, v17, s74, -v18
	v_rndne_f32_e32 v21, v18
	v_fmac_f32_e32 v19, 0x32a5705f, v17
	v_sub_f32_e32 v18, v18, v21
	v_add_f32_e32 v18, v18, v19
	v_exp_f32_e32 v18, v18
	v_cvt_i32_f32_e32 v19, v21
	v_cmp_ngt_f32_e64 s[18:19], s75, v17
	v_sub_f32_e32 v122, v10, v38
	v_cndmask_b32_e64 v111, v1, v15, s[14:15]
	v_ldexp_f32 v16, v18, v19
	v_cndmask_b32_e64 v16, 0, v16, s[18:19]
	v_cmp_nlt_f32_e64 s[18:19], s76, v17
	v_sub_f32_e32 v17, v24, v34
	v_mul_f32_e32 v18, 0x3fb8aa3b, v17
	v_fma_f32 v19, v17, s74, -v18
	v_rndne_f32_e32 v21, v18
	v_fmac_f32_e32 v19, 0x32a5705f, v17
	v_sub_f32_e32 v18, v18, v21
	v_add_f32_e32 v18, v18, v19
	v_exp_f32_e32 v18, v18
	v_cvt_i32_f32_e32 v19, v21
	v_cmp_ngt_f32_e64 s[22:23], s75, v17
	v_cndmask_b32_e64 v112, v1, v16, s[18:19]
	v_cvt_f16_f32_e32 v15, v111
	v_ldexp_f32 v14, v18, v19
	v_cndmask_b32_e64 v14, 0, v14, s[22:23]
	v_cmp_nlt_f32_e64 s[22:23], s76, v17
	v_sub_f32_e32 v17, v26, v35
	v_mul_f32_e32 v18, 0x3fb8aa3b, v17
	v_fma_f32 v19, v17, s74, -v18
	v_rndne_f32_e32 v21, v18
	v_fmac_f32_e32 v19, 0x32a5705f, v17
	v_sub_f32_e32 v18, v18, v21
	v_add_f32_e32 v18, v18, v19
	v_exp_f32_e32 v18, v18
	v_cvt_i32_f32_e32 v19, v21
	v_cmp_ngt_f32_e64 s[26:27], s75, v17
	v_cndmask_b32_e64 v118, v1, v14, s[22:23]
	v_cvt_f16_f32_e32 v16, v112
	v_ldexp_f32 v13, v18, v19
	v_cndmask_b32_e64 v13, 0, v13, s[26:27]
	v_cmp_nlt_f32_e64 s[26:27], s76, v17
	v_sub_f32_e32 v17, v28, v36
	v_mul_f32_e32 v18, 0x3fb8aa3b, v17
	v_fma_f32 v19, v17, s74, -v18
	v_rndne_f32_e32 v21, v18
	v_fmac_f32_e32 v19, 0x32a5705f, v17
	v_sub_f32_e32 v18, v18, v21
	v_add_f32_e32 v18, v18, v19
	v_exp_f32_e32 v18, v18
	v_cvt_i32_f32_e32 v19, v21
	v_cmp_ngt_f32_e64 s[30:31], s75, v17
	v_cndmask_b32_e64 v2, v1, v13, s[26:27]
	buffer_store_dword v2, off, s[80:83], 0 offset:120 ; 4-byte Folded Spill
	v_ldexp_f32 v12, v18, v19
	v_cndmask_b32_e64 v12, 0, v12, s[30:31]
	v_cmp_nlt_f32_e64 s[30:31], s76, v17
	v_cvt_f16_f32_e32 v13, v2
	v_cndmask_b32_e64 v2, v1, v12, s[30:31]
	v_sub_f32_e32 v12, v29, v37
	v_mul_f32_e32 v18, 0x3fb8aa3b, v12
	v_fma_f32 v19, v12, s74, -v18
	v_rndne_f32_e32 v21, v18
	v_fmac_f32_e32 v19, 0x32a5705f, v12
	v_sub_f32_e32 v18, v18, v21
	v_add_f32_e32 v18, v18, v19
	v_exp_f32_e32 v18, v18
	v_cvt_i32_f32_e32 v19, v21
	v_cmp_ngt_f32_e64 s[36:37], s75, v12
	buffer_store_dword v2, off, s[80:83], 0 offset:132 ; 4-byte Folded Spill
	v_cvt_f16_f32_e32 v17, v2
	v_ldexp_f32 v11, v18, v19
	v_cndmask_b32_e64 v11, 0, v11, s[36:37]
	v_cmp_nlt_f32_e64 s[36:37], s76, v12
	v_sub_f32_e32 v12, v20, v38
	v_mul_f32_e32 v18, 0x3fb8aa3b, v12
	v_fma_f32 v19, v12, s74, -v18
	v_rndne_f32_e32 v20, v18
	v_fmac_f32_e32 v19, 0x32a5705f, v12
	v_sub_f32_e32 v18, v18, v20
	v_add_f32_e32 v18, v18, v19
	v_exp_f32_e32 v18, v18
	v_cvt_i32_f32_e32 v19, v20
	v_cmp_ngt_f32_e64 s[44:45], s75, v12
	v_cndmask_b32_e64 v2, v1, v11, s[36:37]
	buffer_store_dword v2, off, s[80:83], 0 offset:112 ; 4-byte Folded Spill
	v_ldexp_f32 v10, v18, v19
	v_mul_f32_e32 v18, 0x3fb8aa3b, v0
	v_fma_f32 v19, v0, s74, -v18
	v_rndne_f32_e32 v20, v18
	v_fmac_f32_e32 v19, 0x32a5705f, v0
	v_sub_f32_e32 v18, v18, v20
	v_add_f32_e32 v18, v18, v19
	v_exp_f32_e32 v18, v18
	v_cvt_i32_f32_e32 v19, v20
	v_cndmask_b32_e64 v10, 0, v10, s[44:45]
	v_cmp_nlt_f32_e64 s[44:45], s76, v12
	v_cvt_f16_f32_e32 v11, v2
	v_cndmask_b32_e64 v2, v1, v10, s[44:45]
	v_ldexp_f32 v12, v18, v19
	v_cmp_ngt_f32_e64 s[44:45], s75, v0
	v_cndmask_b32_e64 v12, 0, v12, s[44:45]
	v_cmp_nlt_f32_e64 s[44:45], s76, v0
	v_cndmask_b32_e64 v0, v1, v12, s[44:45]
	v_cvt_f16_f32_e32 v10, v2
	buffer_store_dword v0, off, s[80:83], 0 offset:136 ; 4-byte Folded Spill
	v_cvt_f16_f32_e32 v0, v0
	buffer_store_dword v2, off, s[80:83], 0 offset:140 ; 4-byte Folded Spill
	buffer_store_dword v32, off, s[80:83], 0 offset:48 ; 4-byte Folded Spill
	s_nop 0
	buffer_store_dword v33, off, s[80:83], 0 offset:52 ; 4-byte Folded Spill
	buffer_store_dword v34, off, s[80:83], 0 offset:56 ; 4-byte Folded Spill
	;; [unrolled: 1-line block ×7, first 2 shown]
	v_cvt_f16_f32_e32 v14, v118
	v_pack_b32_f16 v12, v10, v0
	buffer_load_dword v0, off, s[80:83], 0 offset:256 ; 4-byte Folded Reload
	v_cmp_ngt_f32_e64 s[14:15], s75, v114
	v_cmp_nlt_f32_e64 s[16:17], s76, v114
	v_cmp_ngt_f32_e64 s[18:19], s75, v115
	v_cmp_nlt_f32_e64 s[20:21], s76, v115
	;; [unrolled: 2-line block ×6, first 2 shown]
	v_pack_b32_f16 v11, v17, v11
	v_pack_b32_f16 v10, v14, v13
	v_sub_f32_e32 v123, v9, v39
	v_cmp_ngt_f32_e64 s[44:45], s75, v123
	v_cmp_nlt_f32_e64 s[46:47], s76, v123
	v_pack_b32_f16 v9, v15, v16
	s_waitcnt vmcnt(0)
	ds_write_b128 v0, v[9:12]
	s_and_saveexec_b64 s[68:69], s[8:9]
	s_cbranch_execz .LBB0_21
; %bb.20:                               ;   in Loop: Header=BB0_11 Depth=1
	buffer_load_dword v1, off, s[80:83], 0 offset:260 ; 4-byte Folded Reload
	buffer_load_dword v2, off, s[80:83], 0 offset:264 ; 4-byte Folded Reload
	v_mov_b32_e32 v0, s79
	s_waitcnt vmcnt(1)
	v_add_co_u32_e64 v9, s[50:51], s78, v1
	buffer_load_dword v1, off, s[80:83], 0 offset:4 ; 4-byte Folded Reload
	s_waitcnt vmcnt(1)
	v_addc_co_u32_e64 v0, s[50:51], v0, v2, s[50:51]
	s_waitcnt vmcnt(0)
	v_add_co_u32_e64 v9, s[50:51], v9, v1
	v_addc_co_u32_e64 v10, s[50:51], 0, v0, s[50:51]
	global_load_dwordx4 v[9:12], v[9:10], off offset:192
	s_nop 0
	buffer_load_dword v0, off, s[80:83], 0 offset:216 ; 4-byte Folded Reload
	s_waitcnt vmcnt(0)
	ds_write_b128 v0, v[9:12]
.LBB0_21:                               ;   in Loop: Header=BB0_11 Depth=1
	s_or_b64 exec, exec, s[68:69]
	s_and_saveexec_b64 s[68:69], s[10:11]
	s_cbranch_execz .LBB0_23
; %bb.22:                               ;   in Loop: Header=BB0_11 Depth=1
	buffer_load_dword v1, off, s[80:83], 0 offset:268 ; 4-byte Folded Reload
	buffer_load_dword v2, off, s[80:83], 0 offset:272 ; 4-byte Folded Reload
	v_mov_b32_e32 v0, s79
	s_waitcnt vmcnt(1)
	v_add_co_u32_e64 v9, s[50:51], s78, v1
	buffer_load_dword v1, off, s[80:83], 0 offset:8 ; 4-byte Folded Reload
	s_waitcnt vmcnt(1)
	v_addc_co_u32_e64 v0, s[50:51], v0, v2, s[50:51]
	s_waitcnt vmcnt(0)
	v_add_co_u32_e64 v9, s[50:51], v9, v1
	v_addc_co_u32_e64 v10, s[50:51], 0, v0, s[50:51]
	global_load_dwordx4 v[9:12], v[9:10], off offset:128
	s_nop 0
	buffer_load_dword v0, off, s[80:83], 0 offset:220 ; 4-byte Folded Reload
	s_waitcnt vmcnt(0)
	ds_write_b128 v0, v[9:12]
.LBB0_23:                               ;   in Loop: Header=BB0_11 Depth=1
	s_or_b64 exec, exec, s[68:69]
	buffer_load_dword v0, off, s[80:83], 0 offset:224 ; 4-byte Folded Reload
	s_waitcnt vmcnt(0)
	v_lshlrev_b32_e32 v0, 2, v0
	s_and_saveexec_b64 s[68:69], s[12:13]
	s_cbranch_execz .LBB0_25
; %bb.24:                               ;   in Loop: Header=BB0_11 Depth=1
	buffer_load_dword v1, off, s[80:83], 0 offset:276 ; 4-byte Folded Reload
	buffer_load_dword v2, off, s[80:83], 0 offset:280 ; 4-byte Folded Reload
	v_mov_b32_e32 v9, s79
	s_waitcnt vmcnt(1)
	v_add_co_u32_e64 v10, s[50:51], s78, v1
	s_waitcnt vmcnt(0)
	v_addc_co_u32_e64 v11, s[50:51], v9, v2, s[50:51]
	v_add_co_u32_e64 v9, s[50:51], v10, v0
	v_addc_co_u32_e64 v10, s[50:51], 0, v11, s[50:51]
	global_load_dwordx4 v[9:12], v[9:10], off
	s_nop 0
	buffer_load_dword v1, off, s[80:83], 0 offset:228 ; 4-byte Folded Reload
	s_waitcnt vmcnt(0)
	ds_write_b128 v1, v[9:12]
.LBB0_25:                               ;   in Loop: Header=BB0_11 Depth=1
	s_or_b64 exec, exec, s[68:69]
	buffer_store_dword v63, off, s[80:83], 0 offset:44 ; 4-byte Folded Spill
	buffer_store_dword v60, off, s[80:83], 0 offset:36 ; 4-byte Folded Spill
	;; [unrolled: 1-line block ×9, first 2 shown]
	s_waitcnt vmcnt(0) lgkmcnt(0)
	s_barrier
	buffer_load_dword v1, off, s[80:83], 0 offset:164 ; 4-byte Folded Reload
	v_mov_b32_e32 v8, v69
	v_mov_b32_e32 v3, v68
	;; [unrolled: 1-line block ×7, first 2 shown]
	s_or_b32 s50, s6, 16
	s_mul_hi_i32 s51, s50, s61
	s_mul_i32 s50, s50, s61
	s_lshl_b64 s[50:51], s[50:51], 2
	s_add_u32 s78, s72, s50
	s_addc_u32 s79, s73, s51
	s_waitcnt vmcnt(0)
	v_add_u32_e32 v9, 0x3800, v1
	ds_read2_b64 v[93:96], v9 offset1:28
	ds_read_b128 v[101:104], v105
	ds_read_b128 v[97:100], v105 offset:16
	ds_read_b128 v[89:92], v105 offset:32
	;; [unrolled: 1-line block ×3, first 2 shown]
	ds_read2_b64 v[81:84], v9 offset0:56 offset1:84
	ds_read2_b64 v[57:60], v9 offset0:112 offset1:140
	ds_read_b128 v[77:80], v105 offset:64
	ds_read_b128 v[73:76], v105 offset:80
	ds_read2_b64 v[25:28], v9 offset0:168 offset1:196
	ds_read_b128 v[69:72], v105 offset:96
	ds_read_b128 v[65:68], v105 offset:112
	buffer_store_dword v9, off, s[80:83], 0 offset:148 ; 4-byte Folded Spill
	v_add_u32_e32 v1, 0x4000, v1
	ds_read2_b64 v[21:24], v9 offset0:224 offset1:252
	ds_read_b128 v[61:64], v105 offset:128
	ds_read_b128 v[53:56], v105 offset:144
	ds_read2_b64 v[17:20], v1 offset0:24 offset1:52
	ds_read_b128 v[49:52], v105 offset:160
	ds_read_b128 v[45:48], v105 offset:176
	;; [unrolled: 3-line block ×3, first 2 shown]
	buffer_store_dword v1, off, s[80:83], 0 offset:144 ; 4-byte Folded Spill
	ds_read2_b64 v[9:12], v1 offset0:136 offset1:164
	ds_read_b128 v[33:36], v105 offset:224
	ds_read_b128 v[29:32], v105 offset:240
	s_waitcnt vmcnt(0) lgkmcnt(0)
	s_barrier
	s_and_saveexec_b64 s[68:69], s[8:9]
	s_cbranch_execz .LBB0_27
; %bb.26:                               ;   in Loop: Header=BB0_11 Depth=1
	buffer_load_dword v107, off, s[80:83], 0 offset:260 ; 4-byte Folded Reload
	buffer_load_dword v108, off, s[80:83], 0 offset:264 ; 4-byte Folded Reload
	;; [unrolled: 1-line block ×3, first 2 shown]
	v_mov_b32_e32 v105, s79
	s_waitcnt vmcnt(2)
	v_add_co_u32_e64 v107, s[50:51], s78, v107
	s_waitcnt vmcnt(1)
	v_addc_co_u32_e64 v105, s[50:51], v105, v108, s[50:51]
	s_waitcnt vmcnt(0)
	v_add_co_u32_e64 v107, s[50:51], v107, v1
	v_addc_co_u32_e64 v108, s[50:51], 0, v105, s[50:51]
	global_load_dwordx4 v[107:110], v[107:108], off offset:192
	s_nop 0
	buffer_load_dword v1, off, s[80:83], 0 offset:216 ; 4-byte Folded Reload
	s_waitcnt vmcnt(0)
	ds_write_b128 v1, v[107:110]
.LBB0_27:                               ;   in Loop: Header=BB0_11 Depth=1
	s_or_b64 exec, exec, s[68:69]
	s_and_saveexec_b64 s[68:69], s[10:11]
	s_cbranch_execz .LBB0_29
; %bb.28:                               ;   in Loop: Header=BB0_11 Depth=1
	buffer_load_dword v107, off, s[80:83], 0 offset:268 ; 4-byte Folded Reload
	buffer_load_dword v108, off, s[80:83], 0 offset:272 ; 4-byte Folded Reload
	;; [unrolled: 1-line block ×3, first 2 shown]
	v_mov_b32_e32 v105, s79
	s_waitcnt vmcnt(2)
	v_add_co_u32_e64 v107, s[50:51], s78, v107
	s_waitcnt vmcnt(1)
	v_addc_co_u32_e64 v105, s[50:51], v105, v108, s[50:51]
	s_waitcnt vmcnt(0)
	v_add_co_u32_e64 v107, s[50:51], v107, v1
	v_addc_co_u32_e64 v108, s[50:51], 0, v105, s[50:51]
	global_load_dwordx4 v[107:110], v[107:108], off offset:128
	s_nop 0
	buffer_load_dword v1, off, s[80:83], 0 offset:220 ; 4-byte Folded Reload
	s_waitcnt vmcnt(0)
	ds_write_b128 v1, v[107:110]
.LBB0_29:                               ;   in Loop: Header=BB0_11 Depth=1
	s_or_b64 exec, exec, s[68:69]
	buffer_store_dword v118, off, s[80:83], 0 offset:128 ; 4-byte Folded Spill
	buffer_store_dword v112, off, s[80:83], 0 offset:124 ; 4-byte Folded Spill
	;; [unrolled: 1-line block ×3, first 2 shown]
	s_and_saveexec_b64 s[68:69], s[12:13]
	s_cbranch_execz .LBB0_31
; %bb.30:                               ;   in Loop: Header=BB0_11 Depth=1
	buffer_load_dword v107, off, s[80:83], 0 offset:276 ; 4-byte Folded Reload
	buffer_load_dword v108, off, s[80:83], 0 offset:280 ; 4-byte Folded Reload
	v_mov_b32_e32 v105, s79
	s_waitcnt vmcnt(1)
	v_add_co_u32_e64 v107, s[50:51], s78, v107
	s_waitcnt vmcnt(0)
	v_addc_co_u32_e64 v105, s[50:51], v105, v108, s[50:51]
	v_add_co_u32_e64 v107, s[50:51], v107, v0
	v_addc_co_u32_e64 v108, s[50:51], 0, v105, s[50:51]
	global_load_dwordx4 v[107:110], v[107:108], off
	s_nop 0
	buffer_load_dword v0, off, s[80:83], 0 offset:228 ; 4-byte Folded Reload
	s_waitcnt vmcnt(0)
	ds_write_b128 v0, v[107:110]
.LBB0_31:                               ;   in Loop: Header=BB0_11 Depth=1
	s_or_b64 exec, exec, s[68:69]
	v_mul_u32_u24_sdwa v125, v97, s77 dst_sel:DWORD dst_unused:UNUSED_PAD src0_sel:WORD_0 src1_sel:DWORD
	v_mul_u32_u24_sdwa v124, v97, s77 dst_sel:DWORD dst_unused:UNUSED_PAD src0_sel:WORD_1 src1_sel:DWORD
	v_mul_u32_u24_sdwa v110, v98, s77 dst_sel:DWORD dst_unused:UNUSED_PAD src0_sel:WORD_0 src1_sel:DWORD
	v_mul_u32_u24_sdwa v97, v98, s77 dst_sel:DWORD dst_unused:UNUSED_PAD src0_sel:WORD_1 src1_sel:DWORD
	v_mul_f32_e32 v98, 0x3fb8aa3b, v113
	v_mul_u32_u24_sdwa v118, v99, s77 dst_sel:DWORD dst_unused:UNUSED_PAD src0_sel:WORD_0 src1_sel:DWORD
	v_mul_u32_u24_sdwa v127, v99, s77 dst_sel:DWORD dst_unused:UNUSED_PAD src0_sel:WORD_1 src1_sel:DWORD
	v_mul_u32_u24_sdwa v111, v100, s77 dst_sel:DWORD dst_unused:UNUSED_PAD src0_sel:WORD_0 src1_sel:DWORD
	v_mul_u32_u24_sdwa v0, v100, s77 dst_sel:DWORD dst_unused:UNUSED_PAD src0_sel:WORD_1 src1_sel:DWORD
	v_fma_f32 v99, v113, s74, -v98
	v_rndne_f32_e32 v100, v98
	v_fmac_f32_e32 v99, 0x32a5705f, v113
	v_sub_f32_e32 v98, v98, v100
	v_add_f32_e32 v98, v98, v99
	v_exp_f32_e32 v98, v98
	v_cvt_i32_f32_e32 v99, v100
	v_mul_u32_u24_sdwa v105, v101, s77 dst_sel:DWORD dst_unused:UNUSED_PAD src0_sel:WORD_0 src1_sel:DWORD
	v_mul_u32_u24_sdwa v108, v101, s77 dst_sel:DWORD dst_unused:UNUSED_PAD src0_sel:WORD_1 src1_sel:DWORD
	v_mul_u32_u24_sdwa v112, v102, s77 dst_sel:DWORD dst_unused:UNUSED_PAD src0_sel:WORD_0 src1_sel:DWORD
	v_ldexp_f32 v98, v98, v99
	v_mul_f32_e32 v99, 0x3fb8aa3b, v114
	v_fma_f32 v100, v114, s74, -v99
	v_rndne_f32_e32 v101, v99
	v_fmac_f32_e32 v100, 0x32a5705f, v114
	v_sub_f32_e32 v99, v99, v101
	v_add_f32_e32 v99, v99, v100
	v_exp_f32_e32 v99, v99
	v_cvt_i32_f32_e32 v100, v101
	v_mul_u32_u24_sdwa v107, v102, s77 dst_sel:DWORD dst_unused:UNUSED_PAD src0_sel:WORD_1 src1_sel:DWORD
	v_mul_u32_u24_sdwa v120, v103, s77 dst_sel:DWORD dst_unused:UNUSED_PAD src0_sel:WORD_0 src1_sel:DWORD
	v_mul_u32_u24_sdwa v119, v103, s77 dst_sel:DWORD dst_unused:UNUSED_PAD src0_sel:WORD_1 src1_sel:DWORD
	v_ldexp_f32 v99, v99, v100
	v_mul_f32_e32 v100, 0x3fb8aa3b, v115
	v_fma_f32 v101, v115, s74, -v100
	v_rndne_f32_e32 v102, v100
	v_fmac_f32_e32 v101, 0x32a5705f, v115
	v_sub_f32_e32 v100, v100, v102
	v_add_f32_e32 v100, v100, v101
	v_exp_f32_e32 v100, v100
	v_cvt_i32_f32_e32 v101, v102
	v_mul_u32_u24_sdwa v109, v104, s77 dst_sel:DWORD dst_unused:UNUSED_PAD src0_sel:WORD_0 src1_sel:DWORD
	v_mul_u32_u24_sdwa v126, v104, s77 dst_sel:DWORD dst_unused:UNUSED_PAD src0_sel:WORD_1 src1_sel:DWORD
	v_cndmask_b32_e64 v98, 0, v98, s[40:41]
	v_ldexp_f32 v100, v100, v101
	v_mul_f32_e32 v101, 0x3fb8aa3b, v116
	v_fma_f32 v102, v116, s74, -v101
	v_rndne_f32_e32 v103, v101
	v_fmac_f32_e32 v102, 0x32a5705f, v116
	v_sub_f32_e32 v101, v101, v103
	v_add_f32_e32 v101, v101, v102
	v_exp_f32_e32 v101, v101
	v_cvt_i32_f32_e32 v102, v103
	buffer_store_dword v0, off, s[80:83], 0 offset:156 ; 4-byte Folded Spill
	buffer_load_dword v1, off, s[80:83], 0 offset:44 ; 4-byte Folded Reload
	v_ldexp_f32 v101, v101, v102
	v_mul_f32_e32 v102, 0x3fb8aa3b, v117
	v_fma_f32 v103, v117, s74, -v102
	v_rndne_f32_e32 v104, v102
	v_fmac_f32_e32 v103, 0x32a5705f, v117
	v_sub_f32_e32 v102, v102, v104
	v_add_f32_e32 v102, v102, v103
	v_exp_f32_e32 v102, v102
	v_cvt_i32_f32_e32 v103, v104
	v_ldexp_f32 v102, v102, v103
	v_mul_f32_e32 v103, 0x3fb8aa3b, v121
	v_fma_f32 v104, v121, s74, -v103
	v_rndne_f32_e32 v113, v103
	v_fmac_f32_e32 v104, 0x32a5705f, v121
	v_sub_f32_e32 v103, v103, v113
	v_add_f32_e32 v103, v103, v104
	v_exp_f32_e32 v103, v103
	v_cvt_i32_f32_e32 v104, v113
	v_ldexp_f32 v103, v103, v104
	v_mul_f32_e32 v104, 0x3fb8aa3b, v122
	v_fma_f32 v113, v122, s74, -v104
	v_rndne_f32_e32 v114, v104
	v_fmac_f32_e32 v113, 0x32a5705f, v122
	v_sub_f32_e32 v104, v104, v114
	v_add_f32_e32 v104, v104, v113
	v_exp_f32_e32 v104, v104
	v_cvt_i32_f32_e32 v113, v114
	v_ldexp_f32 v104, v104, v113
	v_mul_f32_e32 v113, 0x3fb8aa3b, v123
	v_fma_f32 v114, v123, s74, -v113
	v_rndne_f32_e32 v115, v113
	v_fmac_f32_e32 v114, 0x32a5705f, v123
	v_sub_f32_e32 v113, v113, v115
	v_add_f32_e32 v113, v113, v114
	v_exp_f32_e32 v113, v113
	v_cvt_i32_f32_e32 v114, v115
	v_ldexp_f32 v114, v113, v114
	v_mov_b32_e32 v113, 0x7f800000
	v_cndmask_b32_e64 v0, v113, v98, s[42:43]
	v_cvt_f16_f32_e32 v98, v0
	buffer_store_dword v0, off, s[80:83], 0 offset:152 ; 4-byte Folded Spill
	v_mul_u32_u24_e32 v98, 0x10001, v98
	v_pk_mul_f16 v115, v3, v98
	v_pk_mul_f16 v116, v8, v98
	v_cndmask_b32_e64 v98, 0, v99, s[14:15]
	v_cndmask_b32_e64 v98, v113, v98, s[16:17]
	v_cvt_f16_f32_e32 v99, v98
	buffer_load_dword v3, off, s[80:83], 0 offset:40 ; 4-byte Folded Reload
	buffer_load_dword v8, off, s[80:83], 0 offset:20 ; 4-byte Folded Reload
	v_pk_fma_f16 v115, v93, v105, v115
	v_mul_u32_u24_e32 v99, 0x10001, v99
	v_pk_mul_f16 v117, v5, v99
	v_pk_mul_f16 v121, v4, v99
	v_cndmask_b32_e64 v99, 0, v100, s[18:19]
	buffer_load_dword v4, off, s[80:83], 0 offset:36 ; 4-byte Folded Reload
	buffer_load_dword v5, off, s[80:83], 0 offset:32 ; 4-byte Folded Reload
	v_cndmask_b32_e64 v99, v113, v99, s[20:21]
	v_cvt_f16_f32_e32 v100, v99
	v_pk_fma_f16 v105, v94, v105, v116
	v_pk_fma_f16 v116, v93, v108, v117
	;; [unrolled: 1-line block ×3, first 2 shown]
	v_mul_u32_u24_e32 v100, 0x10001, v100
	v_pk_mul_f16 v123, v6, v100
	buffer_load_dword v6, off, s[80:83], 0 offset:28 ; 4-byte Folded Reload
	v_pk_mul_f16 v122, v7, v100
	buffer_load_dword v7, off, s[80:83], 0 offset:24 ; 4-byte Folded Reload
	v_cndmask_b32_e64 v100, 0, v101, s[22:23]
	v_cndmask_b32_e64 v100, v113, v100, s[24:25]
	v_cvt_f16_f32_e32 v101, v100
	v_pk_fma_f16 v117, v93, v112, v122
	v_pk_fma_f16 v112, v94, v112, v123
	;; [unrolled: 1-line block ×3, first 2 shown]
	v_mul_u32_u24_e32 v101, 0x10001, v101
	v_pk_mul_f16 v0, v2, v101
	v_cndmask_b32_e64 v2, 0, v102, s[26:27]
	s_waitcnt vmcnt(7)
	v_pk_mul_f16 v1, v1, v101
	v_cndmask_b32_e64 v101, v113, v2, s[28:29]
	v_cvt_f16_f32_e32 v2, v101
	v_pk_fma_f16 v0, v93, v107, v0
	v_pk_fma_f16 v1, v94, v107, v1
	;; [unrolled: 1-line block ×3, first 2 shown]
	v_mul_u32_u24_e32 v2, 0x10001, v2
	v_pk_fma_f16 v1, v96, v97, v1
	v_pk_fma_f16 v107, v95, v124, v116
	;; [unrolled: 1-line block ×3, first 2 shown]
	v_mul_u32_u24_sdwa v116, v88, s77 dst_sel:DWORD dst_unused:UNUSED_PAD src0_sel:WORD_0 src1_sel:DWORD
	v_mul_u32_u24_sdwa v88, v88, s77 dst_sel:DWORD dst_unused:UNUSED_PAD src0_sel:WORD_1 src1_sel:DWORD
	v_mul_u32_u24_sdwa v121, v29, s77 dst_sel:DWORD dst_unused:UNUSED_PAD src0_sel:WORD_0 src1_sel:DWORD
	v_mul_u32_u24_sdwa v29, v29, s77 dst_sel:DWORD dst_unused:UNUSED_PAD src0_sel:WORD_1 src1_sel:DWORD
	;; [unrolled: 2-line block ×5, first 2 shown]
	buffer_load_dword v97, off, s[80:83], 0 offset:156 ; 4-byte Folded Reload
	s_waitcnt vmcnt(6)
	v_pk_mul_f16 v3, v3, v2
	v_pk_fma_f16 v3, v93, v120, v3
	v_pk_fma_f16 v3, v95, v118, v3
	s_waitcnt vmcnt(4)
	v_pk_mul_f16 v2, v4, v2
	v_cndmask_b32_e64 v4, 0, v103, s[30:31]
	v_cndmask_b32_e64 v102, v113, v4, s[34:35]
	v_cvt_f16_f32_e32 v4, v102
	v_pk_fma_f16 v2, v94, v120, v2
	v_pk_fma_f16 v2, v96, v118, v2
	v_mul_u32_u24_sdwa v118, v34, s77 dst_sel:DWORD dst_unused:UNUSED_PAD src0_sel:WORD_0 src1_sel:DWORD
	v_mul_u32_u24_e32 v4, 0x10001, v4
	s_waitcnt vmcnt(3)
	v_pk_mul_f16 v5, v5, v4
	s_waitcnt vmcnt(2)
	v_pk_mul_f16 v4, v6, v4
	v_cndmask_b32_e64 v6, 0, v104, s[36:37]
	v_cndmask_b32_e64 v103, v113, v6, s[38:39]
	v_cvt_f16_f32_e32 v6, v103
	v_pk_fma_f16 v5, v93, v119, v5
	v_pk_fma_f16 v4, v94, v119, v4
	;; [unrolled: 1-line block ×3, first 2 shown]
	v_mul_u32_u24_e32 v6, 0x10001, v6
	s_waitcnt vmcnt(1)
	v_pk_mul_f16 v7, v7, v6
	v_pk_mul_f16 v6, v8, v6
	v_cndmask_b32_e64 v8, 0, v114, s[44:45]
	v_cndmask_b32_e64 v104, v113, v8, s[46:47]
	buffer_load_dword v113, off, s[80:83], 0 offset:16 ; 4-byte Folded Reload
	v_cvt_f16_f32_e32 v8, v104
	v_pk_fma_f16 v7, v93, v109, v7
	v_pk_fma_f16 v6, v94, v109, v6
	;; [unrolled: 1-line block ×3, first 2 shown]
	v_mul_u32_u24_e32 v8, 0x10001, v8
	v_pk_fma_f16 v109, v95, v110, v117
	v_pk_fma_f16 v110, v96, v110, v112
	;; [unrolled: 1-line block ×4, first 2 shown]
	v_mul_u32_u24_sdwa v111, v92, s77 dst_sel:DWORD dst_unused:UNUSED_PAD src0_sel:WORD_0 src1_sel:DWORD
	v_mul_u32_u24_sdwa v92, v92, s77 dst_sel:DWORD dst_unused:UNUSED_PAD src0_sel:WORD_1 src1_sel:DWORD
	v_mul_u32_u24_sdwa v112, v85, s77 dst_sel:DWORD dst_unused:UNUSED_PAD src0_sel:WORD_0 src1_sel:DWORD
	v_mul_u32_u24_sdwa v85, v85, s77 dst_sel:DWORD dst_unused:UNUSED_PAD src0_sel:WORD_1 src1_sel:DWORD
	v_pk_fma_f16 v7, v81, v111, v7
	v_pk_fma_f16 v6, v82, v111, v6
	;; [unrolled: 1-line block ×4, first 2 shown]
	v_mul_u32_u24_sdwa v111, v68, s77 dst_sel:DWORD dst_unused:UNUSED_PAD src0_sel:WORD_0 src1_sel:DWORD
	v_mul_u32_u24_sdwa v68, v68, s77 dst_sel:DWORD dst_unused:UNUSED_PAD src0_sel:WORD_1 src1_sel:DWORD
	v_mul_u32_u24_sdwa v116, v64, s77 dst_sel:DWORD dst_unused:UNUSED_PAD src0_sel:WORD_0 src1_sel:DWORD
	v_mul_u32_u24_sdwa v64, v64, s77 dst_sel:DWORD dst_unused:UNUSED_PAD src0_sel:WORD_1 src1_sel:DWORD
	;; [unrolled: 2-line block ×3, first 2 shown]
	v_mul_u32_u24_sdwa v34, v34, s77 dst_sel:DWORD dst_unused:UNUSED_PAD src0_sel:WORD_1 src1_sel:DWORD
	v_mul_u32_u24_sdwa v119, v35, s77 dst_sel:DWORD dst_unused:UNUSED_PAD src0_sel:WORD_0 src1_sel:DWORD
	v_mul_u32_u24_sdwa v35, v35, s77 dst_sel:DWORD dst_unused:UNUSED_PAD src0_sel:WORD_1 src1_sel:DWORD
	v_mul_u32_u24_sdwa v120, v36, s77 dst_sel:DWORD dst_unused:UNUSED_PAD src0_sel:WORD_0 src1_sel:DWORD
	v_mul_u32_u24_sdwa v36, v36, s77 dst_sel:DWORD dst_unused:UNUSED_PAD src0_sel:WORD_1 src1_sel:DWORD
	s_waitcnt vmcnt(0)
	v_pk_mul_f16 v114, v113, v8
	buffer_load_dword v113, off, s[80:83], 0 offset:12 ; 4-byte Folded Reload
	v_pk_fma_f16 v93, v93, v126, v114
	v_mul_u32_u24_sdwa v114, v86, s77 dst_sel:DWORD dst_unused:UNUSED_PAD src0_sel:WORD_0 src1_sel:DWORD
	v_mul_u32_u24_sdwa v86, v86, s77 dst_sel:DWORD dst_unused:UNUSED_PAD src0_sel:WORD_1 src1_sel:DWORD
	v_pk_fma_f16 v93, v95, v97, v93
	s_waitcnt vmcnt(0)
	v_pk_mul_f16 v8, v113, v8
	v_pk_fma_f16 v8, v94, v126, v8
	v_pk_fma_f16 v94, v95, v125, v115
	buffer_load_dword v113, off, s[80:83], 0 offset:80 ; 4-byte Folded Reload
	buffer_load_dword v125, off, s[80:83], 0 offset:116 ; 4-byte Folded Reload
	;; [unrolled: 1-line block ×3, first 2 shown]
	v_pk_fma_f16 v8, v96, v97, v8
	v_mul_u32_u24_sdwa v95, v89, s77 dst_sel:DWORD dst_unused:UNUSED_PAD src0_sel:WORD_0 src1_sel:DWORD
	v_mul_u32_u24_sdwa v89, v89, s77 dst_sel:DWORD dst_unused:UNUSED_PAD src0_sel:WORD_1 src1_sel:DWORD
	v_mul_u32_u24_sdwa v96, v90, s77 dst_sel:DWORD dst_unused:UNUSED_PAD src0_sel:WORD_0 src1_sel:DWORD
	v_mul_u32_u24_sdwa v90, v90, s77 dst_sel:DWORD dst_unused:UNUSED_PAD src0_sel:WORD_1 src1_sel:DWORD
	;; [unrolled: 2-line block ×4, first 2 shown]
	v_pk_fma_f16 v94, v81, v95, v94
	v_pk_fma_f16 v95, v82, v95, v105
	v_pk_fma_f16 v105, v81, v89, v107
	v_pk_fma_f16 v89, v82, v89, v108
	v_pk_fma_f16 v107, v81, v96, v109
	v_pk_fma_f16 v96, v82, v96, v110
	v_pk_fma_f16 v0, v81, v90, v0
	v_pk_fma_f16 v1, v82, v90, v1
	v_pk_fma_f16 v3, v81, v97, v3
	v_pk_fma_f16 v2, v82, v97, v2
	v_pk_fma_f16 v5, v81, v91, v5
	v_pk_fma_f16 v4, v82, v91, v4
	v_pk_fma_f16 v81, v81, v92, v93
	v_pk_fma_f16 v8, v82, v92, v8
	v_pk_fma_f16 v82, v83, v112, v94
	v_pk_fma_f16 v90, v84, v112, v95
	v_pk_fma_f16 v91, v83, v85, v105
	v_pk_fma_f16 v85, v84, v85, v89
	v_pk_fma_f16 v89, v83, v114, v107
	v_pk_fma_f16 v92, v84, v114, v96
	v_pk_fma_f16 v0, v83, v86, v0
	v_pk_fma_f16 v1, v84, v86, v1
	v_pk_fma_f16 v3, v83, v115, v3
	v_pk_fma_f16 v2, v84, v115, v2
	v_mul_u32_u24_sdwa v86, v77, s77 dst_sel:DWORD dst_unused:UNUSED_PAD src0_sel:WORD_0 src1_sel:DWORD
	v_pk_fma_f16 v5, v83, v87, v5
	v_pk_fma_f16 v4, v84, v87, v4
	v_mul_u32_u24_sdwa v77, v77, s77 dst_sel:DWORD dst_unused:UNUSED_PAD src0_sel:WORD_1 src1_sel:DWORD
	v_mul_u32_u24_sdwa v87, v78, s77 dst_sel:DWORD dst_unused:UNUSED_PAD src0_sel:WORD_0 src1_sel:DWORD
	v_pk_fma_f16 v81, v83, v88, v81
	v_pk_fma_f16 v8, v84, v88, v8
	v_mul_u32_u24_sdwa v78, v78, s77 dst_sel:DWORD dst_unused:UNUSED_PAD src0_sel:WORD_1 src1_sel:DWORD
	v_mul_u32_u24_sdwa v83, v79, s77 dst_sel:DWORD dst_unused:UNUSED_PAD src0_sel:WORD_0 src1_sel:DWORD
	v_mul_u32_u24_sdwa v79, v79, s77 dst_sel:DWORD dst_unused:UNUSED_PAD src0_sel:WORD_1 src1_sel:DWORD
	v_mul_u32_u24_sdwa v84, v80, s77 dst_sel:DWORD dst_unused:UNUSED_PAD src0_sel:WORD_0 src1_sel:DWORD
	;; [unrolled: 2-line block ×6, first 2 shown]
	v_mul_u32_u24_sdwa v76, v76, s77 dst_sel:DWORD dst_unused:UNUSED_PAD src0_sel:WORD_1 src1_sel:DWORD
	v_pk_fma_f16 v82, v57, v86, v82
	v_pk_fma_f16 v86, v58, v86, v90
	;; [unrolled: 1-line block ×11, first 2 shown]
	v_mul_u32_u24_sdwa v96, v69, s77 dst_sel:DWORD dst_unused:UNUSED_PAD src0_sel:WORD_0 src1_sel:DWORD
	v_mul_u32_u24_sdwa v69, v69, s77 dst_sel:DWORD dst_unused:UNUSED_PAD src0_sel:WORD_1 src1_sel:DWORD
	v_mul_u32_u24_sdwa v97, v70, s77 dst_sel:DWORD dst_unused:UNUSED_PAD src0_sel:WORD_0 src1_sel:DWORD
	v_mul_u32_u24_sdwa v70, v70, s77 dst_sel:DWORD dst_unused:UNUSED_PAD src0_sel:WORD_1 src1_sel:DWORD
	v_mul_u32_u24_sdwa v105, v71, s77 dst_sel:DWORD dst_unused:UNUSED_PAD src0_sel:WORD_0 src1_sel:DWORD
	v_mul_u32_u24_sdwa v71, v71, s77 dst_sel:DWORD dst_unused:UNUSED_PAD src0_sel:WORD_1 src1_sel:DWORD
	v_mul_u32_u24_sdwa v107, v72, s77 dst_sel:DWORD dst_unused:UNUSED_PAD src0_sel:WORD_0 src1_sel:DWORD
	v_mul_u32_u24_sdwa v72, v72, s77 dst_sel:DWORD dst_unused:UNUSED_PAD src0_sel:WORD_1 src1_sel:DWORD
	v_pk_fma_f16 v87, v58, v87, v92
	v_pk_fma_f16 v1, v58, v78, v1
	;; [unrolled: 1-line block ×7, first 2 shown]
	s_waitcnt vmcnt(0)
	v_fmac_f32_e32 v125, v113, v126
	buffer_load_dword v113, off, s[80:83], 0 offset:84 ; 4-byte Folded Reload
	buffer_load_dword v126, off, s[80:83], 0 offset:124 ; 4-byte Folded Reload
	v_pk_fma_f16 v73, v60, v73, v77
	v_pk_fma_f16 v77, v59, v93, v85
	;; [unrolled: 1-line block ×8, first 2 shown]
	v_mul_u32_u24_sdwa v108, v65, s77 dst_sel:DWORD dst_unused:UNUSED_PAD src0_sel:WORD_0 src1_sel:DWORD
	v_mul_u32_u24_sdwa v65, v65, s77 dst_sel:DWORD dst_unused:UNUSED_PAD src0_sel:WORD_1 src1_sel:DWORD
	v_mul_u32_u24_sdwa v109, v66, s77 dst_sel:DWORD dst_unused:UNUSED_PAD src0_sel:WORD_0 src1_sel:DWORD
	v_mul_u32_u24_sdwa v66, v66, s77 dst_sel:DWORD dst_unused:UNUSED_PAD src0_sel:WORD_1 src1_sel:DWORD
	;; [unrolled: 2-line block ×3, first 2 shown]
	v_pk_fma_f16 v78, v60, v88, v86
	v_pk_fma_f16 v80, v60, v93, v87
	;; [unrolled: 1-line block ×16, first 2 shown]
	v_mul_u32_u24_sdwa v112, v61, s77 dst_sel:DWORD dst_unused:UNUSED_PAD src0_sel:WORD_0 src1_sel:DWORD
	v_mul_u32_u24_sdwa v61, v61, s77 dst_sel:DWORD dst_unused:UNUSED_PAD src0_sel:WORD_1 src1_sel:DWORD
	v_mul_u32_u24_sdwa v114, v62, s77 dst_sel:DWORD dst_unused:UNUSED_PAD src0_sel:WORD_0 src1_sel:DWORD
	v_mul_u32_u24_sdwa v62, v62, s77 dst_sel:DWORD dst_unused:UNUSED_PAD src0_sel:WORD_1 src1_sel:DWORD
	;; [unrolled: 2-line block ×3, first 2 shown]
	v_pk_fma_f16 v78, v26, v96, v78
	v_pk_fma_f16 v77, v26, v97, v80
	;; [unrolled: 1-line block ×15, first 2 shown]
	v_mul_u32_u24_sdwa v74, v53, s77 dst_sel:DWORD dst_unused:UNUSED_PAD src0_sel:WORD_0 src1_sel:DWORD
	v_mul_u32_u24_sdwa v53, v53, s77 dst_sel:DWORD dst_unused:UNUSED_PAD src0_sel:WORD_1 src1_sel:DWORD
	v_mul_u32_u24_sdwa v75, v54, s77 dst_sel:DWORD dst_unused:UNUSED_PAD src0_sel:WORD_0 src1_sel:DWORD
	v_mul_u32_u24_sdwa v54, v54, s77 dst_sel:DWORD dst_unused:UNUSED_PAD src0_sel:WORD_1 src1_sel:DWORD
	;; [unrolled: 2-line block ×4, first 2 shown]
	v_pk_fma_f16 v27, v28, v108, v78
	v_pk_fma_f16 v65, v28, v65, v69
	;; [unrolled: 1-line block ×16, first 2 shown]
	v_mul_u32_u24_sdwa v76, v49, s77 dst_sel:DWORD dst_unused:UNUSED_PAD src0_sel:WORD_0 src1_sel:DWORD
	v_mul_u32_u24_sdwa v49, v49, s77 dst_sel:DWORD dst_unused:UNUSED_PAD src0_sel:WORD_1 src1_sel:DWORD
	v_mul_u32_u24_sdwa v81, v50, s77 dst_sel:DWORD dst_unused:UNUSED_PAD src0_sel:WORD_0 src1_sel:DWORD
	v_mul_u32_u24_sdwa v50, v50, s77 dst_sel:DWORD dst_unused:UNUSED_PAD src0_sel:WORD_1 src1_sel:DWORD
	s_waitcnt vmcnt(0)
	v_fmac_f32_e32 v126, v113, v98
	buffer_load_dword v98, off, s[80:83], 0 offset:88 ; 4-byte Folded Reload
	buffer_load_dword v127, off, s[80:83], 0 offset:128 ; 4-byte Folded Reload
	v_mul_u32_u24_sdwa v82, v51, s77 dst_sel:DWORD dst_unused:UNUSED_PAD src0_sel:WORD_0 src1_sel:DWORD
	v_mul_u32_u24_sdwa v51, v51, s77 dst_sel:DWORD dst_unused:UNUSED_PAD src0_sel:WORD_1 src1_sel:DWORD
	v_mul_u32_u24_sdwa v83, v52, s77 dst_sel:DWORD dst_unused:UNUSED_PAD src0_sel:WORD_0 src1_sel:DWORD
	v_mul_u32_u24_sdwa v52, v52, s77 dst_sel:DWORD dst_unused:UNUSED_PAD src0_sel:WORD_1 src1_sel:DWORD
	v_pk_fma_f16 v25, v22, v112, v27
	v_pk_fma_f16 v27, v22, v61, v65
	;; [unrolled: 1-line block ×16, first 2 shown]
	v_mul_u32_u24_sdwa v84, v45, s77 dst_sel:DWORD dst_unused:UNUSED_PAD src0_sel:WORD_0 src1_sel:DWORD
	v_mul_u32_u24_sdwa v45, v45, s77 dst_sel:DWORD dst_unused:UNUSED_PAD src0_sel:WORD_1 src1_sel:DWORD
	v_mul_u32_u24_sdwa v85, v46, s77 dst_sel:DWORD dst_unused:UNUSED_PAD src0_sel:WORD_0 src1_sel:DWORD
	v_mul_u32_u24_sdwa v46, v46, s77 dst_sel:DWORD dst_unused:UNUSED_PAD src0_sel:WORD_1 src1_sel:DWORD
	;; [unrolled: 2-line block ×4, first 2 shown]
	v_pk_fma_f16 v23, v24, v74, v25
	v_pk_fma_f16 v25, v24, v53, v27
	;; [unrolled: 1-line block ×16, first 2 shown]
	v_mul_u32_u24_sdwa v88, v41, s77 dst_sel:DWORD dst_unused:UNUSED_PAD src0_sel:WORD_0 src1_sel:DWORD
	v_mul_u32_u24_sdwa v41, v41, s77 dst_sel:DWORD dst_unused:UNUSED_PAD src0_sel:WORD_1 src1_sel:DWORD
	v_mul_u32_u24_sdwa v89, v42, s77 dst_sel:DWORD dst_unused:UNUSED_PAD src0_sel:WORD_0 src1_sel:DWORD
	v_mul_u32_u24_sdwa v42, v42, s77 dst_sel:DWORD dst_unused:UNUSED_PAD src0_sel:WORD_1 src1_sel:DWORD
	;; [unrolled: 2-line block ×4, first 2 shown]
	v_pk_fma_f16 v21, v18, v76, v23
	v_pk_fma_f16 v23, v18, v49, v25
	;; [unrolled: 1-line block ×16, first 2 shown]
	v_mul_u32_u24_sdwa v95, v40, s77 dst_sel:DWORD dst_unused:UNUSED_PAD src0_sel:WORD_0 src1_sel:DWORD
	v_mul_u32_u24_sdwa v40, v40, s77 dst_sel:DWORD dst_unused:UNUSED_PAD src0_sel:WORD_1 src1_sel:DWORD
	v_pk_fma_f16 v19, v20, v84, v21
	v_pk_fma_f16 v21, v20, v45, v23
	;; [unrolled: 1-line block ×9, first 2 shown]
	s_waitcnt vmcnt(0)
	v_fmac_f32_e32 v127, v98, v99
	buffer_load_dword v98, off, s[80:83], 0 offset:92 ; 4-byte Folded Reload
	buffer_load_dword v113, off, s[80:83], 0 offset:120 ; 4-byte Folded Reload
	v_pk_fma_f16 v22, v13, v89, v24
	v_pk_fma_f16 v0, v13, v42, v0
	;; [unrolled: 1-line block ×9, first 2 shown]
	v_mul_u32_u24_sdwa v92, v37, s77 dst_sel:DWORD dst_unused:UNUSED_PAD src0_sel:WORD_0 src1_sel:DWORD
	v_mul_u32_u24_sdwa v37, v37, s77 dst_sel:DWORD dst_unused:UNUSED_PAD src0_sel:WORD_1 src1_sel:DWORD
	v_mul_u32_u24_sdwa v93, v38, s77 dst_sel:DWORD dst_unused:UNUSED_PAD src0_sel:WORD_0 src1_sel:DWORD
	v_mul_u32_u24_sdwa v38, v38, s77 dst_sel:DWORD dst_unused:UNUSED_PAD src0_sel:WORD_1 src1_sel:DWORD
	;; [unrolled: 2-line block ×3, first 2 shown]
	v_pk_fma_f16 v17, v14, v88, v19
	v_pk_fma_f16 v19, v14, v41, v21
	;; [unrolled: 1-line block ×53, first 2 shown]
	s_waitcnt vmcnt(0)
	v_fmac_f32_e32 v113, v98, v100
	buffer_load_dword v98, off, s[80:83], 0 offset:96 ; 4-byte Folded Reload
	buffer_load_dword v100, off, s[80:83], 0 offset:132 ; 4-byte Folded Reload
	s_waitcnt vmcnt(0)
	v_fmac_f32_e32 v100, v98, v101
	buffer_load_dword v98, off, s[80:83], 0 offset:100 ; 4-byte Folded Reload
	buffer_load_dword v99, off, s[80:83], 0 offset:112 ; 4-byte Folded Reload
	;; [unrolled: 4-line block ×4, first 2 shown]
	s_waitcnt vmcnt(0) lgkmcnt(0)
	s_barrier
	buffer_load_dword v105, off, s[80:83], 0 offset:212 ; 4-byte Folded Reload
	buffer_load_dword v40, off, s[80:83], 0 offset:148 ; 4-byte Folded Reload
	v_fmac_f32_e32 v101, v98, v104
	s_waitcnt vmcnt(1)
	ds_read_b128 v[9:12], v105 offset:256
	s_waitcnt vmcnt(0)
	ds_read2_b64 v[13:16], v40 offset1:28
	ds_read_b128 v[17:20], v105 offset:272
	ds_read_b128 v[21:24], v105 offset:288
	;; [unrolled: 1-line block ×3, first 2 shown]
	s_waitcnt lgkmcnt(4)
	v_mul_u32_u24_sdwa v30, v9, s77 dst_sel:DWORD dst_unused:UNUSED_PAD src0_sel:WORD_0 src1_sel:DWORD
	v_mul_u32_u24_sdwa v9, v9, s77 dst_sel:DWORD dst_unused:UNUSED_PAD src0_sel:WORD_1 src1_sel:DWORD
	v_mul_u32_u24_sdwa v31, v10, s77 dst_sel:DWORD dst_unused:UNUSED_PAD src0_sel:WORD_0 src1_sel:DWORD
	v_mul_u32_u24_sdwa v10, v10, s77 dst_sel:DWORD dst_unused:UNUSED_PAD src0_sel:WORD_1 src1_sel:DWORD
	;; [unrolled: 2-line block ×4, first 2 shown]
	s_waitcnt lgkmcnt(3)
	v_pk_fma_f16 v33, v13, v30, v33
	v_pk_fma_f16 v34, v13, v9, v34
	;; [unrolled: 1-line block ×16, first 2 shown]
	s_waitcnt lgkmcnt(2)
	v_mul_u32_u24_sdwa v10, v17, s77 dst_sel:DWORD dst_unused:UNUSED_PAD src0_sel:WORD_0 src1_sel:DWORD
	v_mul_u32_u24_sdwa v11, v17, s77 dst_sel:DWORD dst_unused:UNUSED_PAD src0_sel:WORD_1 src1_sel:DWORD
	v_mul_u32_u24_sdwa v12, v18, s77 dst_sel:DWORD dst_unused:UNUSED_PAD src0_sel:WORD_0 src1_sel:DWORD
	v_mul_u32_u24_sdwa v14, v18, s77 dst_sel:DWORD dst_unused:UNUSED_PAD src0_sel:WORD_1 src1_sel:DWORD
	;; [unrolled: 2-line block ×4, first 2 shown]
	v_pk_fma_f16 v31, v15, v10, v33
	v_pk_fma_f16 v32, v15, v11, v34
	;; [unrolled: 1-line block ×11, first 2 shown]
	ds_read2_b64 v[9:12], v40 offset0:56 offset1:84
	v_pk_fma_f16 v1, v16, v14, v1
	v_pk_fma_f16 v2, v16, v17, v2
	v_pk_fma_f16 v4, v16, v18, v4
	v_pk_fma_f16 v6, v16, v19, v6
	v_pk_fma_f16 v8, v16, v20, v8
	s_waitcnt lgkmcnt(2)
	v_mul_u32_u24_sdwa v14, v21, s77 dst_sel:DWORD dst_unused:UNUSED_PAD src0_sel:WORD_0 src1_sel:DWORD
	v_mul_u32_u24_sdwa v16, v21, s77 dst_sel:DWORD dst_unused:UNUSED_PAD src0_sel:WORD_1 src1_sel:DWORD
	v_mul_u32_u24_sdwa v17, v22, s77 dst_sel:DWORD dst_unused:UNUSED_PAD src0_sel:WORD_0 src1_sel:DWORD
	v_mul_u32_u24_sdwa v18, v22, s77 dst_sel:DWORD dst_unused:UNUSED_PAD src0_sel:WORD_1 src1_sel:DWORD
	;; [unrolled: 2-line block ×4, first 2 shown]
	s_waitcnt lgkmcnt(0)
	v_pk_fma_f16 v23, v9, v14, v31
	v_pk_fma_f16 v24, v9, v16, v32
	;; [unrolled: 1-line block ×16, first 2 shown]
	v_mul_u32_u24_sdwa v10, v25, s77 dst_sel:DWORD dst_unused:UNUSED_PAD src0_sel:WORD_0 src1_sel:DWORD
	v_mul_u32_u24_sdwa v16, v25, s77 dst_sel:DWORD dst_unused:UNUSED_PAD src0_sel:WORD_1 src1_sel:DWORD
	v_mul_u32_u24_sdwa v17, v26, s77 dst_sel:DWORD dst_unused:UNUSED_PAD src0_sel:WORD_0 src1_sel:DWORD
	v_mul_u32_u24_sdwa v18, v26, s77 dst_sel:DWORD dst_unused:UNUSED_PAD src0_sel:WORD_1 src1_sel:DWORD
	;; [unrolled: 2-line block ×4, first 2 shown]
	v_pk_fma_f16 v24, v11, v16, v24
	v_pk_fma_f16 v27, v12, v10, v13
	v_pk_fma_f16 v28, v12, v16, v14
	v_pk_fma_f16 v29, v12, v17, v15
	ds_read_b128 v[13:16], v105 offset:320
	v_pk_fma_f16 v23, v11, v10, v23
	v_pk_fma_f16 v25, v11, v17, v31
	;; [unrolled: 1-line block ×12, first 2 shown]
	ds_read2_b64 v[9:12], v40 offset0:112 offset1:140
	ds_read_b128 v[17:20], v105 offset:336
	s_waitcnt lgkmcnt(2)
	v_mul_u32_u24_sdwa v21, v13, s77 dst_sel:DWORD dst_unused:UNUSED_PAD src0_sel:WORD_0 src1_sel:DWORD
	v_mul_u32_u24_sdwa v13, v13, s77 dst_sel:DWORD dst_unused:UNUSED_PAD src0_sel:WORD_1 src1_sel:DWORD
	v_mul_u32_u24_sdwa v22, v14, s77 dst_sel:DWORD dst_unused:UNUSED_PAD src0_sel:WORD_0 src1_sel:DWORD
	v_mul_u32_u24_sdwa v14, v14, s77 dst_sel:DWORD dst_unused:UNUSED_PAD src0_sel:WORD_1 src1_sel:DWORD
	;; [unrolled: 2-line block ×4, first 2 shown]
	s_waitcnt lgkmcnt(1)
	v_pk_fma_f16 v23, v9, v21, v23
	v_pk_fma_f16 v24, v9, v13, v24
	;; [unrolled: 1-line block ×13, first 2 shown]
	s_waitcnt lgkmcnt(0)
	v_mul_u32_u24_sdwa v14, v17, s77 dst_sel:DWORD dst_unused:UNUSED_PAD src0_sel:WORD_1 src1_sel:DWORD
	v_mul_u32_u24_sdwa v15, v18, s77 dst_sel:DWORD dst_unused:UNUSED_PAD src0_sel:WORD_0 src1_sel:DWORD
	v_mul_u32_u24_sdwa v16, v18, s77 dst_sel:DWORD dst_unused:UNUSED_PAD src0_sel:WORD_1 src1_sel:DWORD
	v_pk_fma_f16 v21, v10, v21, v27
	v_pk_fma_f16 v2, v10, v30, v2
	;; [unrolled: 1-line block ×3, first 2 shown]
	v_mul_u32_u24_sdwa v10, v17, s77 dst_sel:DWORD dst_unused:UNUSED_PAD src0_sel:WORD_0 src1_sel:DWORD
	v_mul_u32_u24_sdwa v17, v19, s77 dst_sel:DWORD dst_unused:UNUSED_PAD src0_sel:WORD_0 src1_sel:DWORD
	v_mul_u32_u24_sdwa v18, v19, s77 dst_sel:DWORD dst_unused:UNUSED_PAD src0_sel:WORD_1 src1_sel:DWORD
	v_mul_u32_u24_sdwa v19, v20, s77 dst_sel:DWORD dst_unused:UNUSED_PAD src0_sel:WORD_0 src1_sel:DWORD
	v_mul_u32_u24_sdwa v20, v20, s77 dst_sel:DWORD dst_unused:UNUSED_PAD src0_sel:WORD_1 src1_sel:DWORD
	v_pk_fma_f16 v24, v11, v14, v24
	v_pk_fma_f16 v25, v11, v15, v25
	;; [unrolled: 1-line block ×6, first 2 shown]
	ds_read_b128 v[13:16], v105 offset:352
	v_pk_fma_f16 v23, v11, v10, v23
	v_pk_fma_f16 v3, v11, v17, v3
	;; [unrolled: 1-line block ×10, first 2 shown]
	ds_read2_b64 v[9:12], v40 offset0:168 offset1:196
	ds_read_b128 v[17:20], v105 offset:368
	s_waitcnt lgkmcnt(2)
	v_mul_u32_u24_sdwa v28, v13, s77 dst_sel:DWORD dst_unused:UNUSED_PAD src0_sel:WORD_0 src1_sel:DWORD
	v_mul_u32_u24_sdwa v13, v13, s77 dst_sel:DWORD dst_unused:UNUSED_PAD src0_sel:WORD_1 src1_sel:DWORD
	v_mul_u32_u24_sdwa v29, v14, s77 dst_sel:DWORD dst_unused:UNUSED_PAD src0_sel:WORD_0 src1_sel:DWORD
	v_mul_u32_u24_sdwa v14, v14, s77 dst_sel:DWORD dst_unused:UNUSED_PAD src0_sel:WORD_1 src1_sel:DWORD
	;; [unrolled: 2-line block ×4, first 2 shown]
	s_waitcnt lgkmcnt(1)
	v_pk_fma_f16 v23, v9, v28, v23
	v_pk_fma_f16 v24, v9, v13, v24
	;; [unrolled: 1-line block ×16, first 2 shown]
	s_waitcnt lgkmcnt(0)
	v_mul_u32_u24_sdwa v10, v17, s77 dst_sel:DWORD dst_unused:UNUSED_PAD src0_sel:WORD_0 src1_sel:DWORD
	v_mul_u32_u24_sdwa v14, v17, s77 dst_sel:DWORD dst_unused:UNUSED_PAD src0_sel:WORD_1 src1_sel:DWORD
	v_mul_u32_u24_sdwa v15, v18, s77 dst_sel:DWORD dst_unused:UNUSED_PAD src0_sel:WORD_0 src1_sel:DWORD
	v_mul_u32_u24_sdwa v16, v18, s77 dst_sel:DWORD dst_unused:UNUSED_PAD src0_sel:WORD_1 src1_sel:DWORD
	;; [unrolled: 2-line block ×4, first 2 shown]
	v_pk_fma_f16 v23, v11, v10, v23
	v_pk_fma_f16 v24, v11, v14, v24
	;; [unrolled: 1-line block ×14, first 2 shown]
	ds_read_b128 v[13:16], v105 offset:384
	v_pk_fma_f16 v6, v12, v19, v6
	v_pk_fma_f16 v8, v12, v20, v8
	ds_read2_b64 v[9:12], v40 offset0:224 offset1:252
	ds_read_b128 v[17:20], v105 offset:400
	buffer_load_dword v32, off, s[80:83], 0 offset:144 ; 4-byte Folded Reload
	s_waitcnt lgkmcnt(2)
	v_mul_u32_u24_sdwa v28, v13, s77 dst_sel:DWORD dst_unused:UNUSED_PAD src0_sel:WORD_0 src1_sel:DWORD
	v_mul_u32_u24_sdwa v13, v13, s77 dst_sel:DWORD dst_unused:UNUSED_PAD src0_sel:WORD_1 src1_sel:DWORD
	v_mul_u32_u24_sdwa v29, v14, s77 dst_sel:DWORD dst_unused:UNUSED_PAD src0_sel:WORD_0 src1_sel:DWORD
	v_mul_u32_u24_sdwa v14, v14, s77 dst_sel:DWORD dst_unused:UNUSED_PAD src0_sel:WORD_1 src1_sel:DWORD
	;; [unrolled: 2-line block ×4, first 2 shown]
	s_waitcnt lgkmcnt(1)
	v_pk_fma_f16 v23, v9, v28, v23
	v_pk_fma_f16 v24, v9, v13, v24
	;; [unrolled: 1-line block ×13, first 2 shown]
	s_waitcnt lgkmcnt(0)
	v_mul_u32_u24_sdwa v14, v17, s77 dst_sel:DWORD dst_unused:UNUSED_PAD src0_sel:WORD_1 src1_sel:DWORD
	v_mul_u32_u24_sdwa v15, v18, s77 dst_sel:DWORD dst_unused:UNUSED_PAD src0_sel:WORD_0 src1_sel:DWORD
	v_mul_u32_u24_sdwa v16, v18, s77 dst_sel:DWORD dst_unused:UNUSED_PAD src0_sel:WORD_1 src1_sel:DWORD
	v_pk_fma_f16 v21, v10, v28, v21
	v_pk_fma_f16 v2, v10, v30, v2
	;; [unrolled: 1-line block ×3, first 2 shown]
	v_mul_u32_u24_sdwa v10, v17, s77 dst_sel:DWORD dst_unused:UNUSED_PAD src0_sel:WORD_0 src1_sel:DWORD
	v_mul_u32_u24_sdwa v17, v19, s77 dst_sel:DWORD dst_unused:UNUSED_PAD src0_sel:WORD_0 src1_sel:DWORD
	v_mul_u32_u24_sdwa v18, v19, s77 dst_sel:DWORD dst_unused:UNUSED_PAD src0_sel:WORD_1 src1_sel:DWORD
	v_mul_u32_u24_sdwa v19, v20, s77 dst_sel:DWORD dst_unused:UNUSED_PAD src0_sel:WORD_0 src1_sel:DWORD
	v_mul_u32_u24_sdwa v20, v20, s77 dst_sel:DWORD dst_unused:UNUSED_PAD src0_sel:WORD_1 src1_sel:DWORD
	v_pk_fma_f16 v24, v11, v14, v24
	v_pk_fma_f16 v25, v11, v15, v25
	;; [unrolled: 1-line block ×6, first 2 shown]
	ds_read_b128 v[13:16], v105 offset:416
	v_pk_fma_f16 v23, v11, v10, v23
	v_pk_fma_f16 v3, v11, v17, v3
	v_pk_fma_f16 v5, v11, v18, v5
	v_pk_fma_f16 v7, v11, v19, v7
	v_pk_fma_f16 v26, v11, v20, v9
	v_pk_fma_f16 v21, v12, v10, v21
	v_pk_fma_f16 v2, v12, v17, v2
	v_pk_fma_f16 v4, v12, v18, v4
	v_pk_fma_f16 v6, v12, v19, v6
	v_pk_fma_f16 v8, v12, v20, v8
	s_waitcnt vmcnt(0)
	ds_read2_b64 v[9:12], v32 offset0:24 offset1:52
	ds_read_b128 v[17:20], v105 offset:432
	s_waitcnt lgkmcnt(2)
	v_mul_u32_u24_sdwa v28, v13, s77 dst_sel:DWORD dst_unused:UNUSED_PAD src0_sel:WORD_0 src1_sel:DWORD
	v_mul_u32_u24_sdwa v13, v13, s77 dst_sel:DWORD dst_unused:UNUSED_PAD src0_sel:WORD_1 src1_sel:DWORD
	v_mul_u32_u24_sdwa v29, v14, s77 dst_sel:DWORD dst_unused:UNUSED_PAD src0_sel:WORD_0 src1_sel:DWORD
	v_mul_u32_u24_sdwa v14, v14, s77 dst_sel:DWORD dst_unused:UNUSED_PAD src0_sel:WORD_1 src1_sel:DWORD
	;; [unrolled: 2-line block ×4, first 2 shown]
	s_waitcnt lgkmcnt(1)
	v_pk_fma_f16 v23, v9, v28, v23
	v_pk_fma_f16 v24, v9, v13, v24
	;; [unrolled: 1-line block ×13, first 2 shown]
	s_waitcnt lgkmcnt(0)
	v_mul_u32_u24_sdwa v14, v17, s77 dst_sel:DWORD dst_unused:UNUSED_PAD src0_sel:WORD_1 src1_sel:DWORD
	v_mul_u32_u24_sdwa v15, v18, s77 dst_sel:DWORD dst_unused:UNUSED_PAD src0_sel:WORD_0 src1_sel:DWORD
	v_mul_u32_u24_sdwa v16, v18, s77 dst_sel:DWORD dst_unused:UNUSED_PAD src0_sel:WORD_1 src1_sel:DWORD
	v_pk_fma_f16 v21, v10, v28, v21
	v_pk_fma_f16 v2, v10, v30, v2
	;; [unrolled: 1-line block ×3, first 2 shown]
	v_mul_u32_u24_sdwa v10, v17, s77 dst_sel:DWORD dst_unused:UNUSED_PAD src0_sel:WORD_0 src1_sel:DWORD
	v_mul_u32_u24_sdwa v17, v19, s77 dst_sel:DWORD dst_unused:UNUSED_PAD src0_sel:WORD_0 src1_sel:DWORD
	v_mul_u32_u24_sdwa v18, v19, s77 dst_sel:DWORD dst_unused:UNUSED_PAD src0_sel:WORD_1 src1_sel:DWORD
	v_mul_u32_u24_sdwa v19, v20, s77 dst_sel:DWORD dst_unused:UNUSED_PAD src0_sel:WORD_0 src1_sel:DWORD
	v_mul_u32_u24_sdwa v20, v20, s77 dst_sel:DWORD dst_unused:UNUSED_PAD src0_sel:WORD_1 src1_sel:DWORD
	v_pk_fma_f16 v24, v11, v14, v24
	v_pk_fma_f16 v25, v11, v15, v25
	;; [unrolled: 1-line block ×6, first 2 shown]
	ds_read_b128 v[13:16], v105 offset:448
	v_pk_fma_f16 v23, v11, v10, v23
	v_pk_fma_f16 v3, v11, v17, v3
	;; [unrolled: 1-line block ×10, first 2 shown]
	ds_read2_b64 v[9:12], v32 offset0:80 offset1:108
	ds_read_b128 v[17:20], v105 offset:464
	s_waitcnt lgkmcnt(2)
	v_mul_u32_u24_sdwa v28, v13, s77 dst_sel:DWORD dst_unused:UNUSED_PAD src0_sel:WORD_0 src1_sel:DWORD
	v_mul_u32_u24_sdwa v13, v13, s77 dst_sel:DWORD dst_unused:UNUSED_PAD src0_sel:WORD_1 src1_sel:DWORD
	v_mul_u32_u24_sdwa v29, v14, s77 dst_sel:DWORD dst_unused:UNUSED_PAD src0_sel:WORD_0 src1_sel:DWORD
	v_mul_u32_u24_sdwa v14, v14, s77 dst_sel:DWORD dst_unused:UNUSED_PAD src0_sel:WORD_1 src1_sel:DWORD
	;; [unrolled: 2-line block ×4, first 2 shown]
	s_waitcnt lgkmcnt(1)
	v_pk_fma_f16 v23, v9, v28, v23
	v_pk_fma_f16 v24, v9, v13, v24
	;; [unrolled: 1-line block ×16, first 2 shown]
	s_waitcnt lgkmcnt(0)
	v_mul_u32_u24_sdwa v10, v17, s77 dst_sel:DWORD dst_unused:UNUSED_PAD src0_sel:WORD_0 src1_sel:DWORD
	v_mul_u32_u24_sdwa v14, v17, s77 dst_sel:DWORD dst_unused:UNUSED_PAD src0_sel:WORD_1 src1_sel:DWORD
	v_mul_u32_u24_sdwa v15, v18, s77 dst_sel:DWORD dst_unused:UNUSED_PAD src0_sel:WORD_0 src1_sel:DWORD
	v_mul_u32_u24_sdwa v16, v18, s77 dst_sel:DWORD dst_unused:UNUSED_PAD src0_sel:WORD_1 src1_sel:DWORD
	;; [unrolled: 2-line block ×4, first 2 shown]
	v_pk_fma_f16 v23, v11, v10, v23
	v_pk_fma_f16 v24, v11, v14, v24
	;; [unrolled: 1-line block ×14, first 2 shown]
	ds_read_b128 v[13:16], v105 offset:480
	v_pk_fma_f16 v6, v12, v19, v6
	v_pk_fma_f16 v8, v12, v20, v8
	ds_read2_b64 v[9:12], v32 offset0:136 offset1:164
	ds_read_b128 v[17:20], v105 offset:496
	s_waitcnt lgkmcnt(0)
	s_barrier
	s_load_dword s14, s[54:55], 0x4
	v_mul_u32_u24_sdwa v28, v13, s77 dst_sel:DWORD dst_unused:UNUSED_PAD src0_sel:WORD_0 src1_sel:DWORD
	v_mul_u32_u24_sdwa v13, v13, s77 dst_sel:DWORD dst_unused:UNUSED_PAD src0_sel:WORD_1 src1_sel:DWORD
	v_mul_u32_u24_sdwa v29, v14, s77 dst_sel:DWORD dst_unused:UNUSED_PAD src0_sel:WORD_0 src1_sel:DWORD
	v_mul_u32_u24_sdwa v14, v14, s77 dst_sel:DWORD dst_unused:UNUSED_PAD src0_sel:WORD_1 src1_sel:DWORD
	v_mul_u32_u24_sdwa v30, v15, s77 dst_sel:DWORD dst_unused:UNUSED_PAD src0_sel:WORD_0 src1_sel:DWORD
	v_mul_u32_u24_sdwa v15, v15, s77 dst_sel:DWORD dst_unused:UNUSED_PAD src0_sel:WORD_1 src1_sel:DWORD
	v_mul_u32_u24_sdwa v31, v16, s77 dst_sel:DWORD dst_unused:UNUSED_PAD src0_sel:WORD_0 src1_sel:DWORD
	v_mul_u32_u24_sdwa v16, v16, s77 dst_sel:DWORD dst_unused:UNUSED_PAD src0_sel:WORD_1 src1_sel:DWORD
	s_waitcnt lgkmcnt(0)
	s_lshl_b32 s14, s14, 5
	v_pk_fma_f16 v23, v9, v28, v23
	v_pk_fma_f16 v24, v9, v13, v24
	;; [unrolled: 1-line block ×16, first 2 shown]
	v_mul_u32_u24_sdwa v10, v17, s77 dst_sel:DWORD dst_unused:UNUSED_PAD src0_sel:WORD_0 src1_sel:DWORD
	v_mul_u32_u24_sdwa v14, v17, s77 dst_sel:DWORD dst_unused:UNUSED_PAD src0_sel:WORD_1 src1_sel:DWORD
	v_mul_u32_u24_sdwa v15, v18, s77 dst_sel:DWORD dst_unused:UNUSED_PAD src0_sel:WORD_0 src1_sel:DWORD
	v_mul_u32_u24_sdwa v16, v18, s77 dst_sel:DWORD dst_unused:UNUSED_PAD src0_sel:WORD_1 src1_sel:DWORD
	;; [unrolled: 2-line block ×4, first 2 shown]
	s_add_i32 s6, s14, s6
	v_pk_fma_f16 v68, v11, v10, v23
	v_pk_fma_f16 v66, v11, v14, v24
	v_pk_fma_f16 v64, v11, v15, v25
	v_pk_fma_f16 v61, v11, v16, v0
	v_pk_fma_f16 v59, v11, v17, v3
	v_pk_fma_f16 v57, v11, v18, v5
	v_pk_fma_f16 v55, v11, v19, v7
	v_pk_fma_f16 v54, v11, v20, v9
	v_pk_fma_f16 v69, v12, v10, v21
	v_pk_fma_f16 v67, v12, v14, v13
	v_pk_fma_f16 v65, v12, v15, v22
	v_pk_fma_f16 v63, v12, v16, v1
	v_pk_fma_f16 v60, v12, v17, v2
	v_pk_fma_f16 v58, v12, v18, v4
	v_pk_fma_f16 v56, v12, v19, v6
	s_cmp_ge_i32 s6, s64
	v_pk_fma_f16 v53, v12, v20, v8
	s_cbranch_scc1 .LBB0_37
; %bb.32:                               ;   in Loop: Header=BB0_11 Depth=1
	buffer_load_dword v0, off, s[80:83], 0 offset:48 ; 4-byte Folded Reload
	buffer_load_dword v1, off, s[80:83], 0 offset:52 ; 4-byte Folded Reload
	;; [unrolled: 1-line block ×8, first 2 shown]
	s_nop 0
	buffer_store_dword v125, off, s[80:83], 0 offset:80 ; 4-byte Folded Spill
	buffer_store_dword v126, off, s[80:83], 0 offset:84 ; 4-byte Folded Spill
	;; [unrolled: 1-line block ×8, first 2 shown]
	s_waitcnt vmcnt(15)
	v_mov_b32_e32 v15, v0
	s_waitcnt vmcnt(14)
	v_mov_b32_e32 v16, v1
	;; [unrolled: 2-line block ×8, first 2 shown]
	s_branch .LBB0_11
.LBB0_33:                               ;   in Loop: Header=BB0_11 Depth=1
	buffer_load_dword v2, off, s[80:83], 0 offset:232 ; 4-byte Folded Reload
	buffer_load_dword v3, off, s[80:83], 0 offset:236 ; 4-byte Folded Reload
	v_mov_b32_e32 v1, s19
	buffer_load_dword v4, off, s[80:83], 0 offset:192 ; 4-byte Folded Reload
	s_waitcnt vmcnt(2)
	v_add_co_u32_e64 v0, s[14:15], s18, v2
	s_waitcnt vmcnt(1)
	v_addc_co_u32_e64 v1, s[14:15], v1, v3, s[14:15]
	global_load_dwordx4 v[0:3], v[0:1], off offset:96
	s_waitcnt vmcnt(0)
	ds_write_b128 v4, v[0:3]
	s_or_b64 exec, exec, s[16:17]
	s_and_saveexec_b64 s[16:17], s[2:3]
	s_cbranch_execz .LBB0_13
.LBB0_34:                               ;   in Loop: Header=BB0_11 Depth=1
	buffer_load_dword v1, off, s[80:83], 0 offset:240 ; 4-byte Folded Reload
	buffer_load_dword v2, off, s[80:83], 0 offset:244 ; 4-byte Folded Reload
	v_mov_b32_e32 v0, s19
	buffer_load_dword v4, off, s[80:83], 0 offset:196 ; 4-byte Folded Reload
	s_waitcnt vmcnt(2)
	v_add_co_u32_e64 v1, s[14:15], s18, v1
	s_waitcnt vmcnt(1)
	v_addc_co_u32_e64 v2, s[14:15], v0, v2, s[14:15]
	buffer_load_dword v0, off, s[80:83], 0 offset:4 ; 4-byte Folded Reload
	s_waitcnt vmcnt(0)
	v_add_co_u32_e64 v0, s[14:15], v1, v0
	v_addc_co_u32_e64 v1, s[14:15], 0, v2, s[14:15]
	global_load_dwordx4 v[0:3], v[0:1], off offset:64
	s_waitcnt vmcnt(0)
	ds_write_b128 v4, v[0:3]
	s_or_b64 exec, exec, s[16:17]
	s_and_saveexec_b64 s[16:17], s[48:49]
	s_cbranch_execnz .LBB0_14
	s_branch .LBB0_15
.LBB0_35:                               ;   in Loop: Header=BB0_11 Depth=1
	buffer_load_dword v17, off, s[80:83], 0 offset:232 ; 4-byte Folded Reload
	buffer_load_dword v18, off, s[80:83], 0 offset:236 ; 4-byte Folded Reload
	v_mov_b32_e32 v0, s19
	s_waitcnt vmcnt(1)
	v_add_co_u32_e64 v17, s[14:15], s18, v17
	s_waitcnt vmcnt(0)
	v_addc_co_u32_e64 v18, s[14:15], v0, v18, s[14:15]
	global_load_dwordx4 v[17:20], v[17:18], off offset:208
	s_nop 0
	buffer_load_dword v0, off, s[80:83], 0 offset:192 ; 4-byte Folded Reload
	s_waitcnt vmcnt(0)
	ds_write_b128 v0, v[17:20]
	s_or_b64 exec, exec, s[16:17]
	s_and_saveexec_b64 s[16:17], s[2:3]
	s_cbranch_execz .LBB0_17
.LBB0_36:                               ;   in Loop: Header=BB0_11 Depth=1
	buffer_load_dword v17, off, s[80:83], 0 offset:240 ; 4-byte Folded Reload
	buffer_load_dword v18, off, s[80:83], 0 offset:244 ; 4-byte Folded Reload
	v_mov_b32_e32 v0, s19
	s_waitcnt vmcnt(1)
	v_add_co_u32_e64 v17, s[14:15], s18, v17
	s_waitcnt vmcnt(0)
	v_addc_co_u32_e64 v0, s[14:15], v0, v18, s[14:15]
	buffer_load_dword v18, off, s[80:83], 0 offset:4 ; 4-byte Folded Reload
	s_waitcnt vmcnt(0)
	v_add_co_u32_e64 v17, s[14:15], v17, v18
	v_addc_co_u32_e64 v18, s[14:15], 0, v0, s[14:15]
	global_load_dwordx4 v[17:20], v[17:18], off offset:176
	s_nop 0
	buffer_load_dword v0, off, s[80:83], 0 offset:196 ; 4-byte Folded Reload
	s_waitcnt vmcnt(0)
	ds_write_b128 v0, v[17:20]
	s_or_b64 exec, exec, s[16:17]
	s_and_saveexec_b64 s[16:17], s[48:49]
	s_cbranch_execnz .LBB0_18
	s_branch .LBB0_19
.LBB0_37:
	buffer_load_dword v38, off, s[80:83], 0 offset:48 ; 4-byte Folded Reload
	buffer_load_dword v39, off, s[80:83], 0 offset:52 ; 4-byte Folded Reload
	;; [unrolled: 1-line block ×8, first 2 shown]
.LBB0_38:
	buffer_load_dword v2, off, s[80:83], 0 offset:168 ; 4-byte Folded Reload
	buffer_load_dword v0, off, s[80:83], 0 offset:172 ; 4-byte Folded Reload
	;; [unrolled: 1-line block ×4, first 2 shown]
	s_cmp_lg_u64 s[52:53], 0
	s_cselect_b64 s[2:3], -1, 0
	s_cmp_eq_u32 s7, 0
	s_cselect_b64 s[8:9], -1, 0
	s_and_b64 s[2:3], s[8:9], s[2:3]
	s_waitcnt vmcnt(2)
	v_cmp_lt_i32_e32 vcc, v0, v2
	s_waitcnt vmcnt(1)
	v_cndmask_b32_e32 v0, v1, v0, vcc
	s_waitcnt vmcnt(0)
	v_cmp_lt_i32_e32 vcc, v3, v2
	v_cndmask_b32_e32 v9, v1, v3, vcc
	buffer_load_dword v3, off, s[80:83], 0 offset:180 ; 4-byte Folded Reload
	v_lshlrev_b32_e32 v0, 2, v0
	v_lshlrev_b32_e32 v12, 2, v9
	ds_bpermute_b32 v9, v0, v125
	ds_bpermute_b32 v17, v0, v127
	;; [unrolled: 1-line block ×3, first 2 shown]
	s_waitcnt lgkmcnt(2)
	v_add_f32_e32 v9, v125, v9
	ds_bpermute_b32 v11, v12, v9
	s_waitcnt lgkmcnt(2)
	v_add_f32_e32 v17, v127, v17
	ds_bpermute_b32 v18, v12, v17
	s_waitcnt lgkmcnt(1)
	v_add_f32_e32 v9, v9, v11
	s_waitcnt lgkmcnt(0)
	v_add_f32_e32 v17, v17, v18
	s_waitcnt vmcnt(0)
	v_cmp_lt_i32_e32 vcc, v3, v2
	v_cndmask_b32_e32 v10, v1, v3, vcc
	buffer_load_dword v3, off, s[80:83], 0 offset:184 ; 4-byte Folded Reload
	v_lshlrev_b32_e32 v13, 2, v10
	ds_bpermute_b32 v11, v13, v9
	ds_bpermute_b32 v18, v13, v17
	s_waitcnt lgkmcnt(1)
	v_add_f32_e32 v9, v9, v11
	s_waitcnt vmcnt(0)
	v_cmp_lt_i32_e32 vcc, v3, v2
	v_cndmask_b32_e32 v10, v1, v3, vcc
	buffer_load_dword v3, off, s[80:83], 0 offset:188 ; 4-byte Folded Reload
	v_lshlrev_b32_e32 v14, 2, v10
	ds_bpermute_b32 v10, v0, v126
	ds_bpermute_b32 v11, v14, v9
	s_waitcnt lgkmcnt(1)
	v_add_f32_e32 v10, v126, v10
	ds_bpermute_b32 v16, v12, v10
	s_waitcnt lgkmcnt(1)
	v_add_f32_e32 v9, v9, v11
	s_waitcnt lgkmcnt(0)
	v_add_f32_e32 v10, v10, v16
	ds_bpermute_b32 v16, v13, v10
	s_waitcnt lgkmcnt(0)
	v_add_f32_e32 v10, v10, v16
	ds_bpermute_b32 v16, v14, v10
	s_waitcnt lgkmcnt(0)
	v_add_f32_e32 v10, v10, v16
	v_add_f32_e32 v16, v17, v18
	;; [unrolled: 1-line block ×3, first 2 shown]
	ds_bpermute_b32 v18, v12, v17
	ds_bpermute_b32 v19, v14, v16
	s_waitcnt lgkmcnt(1)
	v_add_f32_e32 v17, v17, v18
	ds_bpermute_b32 v18, v13, v17
	s_waitcnt lgkmcnt(1)
	v_add_f32_e32 v16, v16, v19
	s_waitcnt lgkmcnt(0)
	v_add_f32_e32 v17, v17, v18
	ds_bpermute_b32 v18, v14, v17
	s_waitcnt vmcnt(0)
	v_cmp_lt_i32_e32 vcc, v3, v2
	v_cndmask_b32_e32 v15, v1, v3, vcc
	v_lshlrev_b32_e32 v15, 2, v15
	ds_bpermute_b32 v11, v15, v9
	ds_bpermute_b32 v21, v15, v10
	s_and_b64 vcc, exec, s[2:3]
	s_waitcnt lgkmcnt(1)
	v_add_f32_e32 v9, v9, v11
	ds_bpermute_b32 v11, v0, v100
	s_waitcnt lgkmcnt(1)
	v_add_f32_e32 v10, v10, v21
	s_waitcnt lgkmcnt(0)
	v_add_f32_e32 v11, v100, v11
	ds_bpermute_b32 v20, v12, v11
	s_waitcnt lgkmcnt(0)
	v_add_f32_e32 v11, v11, v20
	ds_bpermute_b32 v19, v13, v11
	ds_bpermute_b32 v20, v15, v16
	s_waitcnt lgkmcnt(1)
	v_add_f32_e32 v19, v11, v19
	s_waitcnt lgkmcnt(0)
	v_add_f32_e32 v11, v16, v20
	v_add_f32_e32 v16, v17, v18
	ds_bpermute_b32 v18, v0, v99
	ds_bpermute_b32 v20, v0, v102
	;; [unrolled: 1-line block ×5, first 2 shown]
	s_waitcnt lgkmcnt(4)
	v_add_f32_e32 v18, v99, v18
	s_waitcnt lgkmcnt(3)
	v_add_f32_e32 v20, v102, v20
	;; [unrolled: 2-line block ×3, first 2 shown]
	ds_bpermute_b32 v22, v12, v18
	ds_bpermute_b32 v23, v12, v20
	ds_bpermute_b32 v12, v12, v0
	s_waitcnt lgkmcnt(4)
	v_add_f32_e32 v19, v19, v21
	ds_bpermute_b32 v21, v15, v19
	s_waitcnt lgkmcnt(3)
	v_add_f32_e32 v18, v18, v22
	s_waitcnt lgkmcnt(2)
	v_add_f32_e32 v20, v20, v23
	s_waitcnt lgkmcnt(1)
	v_add_f32_e32 v0, v0, v12
	ds_bpermute_b32 v22, v13, v18
	ds_bpermute_b32 v23, v13, v20
	ds_bpermute_b32 v12, v13, v0
	s_waitcnt lgkmcnt(2)
	v_add_f32_e32 v13, v18, v22
	s_waitcnt lgkmcnt(1)
	v_add_f32_e32 v20, v20, v23
	s_waitcnt lgkmcnt(0)
	v_add_f32_e32 v0, v0, v12
	ds_bpermute_b32 v18, v14, v13
	ds_bpermute_b32 v22, v14, v20
	;; [unrolled: 9-line block ×3, first 2 shown]
	ds_bpermute_b32 v23, v15, v0
	v_add_f32_e32 v12, v16, v17
	v_add_f32_e32 v13, v19, v21
	s_waitcnt lgkmcnt(2)
	v_add_f32_e32 v14, v14, v18
	s_waitcnt lgkmcnt(1)
	;; [unrolled: 2-line block ×3, first 2 shown]
	v_add_f32_e32 v16, v0, v23
	s_cbranch_vccz .LBB0_41
; %bb.39:
	s_ashr_i32 s61, s60, 31
	s_lshl_b64 s[2:3], s[60:61], 2
	s_add_u32 s2, s52, s2
	s_addc_u32 s3, s53, s3
	v_mov_b32_e32 v0, 0
	global_load_dwordx4 v[17:20], v0, s[2:3]
	global_load_dwordx4 v[21:24], v0, s[2:3] offset:16
	v_max_f32_e32 v1, v38, v38
	v_max_f32_e32 v2, v39, v39
	s_mov_b32 s6, 0x3fb8aa3b
	v_max_f32_e32 v3, v40, v40
	s_mov_b32 s3, 0xc2ce8ed0
	s_mov_b32 s2, 0x42b17218
	v_mov_b32_e32 v0, 0x7f800000
	s_waitcnt vmcnt(1)
	v_max_f32_e32 v4, v17, v17
	v_max_f32_e32 v25, v1, v4
	;; [unrolled: 1-line block ×3, first 2 shown]
	v_sub_f32_e32 v1, v38, v25
	v_max_f32_e32 v6, v19, v19
	v_max_f32_e32 v26, v2, v5
	v_sub_f32_e32 v2, v17, v25
	v_mul_f32_e32 v7, 0x3fb8aa3b, v1
	v_max_f32_e32 v27, v3, v6
	v_sub_f32_e32 v3, v39, v26
	v_mul_f32_e32 v8, 0x3fb8aa3b, v2
	v_fma_f32 v29, v1, s6, -v7
	v_rndne_f32_e32 v30, v7
	v_sub_f32_e32 v4, v18, v26
	v_mul_f32_e32 v17, 0x3fb8aa3b, v3
	v_fma_f32 v31, v2, s6, -v8
	v_rndne_f32_e32 v32, v8
	v_fmac_f32_e32 v29, 0x32a5705f, v1
	v_sub_f32_e32 v7, v7, v30
	v_mul_f32_e32 v18, 0x3fb8aa3b, v4
	v_fma_f32 v33, v3, s6, -v17
	v_rndne_f32_e32 v34, v17
	v_fmac_f32_e32 v31, 0x32a5705f, v2
	v_sub_f32_e32 v8, v8, v32
	v_add_f32_e32 v7, v7, v29
	v_fma_f32 v35, v4, s6, -v18
	v_rndne_f32_e32 v36, v18
	v_cvt_i32_f32_e32 v30, v30
	v_fmac_f32_e32 v33, 0x32a5705f, v3
	v_sub_f32_e32 v17, v17, v34
	v_add_f32_e32 v8, v8, v31
	v_exp_f32_e32 v7, v7
	v_cvt_i32_f32_e32 v32, v32
	v_fmac_f32_e32 v35, 0x32a5705f, v4
	v_sub_f32_e32 v18, v18, v36
	v_add_f32_e32 v17, v17, v33
	v_exp_f32_e32 v8, v8
	v_cvt_i32_f32_e32 v34, v34
	v_add_f32_e32 v18, v18, v35
	v_exp_f32_e32 v17, v17
	v_cvt_i32_f32_e32 v36, v36
	v_exp_f32_e32 v18, v18
	v_ldexp_f32 v7, v7, v30
	v_cmp_ngt_f32_e32 vcc, s3, v1
	v_ldexp_f32 v8, v8, v32
	v_cndmask_b32_e32 v7, 0, v7, vcc
	v_cmp_ngt_f32_e32 vcc, s3, v2
	v_ldexp_f32 v17, v17, v34
	v_cndmask_b32_e32 v8, 0, v8, vcc
	;; [unrolled: 3-line block ×3, first 2 shown]
	v_cmp_ngt_f32_e32 vcc, s3, v4
	v_sub_f32_e32 v5, v40, v27
	v_cndmask_b32_e32 v18, 0, v18, vcc
	v_cmp_nlt_f32_e32 vcc, s2, v1
	v_sub_f32_e32 v6, v19, v27
	v_mul_f32_e32 v19, 0x3fb8aa3b, v5
	v_cndmask_b32_e32 v1, v0, v7, vcc
	v_cmp_nlt_f32_e32 vcc, s2, v2
	v_fma_f32 v37, v5, s6, -v19
	v_rndne_f32_e32 v38, v19
	v_cndmask_b32_e32 v17, v0, v8, vcc
	v_cmp_nlt_f32_e32 vcc, s2, v3
	v_cvt_f16_f32_e32 v3, v1
	v_mul_f32_e32 v28, 0x3fb8aa3b, v6
	v_fmac_f32_e32 v37, 0x32a5705f, v5
	v_sub_f32_e32 v19, v19, v38
	v_fma_f32 v39, v6, s6, -v28
	v_rndne_f32_e32 v40, v28
	v_add_f32_e32 v19, v19, v37
	v_cndmask_b32_e32 v2, v0, v29, vcc
	v_cvt_i32_f32_e32 v38, v38
	v_fmac_f32_e32 v39, 0x32a5705f, v6
	v_sub_f32_e32 v28, v28, v40
	v_exp_f32_e32 v19, v19
	v_cmp_nlt_f32_e32 vcc, s2, v4
	v_cvt_f16_f32_e32 v4, v2
	v_add_f32_e32 v28, v28, v39
	v_fmac_f32_e32 v17, v9, v1
	v_mul_u32_u24_e32 v1, 0x10001, v3
	v_exp_f32_e32 v28, v28
	v_pk_mul_f16 v68, v68, v1
	v_pk_mul_f16 v69, v69, v1
	v_cvt_i32_f32_e32 v1, v40
	v_cndmask_b32_e32 v18, v0, v18, vcc
	v_ldexp_f32 v19, v19, v38
	v_fmac_f32_e32 v18, v10, v2
	v_mul_u32_u24_e32 v2, 0x10001, v4
	v_cmp_ngt_f32_e32 vcc, s3, v5
	v_pk_mul_f16 v66, v66, v2
	v_pk_mul_f16 v67, v67, v2
	v_cndmask_b32_e32 v2, 0, v19, vcc
	v_cmp_nlt_f32_e32 vcc, s2, v5
	v_cndmask_b32_e32 v2, v0, v2, vcc
	v_ldexp_f32 v1, v28, v1
	v_cmp_ngt_f32_e32 vcc, s3, v6
	v_cndmask_b32_e32 v1, 0, v1, vcc
	v_cmp_nlt_f32_e32 vcc, s2, v6
	v_cndmask_b32_e32 v19, v0, v1, vcc
	v_fmac_f32_e32 v19, v11, v2
	v_cvt_f16_f32_e32 v1, v2
	v_max_f32_e32 v2, v20, v20
	v_max_f32_e32 v3, v41, v41
	;; [unrolled: 1-line block ×3, first 2 shown]
	v_sub_f32_e32 v2, v41, v28
	v_mul_f32_e32 v3, 0x3fb8aa3b, v2
	v_fma_f32 v4, v2, s6, -v3
	v_rndne_f32_e32 v5, v3
	v_fmac_f32_e32 v4, 0x32a5705f, v2
	v_sub_f32_e32 v3, v3, v5
	v_add_f32_e32 v3, v3, v4
	v_exp_f32_e32 v3, v3
	v_cvt_i32_f32_e32 v4, v5
	v_mul_u32_u24_e32 v1, 0x10001, v1
	v_pk_mul_f16 v64, v64, v1
	v_pk_mul_f16 v65, v65, v1
	v_ldexp_f32 v1, v3, v4
	v_sub_f32_e32 v3, v20, v28
	v_mul_f32_e32 v4, 0x3fb8aa3b, v3
	v_fma_f32 v5, v3, s6, -v4
	v_rndne_f32_e32 v6, v4
	v_fmac_f32_e32 v5, 0x32a5705f, v3
	v_sub_f32_e32 v4, v4, v6
	v_add_f32_e32 v4, v4, v5
	v_exp_f32_e32 v4, v4
	v_cvt_i32_f32_e32 v5, v6
	v_cmp_ngt_f32_e32 vcc, s3, v2
	v_cndmask_b32_e32 v1, 0, v1, vcc
	v_cmp_nlt_f32_e32 vcc, s2, v2
	v_cndmask_b32_e32 v1, v0, v1, vcc
	v_ldexp_f32 v2, v4, v5
	v_cmp_ngt_f32_e32 vcc, s3, v3
	v_cndmask_b32_e32 v2, 0, v2, vcc
	v_cmp_nlt_f32_e32 vcc, s2, v3
	v_cndmask_b32_e32 v20, v0, v2, vcc
	s_waitcnt vmcnt(0)
	v_max_f32_e32 v2, v21, v21
	v_max_f32_e32 v3, v42, v42
	v_max_f32_e32 v29, v3, v2
	v_sub_f32_e32 v2, v42, v29
	v_mul_f32_e32 v3, 0x3fb8aa3b, v2
	v_fma_f32 v4, v2, s6, -v3
	v_rndne_f32_e32 v5, v3
	v_fmac_f32_e32 v4, 0x32a5705f, v2
	v_sub_f32_e32 v3, v3, v5
	v_fmac_f32_e32 v20, v12, v1
	v_cvt_f16_f32_e32 v1, v1
	v_add_f32_e32 v3, v3, v4
	v_exp_f32_e32 v3, v3
	v_cvt_i32_f32_e32 v4, v5
	v_mul_u32_u24_e32 v1, 0x10001, v1
	v_pk_mul_f16 v61, v61, v1
	v_pk_mul_f16 v63, v63, v1
	v_ldexp_f32 v1, v3, v4
	v_sub_f32_e32 v3, v21, v29
	v_mul_f32_e32 v4, 0x3fb8aa3b, v3
	v_fma_f32 v5, v3, s6, -v4
	v_rndne_f32_e32 v6, v4
	v_fmac_f32_e32 v5, 0x32a5705f, v3
	v_sub_f32_e32 v4, v4, v6
	v_add_f32_e32 v4, v4, v5
	v_exp_f32_e32 v4, v4
	v_cvt_i32_f32_e32 v5, v6
	v_cmp_ngt_f32_e32 vcc, s3, v2
	v_cndmask_b32_e32 v1, 0, v1, vcc
	v_cmp_nlt_f32_e32 vcc, s2, v2
	v_cndmask_b32_e32 v1, v0, v1, vcc
	v_ldexp_f32 v2, v4, v5
	v_cmp_ngt_f32_e32 vcc, s3, v3
	v_cndmask_b32_e32 v2, 0, v2, vcc
	v_cmp_nlt_f32_e32 vcc, s2, v3
	v_cndmask_b32_e32 v21, v0, v2, vcc
	v_max_f32_e32 v2, v22, v22
	v_max_f32_e32 v3, v43, v43
	v_max_f32_e32 v30, v3, v2
	v_sub_f32_e32 v2, v43, v30
	v_mul_f32_e32 v3, 0x3fb8aa3b, v2
	v_fma_f32 v4, v2, s6, -v3
	v_rndne_f32_e32 v5, v3
	v_fmac_f32_e32 v4, 0x32a5705f, v2
	v_sub_f32_e32 v3, v3, v5
	v_fmac_f32_e32 v21, v13, v1
	v_cvt_f16_f32_e32 v1, v1
	v_add_f32_e32 v3, v3, v4
	v_exp_f32_e32 v3, v3
	v_cvt_i32_f32_e32 v4, v5
	v_mul_u32_u24_e32 v1, 0x10001, v1
	v_pk_mul_f16 v59, v59, v1
	v_pk_mul_f16 v60, v60, v1
	v_ldexp_f32 v1, v3, v4
	v_sub_f32_e32 v3, v22, v30
	v_mul_f32_e32 v4, 0x3fb8aa3b, v3
	v_fma_f32 v5, v3, s6, -v4
	v_rndne_f32_e32 v6, v4
	v_fmac_f32_e32 v5, 0x32a5705f, v3
	v_sub_f32_e32 v4, v4, v6
	v_add_f32_e32 v4, v4, v5
	v_exp_f32_e32 v4, v4
	v_cvt_i32_f32_e32 v5, v6
	v_cmp_ngt_f32_e32 vcc, s3, v2
	v_cndmask_b32_e32 v1, 0, v1, vcc
	v_cmp_nlt_f32_e32 vcc, s2, v2
	v_cndmask_b32_e32 v1, v0, v1, vcc
	v_ldexp_f32 v2, v4, v5
	v_cmp_ngt_f32_e32 vcc, s3, v3
	v_cndmask_b32_e32 v2, 0, v2, vcc
	v_cmp_nlt_f32_e32 vcc, s2, v3
	v_cndmask_b32_e32 v22, v0, v2, vcc
	;; [unrolled: 36-line block ×3, first 2 shown]
	v_max_f32_e32 v2, v24, v24
	v_max_f32_e32 v3, v45, v45
	;; [unrolled: 1-line block ×3, first 2 shown]
	v_sub_f32_e32 v2, v45, v32
	v_mul_f32_e32 v3, 0x3fb8aa3b, v2
	v_fma_f32 v4, v2, s6, -v3
	v_rndne_f32_e32 v5, v3
	v_fmac_f32_e32 v4, 0x32a5705f, v2
	v_sub_f32_e32 v3, v3, v5
	v_fmac_f32_e32 v23, v15, v1
	v_cvt_f16_f32_e32 v1, v1
	v_add_f32_e32 v3, v3, v4
	v_exp_f32_e32 v3, v3
	v_cvt_i32_f32_e32 v4, v5
	v_mul_u32_u24_e32 v1, 0x10001, v1
	v_pk_mul_f16 v55, v55, v1
	v_pk_mul_f16 v56, v56, v1
	v_ldexp_f32 v1, v3, v4
	v_sub_f32_e32 v3, v24, v32
	v_mul_f32_e32 v4, 0x3fb8aa3b, v3
	v_fma_f32 v5, v3, s6, -v4
	v_rndne_f32_e32 v6, v4
	v_fmac_f32_e32 v5, 0x32a5705f, v3
	v_sub_f32_e32 v4, v4, v6
	v_add_f32_e32 v4, v4, v5
	v_exp_f32_e32 v4, v4
	v_cvt_i32_f32_e32 v5, v6
	v_cmp_ngt_f32_e32 vcc, s3, v2
	v_cndmask_b32_e32 v1, 0, v1, vcc
	v_cmp_nlt_f32_e32 vcc, s2, v2
	v_cndmask_b32_e32 v1, v0, v1, vcc
	v_ldexp_f32 v2, v4, v5
	v_cvt_f16_f32_e32 v4, v1
	v_cmp_ngt_f32_e32 vcc, s3, v3
	v_cndmask_b32_e32 v2, 0, v2, vcc
	v_cmp_nlt_f32_e32 vcc, s2, v3
	v_cndmask_b32_e32 v24, v0, v2, vcc
	v_fmac_f32_e32 v24, v16, v1
	v_mul_u32_u24_e32 v0, 0x10001, v4
	v_mov_b32_e32 v45, v32
	v_pk_mul_f16 v54, v54, v0
	v_pk_mul_f16 v53, v53, v0
	v_mov_b32_e32 v44, v31
	v_mov_b32_e32 v43, v30
	;; [unrolled: 1-line block ×15, first 2 shown]
	buffer_load_dword v0, off, s[80:83], 0 offset:300 ; 4-byte Folded Reload
	s_waitcnt vmcnt(0)
	v_cmp_gt_i32_e32 vcc, s62, v0
	s_and_saveexec_b64 s[2:3], vcc
	s_cbranch_execnz .LBB0_42
.LBB0_40:
	s_endpgm
.LBB0_41:
	v_mov_b32_e32 v24, v16
	v_mov_b32_e32 v23, v15
	;; [unrolled: 1-line block ×8, first 2 shown]
	buffer_load_dword v0, off, s[80:83], 0 offset:300 ; 4-byte Folded Reload
	s_waitcnt vmcnt(0)
	v_cmp_gt_i32_e32 vcc, s62, v0
	s_and_saveexec_b64 s[2:3], vcc
	s_cbranch_execz .LBB0_40
.LBB0_42:
	s_load_dword s6, s[4:5], 0xd4
	v_mov_b32_e32 v26, 1.0
	s_waitcnt lgkmcnt(0)
	s_cmp_lg_u32 s6, 1
	s_cselect_b64 s[2:3], -1, 0
	s_cmp_eq_u32 s6, 1
	s_cselect_b64 s[8:9], -1, 0
	s_and_b64 vcc, exec, s[2:3]
	s_cbranch_vccnz .LBB0_44
; %bb.43:
	v_div_scale_f32 v0, s[4:5], v9, v9, 1.0
	v_div_scale_f32 v1, vcc, 1.0, v9, 1.0
	v_rcp_f32_e32 v2, v0
	v_fma_f32 v3, -v0, v2, 1.0
	v_fmac_f32_e32 v2, v3, v2
	v_mul_f32_e32 v3, v1, v2
	v_fma_f32 v4, -v0, v3, v1
	v_fmac_f32_e32 v3, v4, v2
	v_fma_f32 v0, -v0, v3, v1
	v_div_fmas_f32 v0, v0, v2, v3
	v_div_fixup_f32 v26, v0, v9, 1.0
.LBB0_44:
	buffer_load_dword v0, off, s[80:83], 0 offset:300 ; 4-byte Folded Reload
	s_mul_i32 s33, s33, s62
	s_waitcnt vmcnt(0)
	v_add_u32_e32 v0, s33, v0
	v_mul_lo_u32 v0, v0, s63
	v_add_u32_e32 v0, s60, v0
	v_mul_lo_u32 v0, s6, v0
	v_add_u32_e32 v25, s7, v0
	s_and_saveexec_b64 s[4:5], s[0:1]
	s_cbranch_execz .LBB0_46
; %bb.45:
	buffer_load_dword v1, off, s[80:83], 0 offset:284 ; 4-byte Folded Reload
	buffer_load_dword v2, off, s[80:83], 0 offset:288 ; 4-byte Folded Reload
	s_movk_i32 s10, 0x70
	v_cvt_f32_f16_sdwa v3, v68 dst_sel:DWORD dst_unused:UNUSED_PAD src0_sel:WORD_1
	v_cvt_f32_f16_e32 v4, v68
	s_waitcnt vmcnt(1)
	v_lshlrev_b32_e32 v1, 2, v1
	s_waitcnt vmcnt(0)
	v_mad_u64_u32 v[27:28], s[10:11], v25, s10, v[1:2]
	v_mov_b32_e32 v28, 0
	v_mov_b32_e32 v1, s57
	v_lshlrev_b64 v[27:28], 2, v[27:28]
	v_cvt_f32_f16_e32 v2, v69
	v_add_co_u32_e32 v30, vcc, s56, v27
	v_addc_co_u32_e32 v31, vcc, v1, v28, vcc
	v_cvt_f32_f16_sdwa v1, v69 dst_sel:DWORD dst_unused:UNUSED_PAD src0_sel:WORD_1
	v_mul_f32_e32 v28, v26, v2
	v_mul_f32_e32 v27, v26, v3
	;; [unrolled: 1-line block ×4, first 2 shown]
	global_store_dwordx4 v[30:31], v[26:29], off
.LBB0_46:
	s_or_b64 exec, exec, s[4:5]
	buffer_load_dword v1, off, s[80:83], 0 offset:284 ; 4-byte Folded Reload
	buffer_load_dword v2, off, s[80:83], 0 offset:288 ; 4-byte Folded Reload
	s_waitcnt vmcnt(1)
	v_cmp_eq_u32_e32 vcc, 0, v1
	s_and_b64 s[4:5], vcc, s[2:3]
	s_and_saveexec_b64 s[2:3], s[4:5]
	s_cbranch_execz .LBB0_48
; %bb.47:
	v_ashrrev_i32_e32 v26, 31, v25
	v_lshlrev_b64 v[25:26], 3, v[25:26]
	v_mov_b32_e32 v1, s59
	v_add_co_u32_e32 v25, vcc, s58, v25
	v_addc_co_u32_e32 v26, vcc, v1, v26, vcc
	v_mov_b32_e32 v27, v38
	v_mov_b32_e32 v28, v17
	global_store_dwordx2 v[25:26], v[27:28], off
.LBB0_48:
	s_or_b64 exec, exec, s[2:3]
	v_cndmask_b32_e64 v1, 0, 1, s[8:9]
	v_cmp_ne_u32_e64 s[2:3], 1, v1
	s_andn2_b64 vcc, exec, s[8:9]
	v_mov_b32_e32 v1, 1.0
	s_cbranch_vccz .LBB0_69
; %bb.49:
	v_add_u32_e32 v9, s6, v0
	v_add_u32_e32 v0, s7, v9
	s_and_saveexec_b64 s[8:9], s[0:1]
	s_cbranch_execnz .LBB0_70
.LBB0_50:
	s_or_b64 exec, exec, s[8:9]
	s_and_saveexec_b64 s[8:9], s[4:5]
	s_cbranch_execnz .LBB0_71
.LBB0_51:
	s_or_b64 exec, exec, s[8:9]
	s_and_b64 vcc, exec, s[2:3]
	v_mov_b32_e32 v1, 1.0
	s_cbranch_vccz .LBB0_72
.LBB0_52:
	s_waitcnt vmcnt(0)
	v_add_u32_e32 v2, s6, v9
	v_add_u32_e32 v0, s7, v2
	s_and_saveexec_b64 s[8:9], s[0:1]
	s_cbranch_execnz .LBB0_73
.LBB0_53:
	s_or_b64 exec, exec, s[8:9]
	s_and_saveexec_b64 s[8:9], s[4:5]
	s_cbranch_execnz .LBB0_74
.LBB0_54:
	s_or_b64 exec, exec, s[8:9]
	s_and_b64 vcc, exec, s[2:3]
	v_mov_b32_e32 v1, 1.0
	s_cbranch_vccz .LBB0_75
.LBB0_55:
	v_add_u32_e32 v2, s6, v2
	v_add_u32_e32 v0, s7, v2
	s_and_saveexec_b64 s[8:9], s[0:1]
	s_cbranch_execnz .LBB0_76
.LBB0_56:
	s_or_b64 exec, exec, s[8:9]
	s_and_saveexec_b64 s[8:9], s[4:5]
	s_cbranch_execnz .LBB0_77
.LBB0_57:
	s_or_b64 exec, exec, s[8:9]
	s_and_b64 vcc, exec, s[2:3]
	v_mov_b32_e32 v1, 1.0
	s_cbranch_vccz .LBB0_78
.LBB0_58:
	v_add_u32_e32 v2, s6, v2
	v_add_u32_e32 v0, s7, v2
	s_and_saveexec_b64 s[8:9], s[0:1]
	s_cbranch_execnz .LBB0_79
.LBB0_59:
	s_or_b64 exec, exec, s[8:9]
	s_and_saveexec_b64 s[8:9], s[4:5]
	s_cbranch_execnz .LBB0_80
.LBB0_60:
	s_or_b64 exec, exec, s[8:9]
	s_and_b64 vcc, exec, s[2:3]
	v_mov_b32_e32 v1, 1.0
	s_cbranch_vccz .LBB0_81
.LBB0_61:
	v_add_u32_e32 v2, s6, v2
	v_add_u32_e32 v0, s7, v2
	s_and_saveexec_b64 s[8:9], s[0:1]
	s_cbranch_execnz .LBB0_82
.LBB0_62:
	s_or_b64 exec, exec, s[8:9]
	s_and_saveexec_b64 s[8:9], s[4:5]
	s_cbranch_execnz .LBB0_83
.LBB0_63:
	s_or_b64 exec, exec, s[8:9]
	s_and_b64 vcc, exec, s[2:3]
	v_mov_b32_e32 v1, 1.0
	s_cbranch_vccz .LBB0_84
.LBB0_64:
	v_add_u32_e32 v2, s6, v2
	v_add_u32_e32 v0, s7, v2
	s_and_saveexec_b64 s[8:9], s[0:1]
	s_cbranch_execnz .LBB0_85
.LBB0_65:
	s_or_b64 exec, exec, s[8:9]
	s_and_saveexec_b64 s[8:9], s[4:5]
	s_cbranch_execnz .LBB0_86
.LBB0_66:
	s_or_b64 exec, exec, s[8:9]
	s_and_b64 vcc, exec, s[2:3]
	v_mov_b32_e32 v1, 1.0
	s_cbranch_vccz .LBB0_87
.LBB0_67:
	s_add_i32 s7, s7, s6
	v_add_u32_e32 v0, s7, v2
	s_and_saveexec_b64 s[2:3], s[0:1]
	s_cbranch_execnz .LBB0_88
.LBB0_68:
	s_or_b64 exec, exec, s[2:3]
	s_and_b64 exec, exec, s[4:5]
	s_cbranch_execz .LBB0_40
	s_branch .LBB0_89
.LBB0_69:
	v_div_scale_f32 v1, s[8:9], v10, v10, 1.0
	s_waitcnt vmcnt(0)
	v_div_scale_f32 v2, vcc, 1.0, v10, 1.0
	v_rcp_f32_e32 v3, v1
	v_fma_f32 v4, -v1, v3, 1.0
	v_fmac_f32_e32 v3, v4, v3
	v_mul_f32_e32 v4, v2, v3
	v_fma_f32 v5, -v1, v4, v2
	v_fmac_f32_e32 v4, v5, v3
	v_fma_f32 v1, -v1, v4, v2
	v_div_fmas_f32 v1, v1, v3, v4
	v_div_fixup_f32 v1, v1, v10, 1.0
	v_add_u32_e32 v9, s6, v0
	v_add_u32_e32 v0, s7, v9
	s_and_saveexec_b64 s[8:9], s[0:1]
	s_cbranch_execz .LBB0_50
.LBB0_70:
	buffer_load_dword v2, off, s[80:83], 0 offset:292 ; 4-byte Folded Reload
	buffer_load_dword v3, off, s[80:83], 0 offset:296 ; 4-byte Folded Reload
	s_movk_i32 s10, 0x70
	v_cvt_f32_f16_sdwa v4, v66 dst_sel:DWORD dst_unused:UNUSED_PAD src0_sel:WORD_1
	v_cvt_f32_f16_e32 v5, v66
	s_waitcnt vmcnt(0)
	v_mad_u64_u32 v[25:26], s[10:11], v0, s10, v[2:3]
	v_mov_b32_e32 v26, 0
	v_mov_b32_e32 v2, s57
	v_lshlrev_b64 v[25:26], 2, v[25:26]
	v_cvt_f32_f16_e32 v3, v67
	v_add_co_u32_e32 v29, vcc, s56, v25
	v_addc_co_u32_e32 v30, vcc, v2, v26, vcc
	v_cvt_f32_f16_sdwa v2, v67 dst_sel:DWORD dst_unused:UNUSED_PAD src0_sel:WORD_1
	v_mul_f32_e32 v27, v1, v3
	v_mul_f32_e32 v26, v1, v4
	;; [unrolled: 1-line block ×4, first 2 shown]
	global_store_dwordx4 v[29:30], v[25:28], off
	s_or_b64 exec, exec, s[8:9]
	s_and_saveexec_b64 s[8:9], s[4:5]
	s_cbranch_execz .LBB0_51
.LBB0_71:
	v_ashrrev_i32_e32 v1, 31, v0
	v_lshlrev_b64 v[0:1], 3, v[0:1]
	s_waitcnt vmcnt(0)
	v_mov_b32_e32 v2, s59
	v_add_co_u32_e32 v0, vcc, s58, v0
	v_addc_co_u32_e32 v1, vcc, v2, v1, vcc
	v_mov_b32_e32 v17, v39
	global_store_dwordx2 v[0:1], v[17:18], off
	s_or_b64 exec, exec, s[8:9]
	s_and_b64 vcc, exec, s[2:3]
	v_mov_b32_e32 v1, 1.0
	s_cbranch_vccnz .LBB0_52
.LBB0_72:
	v_div_scale_f32 v0, s[8:9], v11, v11, 1.0
	v_div_scale_f32 v1, vcc, 1.0, v11, 1.0
	s_waitcnt vmcnt(0)
	v_rcp_f32_e32 v2, v0
	v_fma_f32 v3, -v0, v2, 1.0
	v_fmac_f32_e32 v2, v3, v2
	v_mul_f32_e32 v3, v1, v2
	v_fma_f32 v4, -v0, v3, v1
	v_fmac_f32_e32 v3, v4, v2
	v_fma_f32 v0, -v0, v3, v1
	v_div_fmas_f32 v0, v0, v2, v3
	v_div_fixup_f32 v1, v0, v11, 1.0
	v_add_u32_e32 v2, s6, v9
	v_add_u32_e32 v0, s7, v2
	s_and_saveexec_b64 s[8:9], s[0:1]
	s_cbranch_execz .LBB0_53
.LBB0_73:
	buffer_load_dword v3, off, s[80:83], 0 offset:292 ; 4-byte Folded Reload
	buffer_load_dword v4, off, s[80:83], 0 offset:296 ; 4-byte Folded Reload
	s_movk_i32 s10, 0x70
	v_cvt_f32_f16_sdwa v5, v64 dst_sel:DWORD dst_unused:UNUSED_PAD src0_sel:WORD_1
	v_cvt_f32_f16_e32 v6, v64
	v_mul_f32_e32 v26, v1, v5
	v_mul_f32_e32 v25, v1, v6
	s_waitcnt vmcnt(0)
	v_mad_u64_u32 v[9:10], s[10:11], v0, s10, v[3:4]
	v_mov_b32_e32 v10, 0
	v_mov_b32_e32 v3, s57
	v_lshlrev_b64 v[9:10], 2, v[9:10]
	v_cvt_f32_f16_e32 v4, v65
	v_add_co_u32_e32 v9, vcc, s56, v9
	v_addc_co_u32_e32 v10, vcc, v3, v10, vcc
	v_cvt_f32_f16_sdwa v3, v65 dst_sel:DWORD dst_unused:UNUSED_PAD src0_sel:WORD_1
	v_mul_f32_e32 v27, v1, v4
	v_mul_f32_e32 v28, v1, v3
	global_store_dwordx4 v[9:10], v[25:28], off
	s_or_b64 exec, exec, s[8:9]
	s_and_saveexec_b64 s[8:9], s[4:5]
	s_cbranch_execz .LBB0_54
.LBB0_74:
	v_ashrrev_i32_e32 v1, 31, v0
	v_lshlrev_b64 v[0:1], 3, v[0:1]
	v_mov_b32_e32 v3, s59
	v_add_co_u32_e32 v0, vcc, s58, v0
	v_addc_co_u32_e32 v1, vcc, v3, v1, vcc
	v_mov_b32_e32 v18, v40
	global_store_dwordx2 v[0:1], v[18:19], off
	s_or_b64 exec, exec, s[8:9]
	s_and_b64 vcc, exec, s[2:3]
	v_mov_b32_e32 v1, 1.0
	s_cbranch_vccnz .LBB0_55
.LBB0_75:
	v_div_scale_f32 v0, s[8:9], v12, v12, 1.0
	v_div_scale_f32 v1, vcc, 1.0, v12, 1.0
	v_rcp_f32_e32 v3, v0
	v_fma_f32 v4, -v0, v3, 1.0
	v_fmac_f32_e32 v3, v4, v3
	v_mul_f32_e32 v4, v1, v3
	v_fma_f32 v5, -v0, v4, v1
	v_fmac_f32_e32 v4, v5, v3
	v_fma_f32 v0, -v0, v4, v1
	v_div_fmas_f32 v0, v0, v3, v4
	v_div_fixup_f32 v1, v0, v12, 1.0
	v_add_u32_e32 v2, s6, v2
	v_add_u32_e32 v0, s7, v2
	s_and_saveexec_b64 s[8:9], s[0:1]
	s_cbranch_execz .LBB0_56
.LBB0_76:
	buffer_load_dword v3, off, s[80:83], 0 offset:292 ; 4-byte Folded Reload
	buffer_load_dword v4, off, s[80:83], 0 offset:296 ; 4-byte Folded Reload
	s_movk_i32 s10, 0x70
	v_cvt_f32_f16_sdwa v5, v61 dst_sel:DWORD dst_unused:UNUSED_PAD src0_sel:WORD_1
	v_cvt_f32_f16_e32 v6, v61
	s_waitcnt vmcnt(0)
	v_mad_u64_u32 v[9:10], s[10:11], v0, s10, v[3:4]
	v_mov_b32_e32 v10, 0
	v_mov_b32_e32 v3, s57
	v_lshlrev_b64 v[9:10], 2, v[9:10]
	v_cvt_f32_f16_e32 v4, v63
	v_add_co_u32_e32 v17, vcc, s56, v9
	v_addc_co_u32_e32 v18, vcc, v3, v10, vcc
	v_cvt_f32_f16_sdwa v3, v63 dst_sel:DWORD dst_unused:UNUSED_PAD src0_sel:WORD_1
	v_mul_f32_e32 v11, v1, v4
	v_mul_f32_e32 v10, v1, v5
	;; [unrolled: 1-line block ×4, first 2 shown]
	global_store_dwordx4 v[17:18], v[9:12], off
	s_or_b64 exec, exec, s[8:9]
	s_and_saveexec_b64 s[8:9], s[4:5]
	s_cbranch_execz .LBB0_57
.LBB0_77:
	v_ashrrev_i32_e32 v1, 31, v0
	v_lshlrev_b64 v[0:1], 3, v[0:1]
	v_mov_b32_e32 v3, s59
	v_add_co_u32_e32 v0, vcc, s58, v0
	v_addc_co_u32_e32 v1, vcc, v3, v1, vcc
	v_mov_b32_e32 v19, v41
	global_store_dwordx2 v[0:1], v[19:20], off
	s_or_b64 exec, exec, s[8:9]
	s_and_b64 vcc, exec, s[2:3]
	v_mov_b32_e32 v1, 1.0
	s_cbranch_vccnz .LBB0_58
.LBB0_78:
	v_div_scale_f32 v0, s[8:9], v13, v13, 1.0
	v_div_scale_f32 v1, vcc, 1.0, v13, 1.0
	v_rcp_f32_e32 v3, v0
	v_fma_f32 v4, -v0, v3, 1.0
	v_fmac_f32_e32 v3, v4, v3
	v_mul_f32_e32 v4, v1, v3
	v_fma_f32 v5, -v0, v4, v1
	v_fmac_f32_e32 v4, v5, v3
	v_fma_f32 v0, -v0, v4, v1
	v_div_fmas_f32 v0, v0, v3, v4
	v_div_fixup_f32 v1, v0, v13, 1.0
	v_add_u32_e32 v2, s6, v2
	v_add_u32_e32 v0, s7, v2
	s_and_saveexec_b64 s[8:9], s[0:1]
	s_cbranch_execz .LBB0_59
.LBB0_79:
	buffer_load_dword v3, off, s[80:83], 0 offset:292 ; 4-byte Folded Reload
	buffer_load_dword v4, off, s[80:83], 0 offset:296 ; 4-byte Folded Reload
	s_movk_i32 s10, 0x70
	v_mov_b32_e32 v5, s57
	v_cvt_f32_f16_e32 v6, v60
	v_cvt_f32_f16_sdwa v7, v59 dst_sel:DWORD dst_unused:UNUSED_PAD src0_sel:WORD_1
	v_cvt_f32_f16_e32 v8, v59
	v_mul_f32_e32 v11, v1, v6
	v_mul_f32_e32 v10, v1, v7
	;; [unrolled: 1-line block ×3, first 2 shown]
	s_waitcnt vmcnt(0)
	v_mad_u64_u32 v[3:4], s[10:11], v0, s10, v[3:4]
	v_mov_b32_e32 v4, 0
	v_lshlrev_b64 v[3:4], 2, v[3:4]
	v_add_co_u32_e32 v3, vcc, s56, v3
	v_addc_co_u32_e32 v4, vcc, v5, v4, vcc
	v_cvt_f32_f16_sdwa v5, v60 dst_sel:DWORD dst_unused:UNUSED_PAD src0_sel:WORD_1
	v_mul_f32_e32 v12, v1, v5
	global_store_dwordx4 v[3:4], v[9:12], off
	s_or_b64 exec, exec, s[8:9]
	s_and_saveexec_b64 s[8:9], s[4:5]
	s_cbranch_execz .LBB0_60
.LBB0_80:
	v_ashrrev_i32_e32 v1, 31, v0
	v_lshlrev_b64 v[0:1], 3, v[0:1]
	v_mov_b32_e32 v3, s59
	v_add_co_u32_e32 v0, vcc, s58, v0
	v_addc_co_u32_e32 v1, vcc, v3, v1, vcc
	v_mov_b32_e32 v20, v42
	global_store_dwordx2 v[0:1], v[20:21], off
	s_or_b64 exec, exec, s[8:9]
	s_and_b64 vcc, exec, s[2:3]
	v_mov_b32_e32 v1, 1.0
	s_cbranch_vccnz .LBB0_61
.LBB0_81:
	v_div_scale_f32 v0, s[8:9], v14, v14, 1.0
	v_div_scale_f32 v1, vcc, 1.0, v14, 1.0
	v_rcp_f32_e32 v3, v0
	v_fma_f32 v4, -v0, v3, 1.0
	v_fmac_f32_e32 v3, v4, v3
	v_mul_f32_e32 v4, v1, v3
	v_fma_f32 v5, -v0, v4, v1
	v_fmac_f32_e32 v4, v5, v3
	v_fma_f32 v0, -v0, v4, v1
	v_div_fmas_f32 v0, v0, v3, v4
	v_div_fixup_f32 v1, v0, v14, 1.0
	v_add_u32_e32 v2, s6, v2
	v_add_u32_e32 v0, s7, v2
	s_and_saveexec_b64 s[8:9], s[0:1]
	s_cbranch_execz .LBB0_62
.LBB0_82:
	buffer_load_dword v3, off, s[80:83], 0 offset:292 ; 4-byte Folded Reload
	buffer_load_dword v4, off, s[80:83], 0 offset:296 ; 4-byte Folded Reload
	s_movk_i32 s10, 0x70
	v_mov_b32_e32 v5, s57
	v_cvt_f32_f16_e32 v6, v58
	v_cvt_f32_f16_sdwa v7, v57 dst_sel:DWORD dst_unused:UNUSED_PAD src0_sel:WORD_1
	v_cvt_f32_f16_e32 v8, v57
	v_mul_f32_e32 v11, v1, v6
	v_mul_f32_e32 v10, v1, v7
	;; [unrolled: 1-line block ×3, first 2 shown]
	s_waitcnt vmcnt(0)
	v_mad_u64_u32 v[3:4], s[10:11], v0, s10, v[3:4]
	v_mov_b32_e32 v4, 0
	v_lshlrev_b64 v[3:4], 2, v[3:4]
	v_add_co_u32_e32 v3, vcc, s56, v3
	v_addc_co_u32_e32 v4, vcc, v5, v4, vcc
	v_cvt_f32_f16_sdwa v5, v58 dst_sel:DWORD dst_unused:UNUSED_PAD src0_sel:WORD_1
	v_mul_f32_e32 v12, v1, v5
	global_store_dwordx4 v[3:4], v[9:12], off
	s_or_b64 exec, exec, s[8:9]
	s_and_saveexec_b64 s[8:9], s[4:5]
	s_cbranch_execz .LBB0_63
.LBB0_83:
	v_ashrrev_i32_e32 v1, 31, v0
	v_lshlrev_b64 v[0:1], 3, v[0:1]
	v_mov_b32_e32 v3, s59
	v_add_co_u32_e32 v0, vcc, s58, v0
	v_addc_co_u32_e32 v1, vcc, v3, v1, vcc
	v_mov_b32_e32 v21, v43
	global_store_dwordx2 v[0:1], v[21:22], off
	s_or_b64 exec, exec, s[8:9]
	s_and_b64 vcc, exec, s[2:3]
	v_mov_b32_e32 v1, 1.0
	s_cbranch_vccnz .LBB0_64
.LBB0_84:
	v_div_scale_f32 v0, s[8:9], v15, v15, 1.0
	v_div_scale_f32 v1, vcc, 1.0, v15, 1.0
	v_rcp_f32_e32 v3, v0
	v_fma_f32 v4, -v0, v3, 1.0
	v_fmac_f32_e32 v3, v4, v3
	v_mul_f32_e32 v4, v1, v3
	v_fma_f32 v5, -v0, v4, v1
	v_fmac_f32_e32 v4, v5, v3
	v_fma_f32 v0, -v0, v4, v1
	v_div_fmas_f32 v0, v0, v3, v4
	v_div_fixup_f32 v1, v0, v15, 1.0
	v_add_u32_e32 v2, s6, v2
	v_add_u32_e32 v0, s7, v2
	s_and_saveexec_b64 s[8:9], s[0:1]
	s_cbranch_execz .LBB0_65
.LBB0_85:
	buffer_load_dword v3, off, s[80:83], 0 offset:292 ; 4-byte Folded Reload
	buffer_load_dword v4, off, s[80:83], 0 offset:296 ; 4-byte Folded Reload
	s_movk_i32 s10, 0x70
	v_mov_b32_e32 v5, s57
	v_cvt_f32_f16_sdwa v7, v55 dst_sel:DWORD dst_unused:UNUSED_PAD src0_sel:WORD_1
	v_cvt_f32_f16_e32 v8, v55
	s_waitcnt vmcnt(0)
	v_mad_u64_u32 v[3:4], s[10:11], v0, s10, v[3:4]
	v_mov_b32_e32 v4, 0
	v_lshlrev_b64 v[3:4], 2, v[3:4]
	v_add_co_u32_e32 v9, vcc, s56, v3
	v_addc_co_u32_e32 v10, vcc, v5, v4, vcc
	v_cvt_f32_f16_sdwa v3, v56 dst_sel:DWORD dst_unused:UNUSED_PAD src0_sel:WORD_1
	v_cvt_f32_f16_e32 v4, v56
	v_mul_f32_e32 v6, v1, v3
	v_mul_f32_e32 v5, v1, v4
	;; [unrolled: 1-line block ×4, first 2 shown]
	global_store_dwordx4 v[9:10], v[3:6], off
	s_or_b64 exec, exec, s[8:9]
	s_and_saveexec_b64 s[8:9], s[4:5]
	s_cbranch_execz .LBB0_66
.LBB0_86:
	v_ashrrev_i32_e32 v1, 31, v0
	v_lshlrev_b64 v[0:1], 3, v[0:1]
	v_mov_b32_e32 v3, s59
	v_add_co_u32_e32 v0, vcc, s58, v0
	v_addc_co_u32_e32 v1, vcc, v3, v1, vcc
	v_mov_b32_e32 v22, v44
	global_store_dwordx2 v[0:1], v[22:23], off
	s_or_b64 exec, exec, s[8:9]
	s_and_b64 vcc, exec, s[2:3]
	v_mov_b32_e32 v1, 1.0
	s_cbranch_vccnz .LBB0_67
.LBB0_87:
	v_div_scale_f32 v0, s[2:3], v16, v16, 1.0
	v_div_scale_f32 v1, vcc, 1.0, v16, 1.0
	v_rcp_f32_e32 v3, v0
	v_fma_f32 v4, -v0, v3, 1.0
	v_fmac_f32_e32 v3, v4, v3
	v_mul_f32_e32 v4, v1, v3
	v_fma_f32 v5, -v0, v4, v1
	v_fmac_f32_e32 v4, v5, v3
	v_fma_f32 v0, -v0, v4, v1
	v_div_fmas_f32 v0, v0, v3, v4
	v_div_fixup_f32 v1, v0, v16, 1.0
	s_add_i32 s7, s7, s6
	v_add_u32_e32 v0, s7, v2
	s_and_saveexec_b64 s[2:3], s[0:1]
	s_cbranch_execz .LBB0_68
.LBB0_88:
	buffer_load_dword v2, off, s[80:83], 0 offset:292 ; 4-byte Folded Reload
	buffer_load_dword v3, off, s[80:83], 0 offset:296 ; 4-byte Folded Reload
	s_movk_i32 s0, 0x70
	v_mov_b32_e32 v4, s57
	v_cvt_f32_f16_sdwa v7, v54 dst_sel:DWORD dst_unused:UNUSED_PAD src0_sel:WORD_1
	v_cvt_f32_f16_e32 v8, v54
	s_waitcnt vmcnt(0)
	v_mad_u64_u32 v[2:3], s[0:1], v0, s0, v[2:3]
	v_mov_b32_e32 v3, 0
	v_lshlrev_b64 v[2:3], 2, v[2:3]
	v_add_co_u32_e32 v5, vcc, s56, v2
	v_addc_co_u32_e32 v6, vcc, v4, v3, vcc
	v_cvt_f32_f16_sdwa v2, v53 dst_sel:DWORD dst_unused:UNUSED_PAD src0_sel:WORD_1
	v_cvt_f32_f16_e32 v3, v53
	v_mul_f32_e32 v4, v1, v2
	v_mul_f32_e32 v3, v1, v3
	;; [unrolled: 1-line block ×4, first 2 shown]
	global_store_dwordx4 v[5:6], v[1:4], off
	s_or_b64 exec, exec, s[2:3]
	s_and_b64 exec, exec, s[4:5]
	s_cbranch_execz .LBB0_40
.LBB0_89:
	v_ashrrev_i32_e32 v1, 31, v0
	v_lshlrev_b64 v[0:1], 3, v[0:1]
	v_mov_b32_e32 v2, s59
	v_add_co_u32_e32 v0, vcc, s58, v0
	v_addc_co_u32_e32 v1, vcc, v2, v1, vcc
	v_mov_b32_e32 v23, v45
	global_store_dwordx2 v[0:1], v[23:24], off
	s_endpgm
	.section	.rodata,"a",@progbits
	.p2align	6, 0x0
	.amdhsa_kernel _ZL15flash_attn_tileILi112ELi112ELi8ELi8ELb0EEvPKcS1_S1_S1_S1_PKiPfP15HIP_vector_typeIfLj2EEffffjfiS5_IjLj3EEiiiiiiiiiiiliiliiiiil
		.amdhsa_group_segment_fixed_size 22592
		.amdhsa_private_segment_fixed_size 308
		.amdhsa_kernarg_size 464
		.amdhsa_user_sgpr_count 6
		.amdhsa_user_sgpr_private_segment_buffer 1
		.amdhsa_user_sgpr_dispatch_ptr 0
		.amdhsa_user_sgpr_queue_ptr 0
		.amdhsa_user_sgpr_kernarg_segment_ptr 1
		.amdhsa_user_sgpr_dispatch_id 0
		.amdhsa_user_sgpr_flat_scratch_init 0
		.amdhsa_user_sgpr_private_segment_size 0
		.amdhsa_uses_dynamic_stack 0
		.amdhsa_system_sgpr_private_segment_wavefront_offset 1
		.amdhsa_system_sgpr_workgroup_id_x 1
		.amdhsa_system_sgpr_workgroup_id_y 1
		.amdhsa_system_sgpr_workgroup_id_z 1
		.amdhsa_system_sgpr_workgroup_info 0
		.amdhsa_system_vgpr_workitem_id 1
		.amdhsa_next_free_vgpr 128
		.amdhsa_next_free_sgpr 98
		.amdhsa_reserve_vcc 1
		.amdhsa_reserve_flat_scratch 0
		.amdhsa_float_round_mode_32 0
		.amdhsa_float_round_mode_16_64 0
		.amdhsa_float_denorm_mode_32 3
		.amdhsa_float_denorm_mode_16_64 3
		.amdhsa_dx10_clamp 1
		.amdhsa_ieee_mode 1
		.amdhsa_fp16_overflow 0
		.amdhsa_exception_fp_ieee_invalid_op 0
		.amdhsa_exception_fp_denorm_src 0
		.amdhsa_exception_fp_ieee_div_zero 0
		.amdhsa_exception_fp_ieee_overflow 0
		.amdhsa_exception_fp_ieee_underflow 0
		.amdhsa_exception_fp_ieee_inexact 0
		.amdhsa_exception_int_div_zero 0
	.end_amdhsa_kernel
	.section	.text._ZL15flash_attn_tileILi112ELi112ELi8ELi8ELb0EEvPKcS1_S1_S1_S1_PKiPfP15HIP_vector_typeIfLj2EEffffjfiS5_IjLj3EEiiiiiiiiiiiliiliiiiil,"axG",@progbits,_ZL15flash_attn_tileILi112ELi112ELi8ELi8ELb0EEvPKcS1_S1_S1_S1_PKiPfP15HIP_vector_typeIfLj2EEffffjfiS5_IjLj3EEiiiiiiiiiiiliiliiiiil,comdat
.Lfunc_end0:
	.size	_ZL15flash_attn_tileILi112ELi112ELi8ELi8ELb0EEvPKcS1_S1_S1_S1_PKiPfP15HIP_vector_typeIfLj2EEffffjfiS5_IjLj3EEiiiiiiiiiiiliiliiiiil, .Lfunc_end0-_ZL15flash_attn_tileILi112ELi112ELi8ELi8ELb0EEvPKcS1_S1_S1_S1_PKiPfP15HIP_vector_typeIfLj2EEffffjfiS5_IjLj3EEiiiiiiiiiiiliiliiiiil
                                        ; -- End function
	.set _ZL15flash_attn_tileILi112ELi112ELi8ELi8ELb0EEvPKcS1_S1_S1_S1_PKiPfP15HIP_vector_typeIfLj2EEffffjfiS5_IjLj3EEiiiiiiiiiiiliiliiiiil.num_vgpr, 128
	.set _ZL15flash_attn_tileILi112ELi112ELi8ELi8ELb0EEvPKcS1_S1_S1_S1_PKiPfP15HIP_vector_typeIfLj2EEffffjfiS5_IjLj3EEiiiiiiiiiiiliiliiiiil.num_agpr, 0
	.set _ZL15flash_attn_tileILi112ELi112ELi8ELi8ELb0EEvPKcS1_S1_S1_S1_PKiPfP15HIP_vector_typeIfLj2EEffffjfiS5_IjLj3EEiiiiiiiiiiiliiliiiiil.numbered_sgpr, 84
	.set _ZL15flash_attn_tileILi112ELi112ELi8ELi8ELb0EEvPKcS1_S1_S1_S1_PKiPfP15HIP_vector_typeIfLj2EEffffjfiS5_IjLj3EEiiiiiiiiiiiliiliiiiil.num_named_barrier, 0
	.set _ZL15flash_attn_tileILi112ELi112ELi8ELi8ELb0EEvPKcS1_S1_S1_S1_PKiPfP15HIP_vector_typeIfLj2EEffffjfiS5_IjLj3EEiiiiiiiiiiiliiliiiiil.private_seg_size, 308
	.set _ZL15flash_attn_tileILi112ELi112ELi8ELi8ELb0EEvPKcS1_S1_S1_S1_PKiPfP15HIP_vector_typeIfLj2EEffffjfiS5_IjLj3EEiiiiiiiiiiiliiliiiiil.uses_vcc, 1
	.set _ZL15flash_attn_tileILi112ELi112ELi8ELi8ELb0EEvPKcS1_S1_S1_S1_PKiPfP15HIP_vector_typeIfLj2EEffffjfiS5_IjLj3EEiiiiiiiiiiiliiliiiiil.uses_flat_scratch, 0
	.set _ZL15flash_attn_tileILi112ELi112ELi8ELi8ELb0EEvPKcS1_S1_S1_S1_PKiPfP15HIP_vector_typeIfLj2EEffffjfiS5_IjLj3EEiiiiiiiiiiiliiliiiiil.has_dyn_sized_stack, 0
	.set _ZL15flash_attn_tileILi112ELi112ELi8ELi8ELb0EEvPKcS1_S1_S1_S1_PKiPfP15HIP_vector_typeIfLj2EEffffjfiS5_IjLj3EEiiiiiiiiiiiliiliiiiil.has_recursion, 0
	.set _ZL15flash_attn_tileILi112ELi112ELi8ELi8ELb0EEvPKcS1_S1_S1_S1_PKiPfP15HIP_vector_typeIfLj2EEffffjfiS5_IjLj3EEiiiiiiiiiiiliiliiiiil.has_indirect_call, 0
	.section	.AMDGPU.csdata,"",@progbits
; Kernel info:
; codeLenInByte = 25248
; TotalNumSgprs: 88
; NumVgprs: 128
; ScratchSize: 308
; MemoryBound: 0
; FloatMode: 240
; IeeeMode: 1
; LDSByteSize: 22592 bytes/workgroup (compile time only)
; SGPRBlocks: 12
; VGPRBlocks: 31
; NumSGPRsForWavesPerEU: 102
; NumVGPRsForWavesPerEU: 128
; Occupancy: 2
; WaveLimiterHint : 1
; COMPUTE_PGM_RSRC2:SCRATCH_EN: 1
; COMPUTE_PGM_RSRC2:USER_SGPR: 6
; COMPUTE_PGM_RSRC2:TRAP_HANDLER: 0
; COMPUTE_PGM_RSRC2:TGID_X_EN: 1
; COMPUTE_PGM_RSRC2:TGID_Y_EN: 1
; COMPUTE_PGM_RSRC2:TGID_Z_EN: 1
; COMPUTE_PGM_RSRC2:TIDIG_COMP_CNT: 1
	.section	.text._ZL25flash_attn_mask_to_KV_maxILi8EEvPK7__half2Piiii,"axG",@progbits,_ZL25flash_attn_mask_to_KV_maxILi8EEvPK7__half2Piiii,comdat
	.globl	_ZL25flash_attn_mask_to_KV_maxILi8EEvPK7__half2Piiii ; -- Begin function _ZL25flash_attn_mask_to_KV_maxILi8EEvPK7__half2Piiii
	.p2align	8
	.type	_ZL25flash_attn_mask_to_KV_maxILi8EEvPK7__half2Piiii,@function
_ZL25flash_attn_mask_to_KV_maxILi8EEvPK7__half2Piiii: ; @_ZL25flash_attn_mask_to_KV_maxILi8EEvPK7__half2Piiii
; %bb.0:
	s_load_dwordx4 s[8:11], s[4:5], 0x0
	v_cmp_gt_u32_e32 vcc, 32, v0
	s_and_saveexec_b64 s[0:1], vcc
; %bb.1:
	v_lshlrev_b32_e32 v1, 2, v0
	v_mov_b32_e32 v2, 1
	ds_write_b32 v1, v2
; %bb.2:
	s_or_b64 exec, exec, s[0:1]
	s_load_dwordx4 s[12:15], s[4:5], 0x10
	s_load_dword s33, s[4:5], 0x20
	v_and_b32_e32 v1, 31, v0
	v_lshlrev_b32_e32 v6, 2, v1
	v_lshrrev_b32_e32 v5, 3, v0
	s_waitcnt lgkmcnt(0)
	s_mul_i32 s1, s6, s13
	s_mul_i32 s0, s14, s7
	s_lshl_b32 s1, s1, 3
	s_add_i32 s0, s0, s1
	s_ashr_i32 s1, s0, 31
	s_lshl_b64 s[0:1], s[0:1], 2
	s_add_u32 s40, s8, s0
	s_addc_u32 s41, s9, s1
	v_cmp_eq_u32_e64 s[0:1], 0, v1
	v_mbcnt_lo_u32_b32 v1, -1, 0
	s_lshl_b32 s12, s12, 8
	s_mov_b64 s[4:5], 0
	v_mov_b32_e32 v2, 0
	s_movk_i32 s42, 0x204
	v_mbcnt_hi_u32_b32 v7, -1, v1
	s_barrier
                                        ; implicit-def: $sgpr2_sgpr3
	s_branch .LBB1_5
.LBB1_3:                                ;   in Loop: Header=BB1_5 Depth=1
	s_or_b64 exec, exec, s[8:9]
	s_waitcnt lgkmcnt(0)
	s_barrier
	ds_read_b32 v10, v6
	s_waitcnt lgkmcnt(0)
	s_barrier
	ds_bpermute_b32 v1, v1, v10
	v_cmp_ne_u32_e32 vcc, 0, v10
	s_waitcnt lgkmcnt(0)
	v_cmp_ne_u32_e64 s[2:3], 0, v1
	s_and_b64 s[2:3], vcc, s[2:3]
	v_cndmask_b32_e64 v1, 0, 1, s[2:3]
	ds_bpermute_b32 v1, v3, v1
	s_waitcnt lgkmcnt(0)
	v_cmp_ne_u32_e32 vcc, 0, v1
	s_and_b64 s[2:3], vcc, s[2:3]
	v_cndmask_b32_e64 v1, 0, 1, s[2:3]
	ds_bpermute_b32 v1, v4, v1
	s_waitcnt lgkmcnt(0)
	v_cmp_ne_u32_e32 vcc, 0, v1
	;; [unrolled: 5-line block ×3, first 2 shown]
	s_and_b64 s[2:3], vcc, s[2:3]
	v_cndmask_b32_e64 v1, 0, 1, s[2:3]
	ds_bpermute_b32 v1, v9, v1
	s_xor_b64 s[2:3], s[2:3], -1
	s_waitcnt lgkmcnt(0)
	v_cmp_eq_u32_e32 vcc, 0, v1
	s_or_b64 s[2:3], vcc, s[2:3]
.LBB1_4:                                ;   in Loop: Header=BB1_5 Depth=1
	s_and_b64 s[8:9], exec, s[2:3]
	s_or_b64 s[4:5], s[8:9], s[4:5]
	v_mov_b32_e32 v1, s12
	s_mov_b32 s12, s43
	s_andn2_b64 exec, exec, s[4:5]
	s_cbranch_execz .LBB1_36
.LBB1_5:                                ; =>This Inner Loop Header: Depth=1
	s_add_i32 s43, s12, 0xffffff00
	s_or_b64 s[2:3], s[2:3], exec
	s_cmp_lt_i32 s43, 0
	s_cbranch_scc1 .LBB1_4
; %bb.6:                                ;   in Loop: Header=BB1_5 Depth=1
	s_lshr_b32 s2, s43, 1
	v_add_u32_e32 v1, s2, v0
	v_lshlrev_b64 v[3:4], 2, v[1:2]
	v_mov_b32_e32 v8, s41
	v_add_co_u32_e32 v3, vcc, s40, v3
	v_addc_co_u32_e32 v4, vcc, v8, v4, vcc
	global_load_dword v3, v[3:4], off
	v_mov_b32_e32 v4, 0
	s_waitcnt vmcnt(0)
	v_cmp_class_f16_e64 s[2:3], v3, s42
	v_cmp_class_f16_sdwa s[8:9], v3, s42 src0_sel:WORD_1 src1_sel:DWORD
	s_and_b64 s[8:9], s[2:3], s[8:9]
	s_and_saveexec_b64 s[2:3], s[8:9]
	s_cbranch_execz .LBB1_34
; %bb.7:                                ;   in Loop: Header=BB1_5 Depth=1
	v_add_u32_e32 v3, s13, v1
	v_ashrrev_i32_e32 v4, 31, v3
	v_lshlrev_b64 v[8:9], 2, v[3:4]
	v_mov_b32_e32 v1, s41
	v_add_co_u32_e32 v8, vcc, s40, v8
	v_addc_co_u32_e32 v9, vcc, v1, v9, vcc
	global_load_dword v1, v[8:9], off
	v_mov_b32_e32 v4, 0
	s_waitcnt vmcnt(0)
	v_cmp_class_f16_e64 s[14:15], v1, s42
	s_and_saveexec_b64 s[8:9], s[14:15]
	s_cbranch_execz .LBB1_33
; %bb.8:                                ;   in Loop: Header=BB1_5 Depth=1
	v_cmp_class_f16_sdwa s[16:17], v1, s42 src0_sel:WORD_1 src1_sel:DWORD
	v_mov_b32_e32 v4, 0
	s_and_saveexec_b64 s[14:15], s[16:17]
	s_cbranch_execz .LBB1_32
; %bb.9:                                ;   in Loop: Header=BB1_5 Depth=1
	v_add_u32_e32 v3, s13, v3
	v_ashrrev_i32_e32 v4, 31, v3
	v_lshlrev_b64 v[8:9], 2, v[3:4]
	v_mov_b32_e32 v1, s41
	v_add_co_u32_e32 v8, vcc, s40, v8
	v_addc_co_u32_e32 v9, vcc, v1, v9, vcc
	global_load_dword v1, v[8:9], off
	v_mov_b32_e32 v4, 0
	s_waitcnt vmcnt(0)
	v_cmp_class_f16_e64 s[18:19], v1, s42
	s_and_saveexec_b64 s[16:17], s[18:19]
	s_cbranch_execz .LBB1_31
; %bb.10:                               ;   in Loop: Header=BB1_5 Depth=1
	v_cmp_class_f16_sdwa s[20:21], v1, s42 src0_sel:WORD_1 src1_sel:DWORD
	v_mov_b32_e32 v4, 0
	s_and_saveexec_b64 s[18:19], s[20:21]
	s_cbranch_execz .LBB1_30
; %bb.11:                               ;   in Loop: Header=BB1_5 Depth=1
	v_add_u32_e32 v3, s13, v3
	v_ashrrev_i32_e32 v4, 31, v3
	v_lshlrev_b64 v[8:9], 2, v[3:4]
	v_mov_b32_e32 v1, s41
	v_add_co_u32_e32 v8, vcc, s40, v8
	v_addc_co_u32_e32 v9, vcc, v1, v9, vcc
	global_load_dword v1, v[8:9], off
	v_mov_b32_e32 v4, 0
	s_waitcnt vmcnt(0)
	v_cmp_class_f16_e64 s[22:23], v1, s42
	s_and_saveexec_b64 s[20:21], s[22:23]
	s_cbranch_execz .LBB1_29
; %bb.12:                               ;   in Loop: Header=BB1_5 Depth=1
	v_cmp_class_f16_sdwa s[24:25], v1, s42 src0_sel:WORD_1 src1_sel:DWORD
	v_mov_b32_e32 v4, 0
	s_and_saveexec_b64 s[22:23], s[24:25]
	s_cbranch_execz .LBB1_28
; %bb.13:                               ;   in Loop: Header=BB1_5 Depth=1
	;; [unrolled: 18-line block ×5, first 2 shown]
	v_add_u32_e32 v3, s13, v3
	v_ashrrev_i32_e32 v4, 31, v3
	v_lshlrev_b64 v[3:4], 2, v[3:4]
	v_mov_b32_e32 v1, s41
	v_add_co_u32_e32 v3, vcc, s40, v3
	v_addc_co_u32_e32 v4, vcc, v1, v4, vcc
	global_load_dword v1, v[3:4], off
	v_mov_b32_e32 v4, 0
	s_waitcnt vmcnt(0)
	v_cmp_class_f16_e64 s[44:45], v1, s42
	s_and_saveexec_b64 s[38:39], s[44:45]
; %bb.20:                               ;   in Loop: Header=BB1_5 Depth=1
	v_cmp_class_f16_sdwa s[44:45], v1, s42 src0_sel:WORD_1 src1_sel:DWORD
	v_cndmask_b32_e64 v4, 0, 1, s[44:45]
; %bb.21:                               ;   in Loop: Header=BB1_5 Depth=1
	s_or_b64 exec, exec, s[38:39]
.LBB1_22:                               ;   in Loop: Header=BB1_5 Depth=1
	s_or_b64 exec, exec, s[36:37]
.LBB1_23:                               ;   in Loop: Header=BB1_5 Depth=1
	s_or_b64 exec, exec, s[34:35]
.LBB1_24:                               ;   in Loop: Header=BB1_5 Depth=1
	s_or_b64 exec, exec, s[30:31]
.LBB1_25:                               ;   in Loop: Header=BB1_5 Depth=1
	s_or_b64 exec, exec, s[28:29]
.LBB1_26:                               ;   in Loop: Header=BB1_5 Depth=1
	s_or_b64 exec, exec, s[26:27]
.LBB1_27:                               ;   in Loop: Header=BB1_5 Depth=1
	s_or_b64 exec, exec, s[24:25]
.LBB1_28:                               ;   in Loop: Header=BB1_5 Depth=1
	s_or_b64 exec, exec, s[22:23]
.LBB1_29:                               ;   in Loop: Header=BB1_5 Depth=1
	s_or_b64 exec, exec, s[20:21]
.LBB1_30:                               ;   in Loop: Header=BB1_5 Depth=1
	s_or_b64 exec, exec, s[18:19]
.LBB1_31:                               ;   in Loop: Header=BB1_5 Depth=1
	s_or_b64 exec, exec, s[16:17]
.LBB1_32:                               ;   in Loop: Header=BB1_5 Depth=1
	s_or_b64 exec, exec, s[14:15]
.LBB1_33:                               ;   in Loop: Header=BB1_5 Depth=1
	s_or_b64 exec, exec, s[8:9]
.LBB1_34:                               ;   in Loop: Header=BB1_5 Depth=1
	s_or_b64 exec, exec, s[2:3]
	v_and_b32_e32 v1, 0x60, v7
	v_add_u32_e32 v9, 32, v1
	v_xor_b32_e32 v1, 16, v7
	v_cmp_lt_i32_e32 vcc, v1, v9
	v_cndmask_b32_e32 v1, v7, v1, vcc
	v_lshlrev_b32_e32 v1, 2, v1
	ds_bpermute_b32 v3, v1, v4
	v_cmp_ne_u32_e32 vcc, 0, v4
	v_xor_b32_e32 v11, 1, v7
	s_waitcnt lgkmcnt(0)
	v_cmp_ne_u32_e64 s[2:3], 0, v3
	v_xor_b32_e32 v3, 8, v7
	s_and_b64 s[2:3], vcc, s[2:3]
	v_cmp_lt_i32_e32 vcc, v3, v9
	v_cndmask_b32_e32 v3, v7, v3, vcc
	v_cndmask_b32_e64 v4, 0, 1, s[2:3]
	v_lshlrev_b32_e32 v3, 2, v3
	ds_bpermute_b32 v4, v3, v4
	s_waitcnt lgkmcnt(0)
	v_cmp_ne_u32_e32 vcc, 0, v4
	v_xor_b32_e32 v4, 4, v7
	s_and_b64 s[2:3], vcc, s[2:3]
	v_cmp_lt_i32_e32 vcc, v4, v9
	v_cndmask_b32_e32 v4, v7, v4, vcc
	v_cndmask_b32_e64 v8, 0, 1, s[2:3]
	v_lshlrev_b32_e32 v4, 2, v4
	ds_bpermute_b32 v8, v4, v8
	s_waitcnt lgkmcnt(0)
	v_cmp_ne_u32_e32 vcc, 0, v8
	;; [unrolled: 9-line block ×3, first 2 shown]
	s_and_b64 s[2:3], vcc, s[2:3]
	v_cmp_lt_i32_e32 vcc, v11, v9
	v_cndmask_b32_e32 v9, v7, v11, vcc
	v_cndmask_b32_e64 v10, 0, 1, s[2:3]
	v_lshlrev_b32_e32 v9, 2, v9
	ds_bpermute_b32 v10, v9, v10
	s_and_saveexec_b64 s[8:9], s[0:1]
	s_cbranch_execz .LBB1_3
; %bb.35:                               ;   in Loop: Header=BB1_5 Depth=1
	s_waitcnt lgkmcnt(0)
	v_cmp_ne_u32_e32 vcc, 0, v10
	s_and_b64 s[2:3], vcc, s[2:3]
	v_cndmask_b32_e64 v10, 0, 1, s[2:3]
	ds_write_b32 v5, v10
	s_branch .LBB1_3
.LBB1_36:
	s_or_b64 exec, exec, s[4:5]
	v_cmp_eq_u32_e32 vcc, 0, v0
	s_and_saveexec_b64 s[0:1], vcc
	s_cbranch_execz .LBB1_38
; %bb.37:
	s_mul_i32 s0, s33, s7
	s_add_i32 s0, s0, s6
	s_ashr_i32 s1, s0, 31
	s_lshl_b64 s[0:1], s[0:1], 2
	s_add_u32 s0, s10, s0
	s_addc_u32 s1, s11, s1
	v_mov_b32_e32 v0, 0
	global_store_dword v0, v1, s[0:1]
.LBB1_38:
	s_endpgm
	.section	.rodata,"a",@progbits
	.p2align	6, 0x0
	.amdhsa_kernel _ZL25flash_attn_mask_to_KV_maxILi8EEvPK7__half2Piiii
		.amdhsa_group_segment_fixed_size 128
		.amdhsa_private_segment_fixed_size 0
		.amdhsa_kernarg_size 288
		.amdhsa_user_sgpr_count 6
		.amdhsa_user_sgpr_private_segment_buffer 1
		.amdhsa_user_sgpr_dispatch_ptr 0
		.amdhsa_user_sgpr_queue_ptr 0
		.amdhsa_user_sgpr_kernarg_segment_ptr 1
		.amdhsa_user_sgpr_dispatch_id 0
		.amdhsa_user_sgpr_flat_scratch_init 0
		.amdhsa_user_sgpr_private_segment_size 0
		.amdhsa_uses_dynamic_stack 0
		.amdhsa_system_sgpr_private_segment_wavefront_offset 0
		.amdhsa_system_sgpr_workgroup_id_x 1
		.amdhsa_system_sgpr_workgroup_id_y 1
		.amdhsa_system_sgpr_workgroup_id_z 0
		.amdhsa_system_sgpr_workgroup_info 0
		.amdhsa_system_vgpr_workitem_id 0
		.amdhsa_next_free_vgpr 12
		.amdhsa_next_free_sgpr 46
		.amdhsa_reserve_vcc 1
		.amdhsa_reserve_flat_scratch 0
		.amdhsa_float_round_mode_32 0
		.amdhsa_float_round_mode_16_64 0
		.amdhsa_float_denorm_mode_32 3
		.amdhsa_float_denorm_mode_16_64 3
		.amdhsa_dx10_clamp 1
		.amdhsa_ieee_mode 1
		.amdhsa_fp16_overflow 0
		.amdhsa_exception_fp_ieee_invalid_op 0
		.amdhsa_exception_fp_denorm_src 0
		.amdhsa_exception_fp_ieee_div_zero 0
		.amdhsa_exception_fp_ieee_overflow 0
		.amdhsa_exception_fp_ieee_underflow 0
		.amdhsa_exception_fp_ieee_inexact 0
		.amdhsa_exception_int_div_zero 0
	.end_amdhsa_kernel
	.section	.text._ZL25flash_attn_mask_to_KV_maxILi8EEvPK7__half2Piiii,"axG",@progbits,_ZL25flash_attn_mask_to_KV_maxILi8EEvPK7__half2Piiii,comdat
.Lfunc_end1:
	.size	_ZL25flash_attn_mask_to_KV_maxILi8EEvPK7__half2Piiii, .Lfunc_end1-_ZL25flash_attn_mask_to_KV_maxILi8EEvPK7__half2Piiii
                                        ; -- End function
	.set _ZL25flash_attn_mask_to_KV_maxILi8EEvPK7__half2Piiii.num_vgpr, 12
	.set _ZL25flash_attn_mask_to_KV_maxILi8EEvPK7__half2Piiii.num_agpr, 0
	.set _ZL25flash_attn_mask_to_KV_maxILi8EEvPK7__half2Piiii.numbered_sgpr, 46
	.set _ZL25flash_attn_mask_to_KV_maxILi8EEvPK7__half2Piiii.num_named_barrier, 0
	.set _ZL25flash_attn_mask_to_KV_maxILi8EEvPK7__half2Piiii.private_seg_size, 0
	.set _ZL25flash_attn_mask_to_KV_maxILi8EEvPK7__half2Piiii.uses_vcc, 1
	.set _ZL25flash_attn_mask_to_KV_maxILi8EEvPK7__half2Piiii.uses_flat_scratch, 0
	.set _ZL25flash_attn_mask_to_KV_maxILi8EEvPK7__half2Piiii.has_dyn_sized_stack, 0
	.set _ZL25flash_attn_mask_to_KV_maxILi8EEvPK7__half2Piiii.has_recursion, 0
	.set _ZL25flash_attn_mask_to_KV_maxILi8EEvPK7__half2Piiii.has_indirect_call, 0
	.section	.AMDGPU.csdata,"",@progbits
; Kernel info:
; codeLenInByte = 1360
; TotalNumSgprs: 50
; NumVgprs: 12
; ScratchSize: 0
; MemoryBound: 0
; FloatMode: 240
; IeeeMode: 1
; LDSByteSize: 128 bytes/workgroup (compile time only)
; SGPRBlocks: 6
; VGPRBlocks: 2
; NumSGPRsForWavesPerEU: 50
; NumVGPRsForWavesPerEU: 12
; Occupancy: 10
; WaveLimiterHint : 0
; COMPUTE_PGM_RSRC2:SCRATCH_EN: 0
; COMPUTE_PGM_RSRC2:USER_SGPR: 6
; COMPUTE_PGM_RSRC2:TRAP_HANDLER: 0
; COMPUTE_PGM_RSRC2:TGID_X_EN: 1
; COMPUTE_PGM_RSRC2:TGID_Y_EN: 1
; COMPUTE_PGM_RSRC2:TGID_Z_EN: 0
; COMPUTE_PGM_RSRC2:TIDIG_COMP_CNT: 0
	.section	.text._ZL33flash_attn_stream_k_fixup_uniformILi112ELi8ELi8EEvPfPK15HIP_vector_typeIfLj2EEiiiiiiS1_IjLj3EES5_S5_,"axG",@progbits,_ZL33flash_attn_stream_k_fixup_uniformILi112ELi8ELi8EEvPfPK15HIP_vector_typeIfLj2EEiiiiiiS1_IjLj3EES5_S5_,comdat
	.globl	_ZL33flash_attn_stream_k_fixup_uniformILi112ELi8ELi8EEvPfPK15HIP_vector_typeIfLj2EEiiiiiiS1_IjLj3EES5_S5_ ; -- Begin function _ZL33flash_attn_stream_k_fixup_uniformILi112ELi8ELi8EEvPfPK15HIP_vector_typeIfLj2EEiiiiiiS1_IjLj3EES5_S5_
	.p2align	8
	.type	_ZL33flash_attn_stream_k_fixup_uniformILi112ELi8ELi8EEvPfPK15HIP_vector_typeIfLj2EEiiiiiiS1_IjLj3EES5_S5_,@function
_ZL33flash_attn_stream_k_fixup_uniformILi112ELi8ELi8EEvPfPK15HIP_vector_typeIfLj2EEiiiiiiS1_IjLj3EES5_S5_: ; @_ZL33flash_attn_stream_k_fixup_uniformILi112ELi8ELi8EEvPfPK15HIP_vector_typeIfLj2EEiiiiiiS1_IjLj3EES5_S5_
; %bb.0:
	s_load_dwordx8 s[12:19], s[4:5], 0x1c
	s_load_dwordx2 s[10:11], s[4:5], 0x10
	s_load_dwordx4 s[0:3], s[4:5], 0x3c
	s_waitcnt lgkmcnt(0)
	s_mul_hi_u32 s9, s15, s6
	s_add_i32 s9, s6, s9
	s_lshr_b32 s9, s9, s16
	s_mul_i32 s15, s9, s17
	s_sub_i32 s16, s6, s15
	s_mul_hi_u32 s15, s16, s18
	s_add_i32 s15, s16, s15
	s_lshr_b32 s15, s15, s19
	s_mul_i32 s0, s15, s0
	s_sub_i32 s0, s16, s0
	;; [unrolled: 5-line block ×3, first 2 shown]
	s_lshl_b32 s0, s16, 3
	s_lshl_b32 s17, s1, 3
	s_add_i32 s0, s0, s7
	s_cmp_lt_i32 s0, s10
	s_cselect_b64 s[0:1], -1, 0
	s_add_i32 s17, s17, s8
	s_cmp_lt_i32 s17, s13
	s_cselect_b64 s[2:3], -1, 0
	s_and_b64 s[0:1], s[0:1], s[2:3]
	s_andn2_b64 vcc, exec, s[0:1]
	s_cbranch_vccnz .LBB2_6
; %bb.1:
	s_load_dwordx4 s[0:3], s[4:5], 0x0
	s_mul_i32 s4, s9, s10
	s_mul_i32 s15, s15, s13
	s_add_i32 s4, s4, s7
	s_mul_i32 s4, s4, s11
	s_add_i32 s9, s17, s15
	s_mul_i32 s5, s11, s16
	s_add_i32 s4, s9, s4
	s_mulk_i32 s5, 0x380
	s_mulk_i32 s4, 0x70
	s_add_i32 s4, s4, s5
	v_add_u32_e32 v1, s4, v0
	v_ashrrev_i32_e32 v2, 31, v1
	v_lshlrev_b64 v[1:2], 2, v[1:2]
	s_waitcnt lgkmcnt(0)
	v_mov_b32_e32 v3, s1
	v_add_co_u32_e32 v1, vcc, s0, v1
	v_addc_co_u32_e32 v2, vcc, v3, v2, vcc
	global_load_dword v8, v[1:2], off
	s_mul_i32 s9, s14, s6
	s_lshl_b32 s4, s7, 3
	s_add_i32 s11, s9, s14
	s_add_i32 s0, s4, s8
	s_lshl_b32 s1, s11, 6
	s_add_i32 s0, s0, s1
	s_sub_i32 s0, s0, 64
	s_ashr_i32 s1, s0, 31
	s_lshl_b64 s[0:1], s[0:1], 3
	s_add_u32 s0, s2, s0
	s_addc_u32 s1, s3, s1
	s_load_dword s5, s[0:1], 0x4
	s_add_i32 s10, s11, -2
	s_cmp_lt_i32 s10, s9
	s_cbranch_scc1 .LBB2_4
; %bb.2:
	s_lshl_b32 s16, s12, 8
	s_ashr_i32 s17, s16, 31
	s_lshl_b64 s[16:17], s[16:17], 2
	s_add_u32 s10, s2, s16
	s_addc_u32 s13, s3, s17
	s_add_i32 s6, s6, 1
	s_load_dword s0, s[0:1], 0x0
	s_mul_i32 s1, s14, s6
	s_lshl_b32 s6, s1, 6
	s_add_i32 s6, s8, s6
	s_lshl_b32 s12, s12, 6
	s_add_i32 s6, s6, s12
	s_add_i32 s4, s6, s4
	s_mulk_i32 s7, 0x380
	s_mul_i32 s6, s8, 0x70
	s_mulk_i32 s1, 0x1c00
	s_add_i32 s6, s6, s7
	s_add_i32 s6, s6, s1
	v_add_u32_e32 v0, s6, v0
	s_add_i32 s11, s11, -1
	s_addk_i32 s4, 0xff80
	v_add_u32_e32 v3, 0xffffc800, v0
	s_waitcnt lgkmcnt(0)
	v_mov_b32_e32 v7, s5
	v_mov_b32_e32 v6, s0
	;; [unrolled: 1-line block ×3, first 2 shown]
	s_mov_b32 s6, 0x3fb8aa3b
	s_mov_b32 s7, 0xc2ce8ed0
	;; [unrolled: 1-line block ×3, first 2 shown]
	v_mov_b32_e32 v5, 0x7f800000
	s_mov_b32 s12, 0xc1a00000
.LBB2_3:                                ; =>This Inner Loop Header: Depth=1
	v_ashrrev_i32_e32 v4, 31, v3
	v_lshlrev_b64 v[9:10], 2, v[3:4]
	s_ashr_i32 s5, s4, 31
	v_add_co_u32_e32 v9, vcc, s10, v9
	v_addc_co_u32_e32 v10, vcc, v0, v10, vcc
	global_load_dword v4, v[9:10], off
	s_lshl_b64 s[0:1], s[4:5], 3
	s_add_u32 s0, s2, s0
	s_addc_u32 s1, s3, s1
	s_load_dwordx2 s[14:15], s[0:1], 0x0
	s_waitcnt vmcnt(1)
	v_mov_b32_e32 v9, v8
	v_max_f32_e32 v8, v6, v6
	v_mov_b32_e32 v10, v7
	s_add_i32 s11, s11, -1
	s_waitcnt lgkmcnt(0)
	v_max_f32_e64 v7, s14, s14
	v_max_f32_e32 v7, v8, v7
	v_sub_f32_e32 v11, s14, v7
	v_sub_f32_e32 v8, v6, v7
	v_mul_f32_e32 v12, 0x3fb8aa3b, v11
	v_mov_b32_e32 v6, v7
	v_mul_f32_e32 v7, 0x3fb8aa3b, v8
	v_fma_f32 v15, v11, s6, -v12
	v_rndne_f32_e32 v16, v12
	v_fma_f32 v13, v8, s6, -v7
	v_rndne_f32_e32 v14, v7
	v_fmac_f32_e32 v15, 0x32a5705f, v11
	v_sub_f32_e32 v12, v12, v16
	v_fmac_f32_e32 v13, 0x32a5705f, v8
	v_sub_f32_e32 v7, v7, v14
	v_add_f32_e32 v12, v12, v15
	v_cvt_i32_f32_e32 v16, v16
	v_add_f32_e32 v7, v7, v13
	v_exp_f32_e32 v12, v12
	v_cvt_i32_f32_e32 v14, v14
	v_exp_f32_e32 v7, v7
	v_cmp_ngt_f32_e32 vcc, s7, v11
	v_ldexp_f32 v12, v12, v16
	v_cmp_ngt_f32_e64 s[0:1], s7, v8
	v_ldexp_f32 v7, v7, v14
	v_cndmask_b32_e32 v12, 0, v12, vcc
	v_cmp_nlt_f32_e32 vcc, s8, v11
	v_cndmask_b32_e64 v7, 0, v7, s[0:1]
	v_cmp_nlt_f32_e64 s[0:1], s8, v8
	v_cndmask_b32_e32 v12, v5, v12, vcc
	v_cmp_le_f32_e32 vcc, s12, v11
	v_cndmask_b32_e64 v7, v5, v7, s[0:1]
	v_cmp_le_f32_e64 s[0:1], s12, v8
	v_cndmask_b32_e32 v8, 0, v12, vcc
	s_sub_i32 s4, s4, 64
	v_cndmask_b32_e64 v11, 0, v7, s[0:1]
	v_mul_f32_e32 v7, s15, v8
	v_add_u32_e32 v3, 0xffffe400, v3
	s_cmp_le_i32 s11, s9
	v_fmac_f32_e32 v7, v10, v11
	s_waitcnt vmcnt(0)
	v_mul_f32_e32 v8, v4, v8
	v_fmac_f32_e32 v8, v9, v11
	s_cbranch_scc0 .LBB2_3
	s_branch .LBB2_5
.LBB2_4:
	s_waitcnt lgkmcnt(0)
	v_mov_b32_e32 v7, s5
.LBB2_5:
	s_waitcnt vmcnt(0)
	v_div_scale_f32 v0, s[0:1], v7, v7, v8
	v_div_scale_f32 v3, vcc, v8, v7, v8
	v_rcp_f32_e32 v4, v0
	v_fma_f32 v5, -v0, v4, 1.0
	v_fmac_f32_e32 v4, v5, v4
	v_mul_f32_e32 v5, v3, v4
	v_fma_f32 v6, -v0, v5, v3
	v_fmac_f32_e32 v5, v6, v4
	v_fma_f32 v0, -v0, v5, v3
	v_div_fmas_f32 v0, v0, v4, v5
	v_div_fixup_f32 v0, v0, v7, v8
	global_store_dword v[1:2], v0, off
.LBB2_6:
	s_endpgm
	.section	.rodata,"a",@progbits
	.p2align	6, 0x0
	.amdhsa_kernel _ZL33flash_attn_stream_k_fixup_uniformILi112ELi8ELi8EEvPfPK15HIP_vector_typeIfLj2EEiiiiiiS1_IjLj3EES5_S5_
		.amdhsa_group_segment_fixed_size 0
		.amdhsa_private_segment_fixed_size 0
		.amdhsa_kernarg_size 76
		.amdhsa_user_sgpr_count 6
		.amdhsa_user_sgpr_private_segment_buffer 1
		.amdhsa_user_sgpr_dispatch_ptr 0
		.amdhsa_user_sgpr_queue_ptr 0
		.amdhsa_user_sgpr_kernarg_segment_ptr 1
		.amdhsa_user_sgpr_dispatch_id 0
		.amdhsa_user_sgpr_flat_scratch_init 0
		.amdhsa_user_sgpr_private_segment_size 0
		.amdhsa_uses_dynamic_stack 0
		.amdhsa_system_sgpr_private_segment_wavefront_offset 0
		.amdhsa_system_sgpr_workgroup_id_x 1
		.amdhsa_system_sgpr_workgroup_id_y 1
		.amdhsa_system_sgpr_workgroup_id_z 1
		.amdhsa_system_sgpr_workgroup_info 0
		.amdhsa_system_vgpr_workitem_id 0
		.amdhsa_next_free_vgpr 17
		.amdhsa_next_free_sgpr 20
		.amdhsa_reserve_vcc 1
		.amdhsa_reserve_flat_scratch 0
		.amdhsa_float_round_mode_32 0
		.amdhsa_float_round_mode_16_64 0
		.amdhsa_float_denorm_mode_32 3
		.amdhsa_float_denorm_mode_16_64 3
		.amdhsa_dx10_clamp 1
		.amdhsa_ieee_mode 1
		.amdhsa_fp16_overflow 0
		.amdhsa_exception_fp_ieee_invalid_op 0
		.amdhsa_exception_fp_denorm_src 0
		.amdhsa_exception_fp_ieee_div_zero 0
		.amdhsa_exception_fp_ieee_overflow 0
		.amdhsa_exception_fp_ieee_underflow 0
		.amdhsa_exception_fp_ieee_inexact 0
		.amdhsa_exception_int_div_zero 0
	.end_amdhsa_kernel
	.section	.text._ZL33flash_attn_stream_k_fixup_uniformILi112ELi8ELi8EEvPfPK15HIP_vector_typeIfLj2EEiiiiiiS1_IjLj3EES5_S5_,"axG",@progbits,_ZL33flash_attn_stream_k_fixup_uniformILi112ELi8ELi8EEvPfPK15HIP_vector_typeIfLj2EEiiiiiiS1_IjLj3EES5_S5_,comdat
.Lfunc_end2:
	.size	_ZL33flash_attn_stream_k_fixup_uniformILi112ELi8ELi8EEvPfPK15HIP_vector_typeIfLj2EEiiiiiiS1_IjLj3EES5_S5_, .Lfunc_end2-_ZL33flash_attn_stream_k_fixup_uniformILi112ELi8ELi8EEvPfPK15HIP_vector_typeIfLj2EEiiiiiiS1_IjLj3EES5_S5_
                                        ; -- End function
	.set _ZL33flash_attn_stream_k_fixup_uniformILi112ELi8ELi8EEvPfPK15HIP_vector_typeIfLj2EEiiiiiiS1_IjLj3EES5_S5_.num_vgpr, 17
	.set _ZL33flash_attn_stream_k_fixup_uniformILi112ELi8ELi8EEvPfPK15HIP_vector_typeIfLj2EEiiiiiiS1_IjLj3EES5_S5_.num_agpr, 0
	.set _ZL33flash_attn_stream_k_fixup_uniformILi112ELi8ELi8EEvPfPK15HIP_vector_typeIfLj2EEiiiiiiS1_IjLj3EES5_S5_.numbered_sgpr, 20
	.set _ZL33flash_attn_stream_k_fixup_uniformILi112ELi8ELi8EEvPfPK15HIP_vector_typeIfLj2EEiiiiiiS1_IjLj3EES5_S5_.num_named_barrier, 0
	.set _ZL33flash_attn_stream_k_fixup_uniformILi112ELi8ELi8EEvPfPK15HIP_vector_typeIfLj2EEiiiiiiS1_IjLj3EES5_S5_.private_seg_size, 0
	.set _ZL33flash_attn_stream_k_fixup_uniformILi112ELi8ELi8EEvPfPK15HIP_vector_typeIfLj2EEiiiiiiS1_IjLj3EES5_S5_.uses_vcc, 1
	.set _ZL33flash_attn_stream_k_fixup_uniformILi112ELi8ELi8EEvPfPK15HIP_vector_typeIfLj2EEiiiiiiS1_IjLj3EES5_S5_.uses_flat_scratch, 0
	.set _ZL33flash_attn_stream_k_fixup_uniformILi112ELi8ELi8EEvPfPK15HIP_vector_typeIfLj2EEiiiiiiS1_IjLj3EES5_S5_.has_dyn_sized_stack, 0
	.set _ZL33flash_attn_stream_k_fixup_uniformILi112ELi8ELi8EEvPfPK15HIP_vector_typeIfLj2EEiiiiiiS1_IjLj3EES5_S5_.has_recursion, 0
	.set _ZL33flash_attn_stream_k_fixup_uniformILi112ELi8ELi8EEvPfPK15HIP_vector_typeIfLj2EEiiiiiiS1_IjLj3EES5_S5_.has_indirect_call, 0
	.section	.AMDGPU.csdata,"",@progbits
; Kernel info:
; codeLenInByte = 856
; TotalNumSgprs: 24
; NumVgprs: 17
; ScratchSize: 0
; MemoryBound: 0
; FloatMode: 240
; IeeeMode: 1
; LDSByteSize: 0 bytes/workgroup (compile time only)
; SGPRBlocks: 2
; VGPRBlocks: 4
; NumSGPRsForWavesPerEU: 24
; NumVGPRsForWavesPerEU: 17
; Occupancy: 10
; WaveLimiterHint : 0
; COMPUTE_PGM_RSRC2:SCRATCH_EN: 0
; COMPUTE_PGM_RSRC2:USER_SGPR: 6
; COMPUTE_PGM_RSRC2:TRAP_HANDLER: 0
; COMPUTE_PGM_RSRC2:TGID_X_EN: 1
; COMPUTE_PGM_RSRC2:TGID_Y_EN: 1
; COMPUTE_PGM_RSRC2:TGID_Z_EN: 1
; COMPUTE_PGM_RSRC2:TIDIG_COMP_CNT: 0
	.section	.text._ZL33flash_attn_stream_k_fixup_generalILi112ELi8ELi8EEvPfPK15HIP_vector_typeIfLj2EEiiiiS1_IjLj3EES5_S5_S5_,"axG",@progbits,_ZL33flash_attn_stream_k_fixup_generalILi112ELi8ELi8EEvPfPK15HIP_vector_typeIfLj2EEiiiiS1_IjLj3EES5_S5_S5_,comdat
	.globl	_ZL33flash_attn_stream_k_fixup_generalILi112ELi8ELi8EEvPfPK15HIP_vector_typeIfLj2EEiiiiS1_IjLj3EES5_S5_S5_ ; -- Begin function _ZL33flash_attn_stream_k_fixup_generalILi112ELi8ELi8EEvPfPK15HIP_vector_typeIfLj2EEiiiiS1_IjLj3EES5_S5_S5_
	.p2align	8
	.type	_ZL33flash_attn_stream_k_fixup_generalILi112ELi8ELi8EEvPfPK15HIP_vector_typeIfLj2EEiiiiS1_IjLj3EES5_S5_S5_,@function
_ZL33flash_attn_stream_k_fixup_generalILi112ELi8ELi8EEvPfPK15HIP_vector_typeIfLj2EEiiiiS1_IjLj3EES5_S5_S5_: ; @_ZL33flash_attn_stream_k_fixup_generalILi112ELi8ELi8EEvPfPK15HIP_vector_typeIfLj2EEiiiiS1_IjLj3EES5_S5_S5_
; %bb.0:
	s_load_dwordx4 s[0:3], s[4:5], 0x10
	s_load_dword s22, s[4:5], 0x50
	s_mov_b32 s12, 0
	s_waitcnt lgkmcnt(0)
	s_mul_hi_i32 s13, s3, s6
	s_cmp_lg_u64 s[12:13], 0
	s_mul_i32 s9, s3, s6
	s_cbranch_scc0 .LBB3_20
; %bb.1:
	s_add_u32 s10, s22, 0
	s_addc_u32 s11, 0, 0
	s_xor_b64 s[10:11], s[10:11], 0
	v_cvt_f32_u32_e32 v1, s10
	v_cvt_f32_u32_e32 v2, s11
	s_sub_u32 s12, 0, s10
	s_subb_u32 s18, 0, s11
	v_madmk_f32 v1, v2, 0x4f800000, v1
	v_rcp_f32_e32 v1, v1
	v_mul_f32_e32 v1, 0x5f7ffffc, v1
	v_mul_f32_e32 v2, 0x2f800000, v1
	v_trunc_f32_e32 v2, v2
	v_madmk_f32 v1, v2, 0xcf800000, v1
	v_cvt_u32_f32_e32 v2, v2
	v_cvt_u32_f32_e32 v1, v1
	v_readfirstlane_b32 s19, v2
	v_readfirstlane_b32 s14, v1
	s_mul_i32 s15, s12, s19
	s_mul_hi_u32 s21, s12, s14
	s_mul_i32 s20, s18, s14
	s_add_i32 s15, s21, s15
	s_add_i32 s15, s15, s20
	s_mul_i32 s23, s12, s14
	s_mul_i32 s21, s14, s15
	s_mul_hi_u32 s24, s14, s23
	s_mul_hi_u32 s20, s14, s15
	s_add_u32 s21, s24, s21
	s_addc_u32 s20, 0, s20
	s_mul_hi_u32 s25, s19, s23
	s_mul_i32 s23, s19, s23
	s_add_u32 s21, s21, s23
	s_mul_hi_u32 s24, s19, s15
	s_addc_u32 s20, s20, s25
	s_addc_u32 s21, s24, 0
	s_mul_i32 s15, s19, s15
	s_add_u32 s15, s20, s15
	s_addc_u32 s20, 0, s21
	s_add_u32 s21, s14, s15
	s_cselect_b64 s[14:15], -1, 0
	s_cmp_lg_u64 s[14:15], 0
	s_addc_u32 s19, s19, s20
	s_mul_i32 s14, s12, s19
	s_mul_hi_u32 s15, s12, s21
	s_add_i32 s14, s15, s14
	s_mul_i32 s18, s18, s21
	s_add_i32 s14, s14, s18
	s_mul_i32 s12, s12, s21
	s_mul_hi_u32 s18, s19, s12
	s_mul_i32 s20, s19, s12
	s_mul_i32 s24, s21, s14
	s_mul_hi_u32 s12, s21, s12
	s_mul_hi_u32 s23, s21, s14
	s_add_u32 s12, s12, s24
	s_addc_u32 s23, 0, s23
	s_add_u32 s12, s12, s20
	s_mul_hi_u32 s15, s19, s14
	s_addc_u32 s12, s23, s18
	s_addc_u32 s15, s15, 0
	s_mul_i32 s14, s19, s14
	s_add_u32 s12, s12, s14
	s_addc_u32 s18, 0, s15
	s_add_u32 s20, s21, s12
	s_cselect_b64 s[14:15], -1, 0
	s_cmp_lg_u64 s[14:15], 0
	s_addc_u32 s18, s19, s18
	s_ashr_i32 s14, s13, 31
	s_add_u32 s12, s9, s14
	s_mov_b32 s15, s14
	s_addc_u32 s13, s13, s14
	s_xor_b64 s[12:13], s[12:13], s[14:15]
	s_mul_i32 s21, s12, s18
	s_mul_hi_u32 s23, s12, s20
	s_mul_hi_u32 s19, s12, s18
	s_add_u32 s21, s23, s21
	s_addc_u32 s19, 0, s19
	s_mul_hi_u32 s24, s13, s20
	s_mul_i32 s20, s13, s20
	s_add_u32 s20, s21, s20
	s_mul_hi_u32 s23, s13, s18
	s_addc_u32 s19, s19, s24
	s_addc_u32 s20, s23, 0
	s_mul_i32 s18, s13, s18
	s_add_u32 s23, s19, s18
	s_addc_u32 s24, 0, s20
	s_mul_i32 s18, s10, s24
	s_mul_hi_u32 s19, s10, s23
	s_add_i32 s18, s19, s18
	s_mul_i32 s19, s11, s23
	s_add_i32 s25, s18, s19
	s_sub_i32 s20, s13, s25
	s_mul_i32 s18, s10, s23
	s_sub_u32 s12, s12, s18
	s_cselect_b64 s[18:19], -1, 0
	s_cmp_lg_u64 s[18:19], 0
	s_subb_u32 s26, s20, s11
	s_sub_u32 s27, s12, s10
	s_cselect_b64 s[20:21], -1, 0
	s_cmp_lg_u64 s[20:21], 0
	s_subb_u32 s20, s26, 0
	s_cmp_ge_u32 s20, s11
	s_cselect_b32 s21, -1, 0
	s_cmp_ge_u32 s27, s10
	s_cselect_b32 s26, -1, 0
	s_cmp_eq_u32 s20, s11
	s_cselect_b32 s20, s26, s21
	s_add_u32 s21, s23, 1
	s_addc_u32 s26, s24, 0
	s_add_u32 s27, s23, 2
	s_addc_u32 s28, s24, 0
	s_cmp_lg_u32 s20, 0
	s_cselect_b32 s20, s27, s21
	s_cselect_b32 s21, s28, s26
	s_cmp_lg_u64 s[18:19], 0
	s_subb_u32 s13, s13, s25
	s_cmp_ge_u32 s13, s11
	s_cselect_b32 s18, -1, 0
	s_cmp_ge_u32 s12, s10
	s_cselect_b32 s10, -1, 0
	s_cmp_eq_u32 s13, s11
	s_cselect_b32 s10, s10, s18
	s_cmp_lg_u32 s10, 0
	s_cselect_b32 s11, s21, s24
	s_cselect_b32 s10, s20, s23
	s_xor_b64 s[12:13], s[14:15], 0
	s_xor_b64 s[10:11], s[10:11], s[12:13]
	s_sub_u32 s10, s10, s12
	s_load_dwordx4 s[12:15], s[4:5], 0x44
	s_cbranch_execnz .LBB3_3
.LBB3_2:
	v_cvt_f32_u32_e32 v1, s22
	s_sub_i32 s10, 0, s22
	v_rcp_iflag_f32_e32 v1, v1
	v_mul_f32_e32 v1, 0x4f7ffffe, v1
	v_cvt_u32_f32_e32 v1, v1
	v_readfirstlane_b32 s11, v1
	s_mul_i32 s10, s10, s11
	s_mul_hi_u32 s10, s11, s10
	s_add_i32 s11, s11, s10
	s_mul_hi_u32 s10, s9, s11
	s_waitcnt lgkmcnt(0)
	s_mul_i32 s15, s10, s22
	s_sub_i32 s9, s9, s15
	s_add_i32 s11, s10, 1
	s_sub_i32 s15, s9, s22
	s_cmp_ge_u32 s9, s22
	s_cselect_b32 s10, s11, s10
	s_cselect_b32 s9, s15, s9
	s_add_i32 s11, s10, 1
	s_cmp_ge_u32 s9, s22
	s_cselect_b32 s10, s11, s10
.LBB3_3:
	s_add_i32 s9, s6, 1
	s_mul_hi_i32 s21, s3, s9
	s_mov_b32 s20, 0
	s_cmp_lg_u64 s[20:21], 0
	s_mul_i32 s9, s3, s9
	s_cbranch_scc0 .LBB3_21
; %bb.4:
	s_add_u32 s16, s22, 0
	s_addc_u32 s17, 0, 0
	s_xor_b64 s[18:19], s[16:17], 0
	v_cvt_f32_u32_e32 v1, s18
	v_cvt_f32_u32_e32 v2, s19
	s_sub_u32 s11, 0, s18
	s_waitcnt lgkmcnt(0)
	s_subb_u32 s15, 0, s19
	v_madmk_f32 v1, v2, 0x4f800000, v1
	v_rcp_f32_e32 v1, v1
	v_mul_f32_e32 v1, 0x5f7ffffc, v1
	v_mul_f32_e32 v2, 0x2f800000, v1
	v_trunc_f32_e32 v2, v2
	v_madmk_f32 v1, v2, 0xcf800000, v1
	v_cvt_u32_f32_e32 v2, v2
	v_cvt_u32_f32_e32 v1, v1
	v_readfirstlane_b32 s20, v2
	v_readfirstlane_b32 s23, v1
	s_mul_i32 s24, s11, s20
	s_mul_hi_u32 s26, s11, s23
	s_mul_i32 s25, s15, s23
	s_add_i32 s24, s26, s24
	s_add_i32 s24, s24, s25
	s_mul_i32 s27, s11, s23
	s_mul_i32 s26, s23, s24
	s_mul_hi_u32 s28, s23, s27
	s_mul_hi_u32 s25, s23, s24
	s_add_u32 s26, s28, s26
	s_addc_u32 s25, 0, s25
	s_mul_hi_u32 s29, s20, s27
	s_mul_i32 s27, s20, s27
	s_add_u32 s26, s26, s27
	s_mul_hi_u32 s28, s20, s24
	s_addc_u32 s25, s25, s29
	s_addc_u32 s26, s28, 0
	s_mul_i32 s24, s20, s24
	s_add_u32 s24, s25, s24
	s_addc_u32 s26, 0, s26
	s_add_u32 s23, s23, s24
	s_cselect_b64 s[24:25], -1, 0
	s_cmp_lg_u64 s[24:25], 0
	s_addc_u32 s20, s20, s26
	s_mul_i32 s24, s11, s20
	s_mul_hi_u32 s25, s11, s23
	s_add_i32 s24, s25, s24
	s_mul_i32 s15, s15, s23
	s_add_i32 s24, s24, s15
	s_mul_i32 s11, s11, s23
	s_mul_hi_u32 s25, s20, s11
	s_mul_i32 s26, s20, s11
	s_mul_i32 s28, s23, s24
	s_mul_hi_u32 s11, s23, s11
	s_mul_hi_u32 s27, s23, s24
	s_add_u32 s11, s11, s28
	s_addc_u32 s27, 0, s27
	s_add_u32 s11, s11, s26
	s_mul_hi_u32 s15, s20, s24
	s_addc_u32 s11, s27, s25
	s_addc_u32 s15, s15, 0
	s_mul_i32 s24, s20, s24
	s_add_u32 s11, s11, s24
	s_addc_u32 s15, 0, s15
	s_add_u32 s11, s23, s11
	s_cselect_b64 s[24:25], -1, 0
	s_cmp_lg_u64 s[24:25], 0
	s_addc_u32 s15, s20, s15
	s_ashr_i32 s24, s21, 31
	s_add_u32 s20, s9, s24
	s_mov_b32 s25, s24
	s_addc_u32 s21, s21, s24
	s_xor_b64 s[20:21], s[20:21], s[24:25]
	s_mul_i32 s26, s20, s15
	s_mul_hi_u32 s27, s20, s11
	s_mul_hi_u32 s23, s20, s15
	s_add_u32 s26, s27, s26
	s_addc_u32 s23, 0, s23
	s_mul_hi_u32 s28, s21, s11
	s_mul_i32 s11, s21, s11
	s_add_u32 s11, s26, s11
	s_mul_hi_u32 s27, s21, s15
	s_addc_u32 s11, s23, s28
	s_addc_u32 s23, s27, 0
	s_mul_i32 s15, s21, s15
	s_add_u32 s11, s11, s15
	s_addc_u32 s15, 0, s23
	s_mul_i32 s23, s18, s15
	s_mul_hi_u32 s26, s18, s11
	s_add_i32 s23, s26, s23
	s_mul_i32 s26, s19, s11
	s_add_i32 s23, s23, s26
	s_sub_i32 s28, s21, s23
	s_mul_i32 s26, s18, s11
	s_sub_u32 s20, s20, s26
	s_cselect_b64 s[26:27], -1, 0
	s_cmp_lg_u64 s[26:27], 0
	s_subb_u32 s30, s28, s19
	s_sub_u32 s31, s20, s18
	s_cselect_b64 s[28:29], -1, 0
	s_cmp_lg_u64 s[28:29], 0
	s_subb_u32 s28, s30, 0
	s_cmp_ge_u32 s28, s19
	s_cselect_b32 s29, -1, 0
	s_cmp_ge_u32 s31, s18
	s_cselect_b32 s30, -1, 0
	s_cmp_eq_u32 s28, s19
	s_cselect_b32 s28, s30, s29
	s_add_u32 s29, s11, 1
	s_addc_u32 s30, s15, 0
	s_add_u32 s31, s11, 2
	s_addc_u32 s33, s15, 0
	s_cmp_lg_u32 s28, 0
	s_cselect_b32 s28, s31, s29
	s_cselect_b32 s29, s33, s30
	s_cmp_lg_u64 s[26:27], 0
	s_subb_u32 s21, s21, s23
	s_cmp_ge_u32 s21, s19
	s_cselect_b32 s23, -1, 0
	s_cmp_ge_u32 s20, s18
	s_cselect_b32 s18, -1, 0
	s_cmp_eq_u32 s21, s19
	s_cselect_b32 s18, s18, s23
	s_cmp_lg_u32 s18, 0
	s_cselect_b32 s19, s29, s15
	s_cselect_b32 s18, s28, s11
	s_xor_b64 s[20:21], s[24:25], 0
	s_xor_b64 s[18:19], s[18:19], s[20:21]
	s_sub_u32 s18, s18, s20
	s_cbranch_execnz .LBB3_6
.LBB3_5:
	v_cvt_f32_u32_e32 v1, s22
	s_sub_i32 s11, 0, s22
	v_rcp_iflag_f32_e32 v1, v1
	v_mul_f32_e32 v1, 0x4f7ffffe, v1
	v_cvt_u32_f32_e32 v1, v1
	s_waitcnt lgkmcnt(0)
	v_readfirstlane_b32 s15, v1
	s_mul_i32 s11, s11, s15
	s_mul_hi_u32 s11, s15, s11
	s_add_i32 s15, s15, s11
	s_mul_hi_u32 s11, s9, s15
	s_mul_i32 s16, s11, s22
	s_sub_i32 s9, s9, s16
	s_add_i32 s15, s11, 1
	s_sub_i32 s16, s9, s22
	s_cmp_ge_u32 s9, s22
	s_cselect_b32 s11, s15, s11
	s_cselect_b32 s9, s16, s9
	s_add_i32 s15, s11, 1
	s_cmp_ge_u32 s9, s22
	s_cselect_b32 s18, s15, s11
.LBB3_6:
	s_cmp_eq_u32 s10, s18
	s_waitcnt lgkmcnt(0)
	s_mul_hi_u32 s9, s10, s12
	s_cselect_b64 s[16:17], -1, 0
	s_add_i32 s9, s9, s10
	s_lshr_b32 s11, s9, s13
	s_mul_i32 s9, s11, s14
	s_cmp_eq_u32 s9, s10
	s_mul_hi_u32 s9, s18, s12
	s_cselect_b64 s[20:21], -1, 0
	s_add_i32 s9, s9, s18
	s_lshr_b32 s9, s9, s13
	s_cmp_eq_u32 s11, s9
	s_mul_i32 s9, s9, s14
	s_cselect_b64 s[24:25], -1, 0
	s_cmp_lg_u32 s9, s18
	s_cselect_b64 s[18:19], -1, 0
	s_and_b64 s[18:19], s[24:25], s[18:19]
	s_or_b64 s[16:17], s[16:17], s[20:21]
	s_or_b64 s[16:17], s[16:17], s[18:19]
	s_and_b64 vcc, exec, s[16:17]
	s_cbranch_vccnz .LBB3_23
; %bb.7:
	s_load_dwordx8 s[24:31], s[4:5], 0x20
	s_load_dword s15, s[4:5], 0x40
	s_waitcnt lgkmcnt(0)
	s_mul_hi_u32 s9, s10, s24
	s_add_i32 s9, s9, s10
	s_lshr_b32 s9, s9, s25
	s_mul_i32 s16, s9, s26
	s_sub_i32 s16, s10, s16
	s_mul_hi_u32 s17, s16, s27
	s_add_i32 s17, s16, s17
	s_lshr_b32 s23, s17, s28
	s_mul_i32 s17, s23, s29
	s_sub_i32 s16, s16, s17
	;; [unrolled: 5-line block ×3, first 2 shown]
	s_mul_hi_u32 s16, s15, s12
	s_add_i32 s15, s15, s16
	s_lshr_b32 s24, s15, s13
	s_lshl_b32 s15, s24, 3
	s_lshl_b32 s25, s17, 3
	s_add_i32 s15, s15, s7
	s_cmp_lt_i32 s15, s0
	s_cselect_b64 s[16:17], -1, 0
	s_add_i32 s25, s25, s8
	s_cmp_lt_i32 s25, s2
	s_cselect_b64 s[18:19], -1, 0
	s_and_b64 s[16:17], s[16:17], s[18:19]
	s_andn2_b64 vcc, exec, s[16:17]
	s_cbranch_vccnz .LBB3_23
; %bb.8:
	s_load_dwordx4 s[16:19], s[4:5], 0x0
	s_mov_b32 s4, 0
	s_lshl_b32 s15, s7, 3
	s_lshl_b32 s20, s22, 8
	s_mov_b32 s21, s4
	s_add_i32 s15, s15, s8
	s_lshl_b64 s[20:21], s[20:21], 2
	s_waitcnt lgkmcnt(0)
	s_add_u32 s20, s18, s20
	s_mul_i32 s0, s9, s0
	s_addc_u32 s21, s19, s21
	s_mul_i32 s23, s23, s2
	s_add_i32 s0, s0, s7
	s_mul_i32 s2, s1, s24
	s_mul_i32 s0, s0, s1
	s_add_i32 s1, s25, s23
	s_add_i32 s0, s1, s0
	s_mulk_i32 s2, 0x380
	s_mulk_i32 s0, 0x70
	s_add_i32 s2, s2, s0
	v_add_u32_e32 v1, s2, v0
	v_ashrrev_i32_e32 v2, 31, v1
	v_lshlrev_b64 v[1:2], 2, v[1:2]
	v_mov_b32_e32 v3, s17
	v_add_co_u32_e32 v1, vcc, s16, v1
	v_addc_co_u32_e32 v2, vcc, v3, v2, vcc
	global_load_dword v3, v[1:2], off
	v_cvt_f32_u32_e32 v4, s22
	s_lshl_b32 s0, s6, 6
	s_add_i32 s0, s15, s0
	s_ashr_i32 s1, s0, 31
	s_lshl_b64 s[0:1], s[0:1], 3
	v_rcp_iflag_f32_e32 v4, v4
	s_add_u32 s0, s18, s0
	s_addc_u32 s1, s19, s1
	s_load_dwordx2 s[0:1], s[0:1], 0x0
	v_mul_f32_e32 v4, 0x4f7ffffe, v4
	v_cvt_u32_f32_e32 v4, v4
	s_mul_i32 s2, s15, 0x70
	s_add_i32 s24, s6, -1
	v_add_u32_e32 v0, s2, v0
	s_waitcnt lgkmcnt(0)
	v_mov_b32_e32 v6, s1
	v_mov_b32_e32 v7, s0
	s_mov_b32 s2, 0x3fb8aa3b
	s_mov_b32 s16, 0xc2ce8ed0
	;; [unrolled: 1-line block ×4, first 2 shown]
	v_mov_b32_e32 v5, 0x7f800000
	s_mul_hi_i32 s5, s24, s3
	s_cmp_lg_u64 s[4:5], 0
	s_mul_i32 s8, s24, s3
	s_cbranch_scc0 .LBB3_19
.LBB3_9:
	s_add_u32 s0, s22, 0
	s_addc_u32 s1, 0, 0
	s_xor_b64 s[0:1], s[0:1], 0
	v_cvt_f32_u32_e32 v8, s0
	v_cvt_f32_u32_e32 v9, s1
	s_sub_u32 s9, 0, s0
	s_subb_u32 s25, 0, s1
	v_mac_f32_e32 v8, 0x4f800000, v9
	v_rcp_f32_e32 v8, v8
	v_mul_f32_e32 v8, 0x5f7ffffc, v8
	v_mul_f32_e32 v9, 0x2f800000, v8
	v_trunc_f32_e32 v9, v9
	v_mac_f32_e32 v8, 0xcf800000, v9
	v_cvt_u32_f32_e32 v9, v9
	v_cvt_u32_f32_e32 v8, v8
	v_readfirstlane_b32 s26, v9
	v_readfirstlane_b32 s6, v8
	s_mul_i32 s7, s9, s26
	s_mul_hi_u32 s28, s9, s6
	s_mul_i32 s27, s25, s6
	s_add_i32 s7, s28, s7
	s_mul_i32 s29, s9, s6
	s_add_i32 s7, s7, s27
	s_mul_i32 s28, s6, s7
	s_mul_hi_u32 s30, s6, s29
	s_mul_hi_u32 s27, s6, s7
	s_add_u32 s28, s30, s28
	s_addc_u32 s27, 0, s27
	s_mul_hi_u32 s31, s26, s29
	s_mul_i32 s29, s26, s29
	s_add_u32 s28, s28, s29
	s_mul_hi_u32 s30, s26, s7
	s_addc_u32 s27, s27, s31
	s_addc_u32 s28, s30, 0
	s_mul_i32 s7, s26, s7
	s_add_u32 s7, s27, s7
	s_addc_u32 s27, 0, s28
	s_add_u32 s28, s6, s7
	s_cselect_b64 s[6:7], -1, 0
	s_cmp_lg_u64 s[6:7], 0
	s_addc_u32 s26, s26, s27
	s_mul_i32 s6, s9, s26
	s_mul_hi_u32 s7, s9, s28
	s_add_i32 s6, s7, s6
	s_mul_i32 s25, s25, s28
	s_add_i32 s6, s6, s25
	s_mul_i32 s9, s9, s28
	s_mul_hi_u32 s25, s26, s9
	s_mul_i32 s27, s26, s9
	s_mul_i32 s30, s28, s6
	s_mul_hi_u32 s9, s28, s9
	s_mul_hi_u32 s29, s28, s6
	s_add_u32 s9, s9, s30
	s_addc_u32 s29, 0, s29
	s_add_u32 s9, s9, s27
	s_mul_hi_u32 s7, s26, s6
	s_addc_u32 s9, s29, s25
	s_addc_u32 s7, s7, 0
	s_mul_i32 s6, s26, s6
	s_add_u32 s6, s9, s6
	s_addc_u32 s9, 0, s7
	s_add_u32 s25, s28, s6
	s_cselect_b64 s[6:7], -1, 0
	s_cmp_lg_u64 s[6:7], 0
	s_addc_u32 s9, s26, s9
	s_ashr_i32 s6, s5, 31
	s_add_u32 s26, s8, s6
	s_mov_b32 s7, s6
	s_addc_u32 s27, s5, s6
	s_xor_b64 s[26:27], s[26:27], s[6:7]
	s_mul_i32 s28, s26, s9
	s_mul_hi_u32 s29, s26, s25
	s_mul_hi_u32 s5, s26, s9
	s_add_u32 s28, s29, s28
	s_addc_u32 s5, 0, s5
	s_mul_hi_u32 s30, s27, s25
	s_mul_i32 s25, s27, s25
	s_add_u32 s25, s28, s25
	s_mul_hi_u32 s29, s27, s9
	s_addc_u32 s5, s5, s30
	s_addc_u32 s25, s29, 0
	s_mul_i32 s9, s27, s9
	s_add_u32 s5, s5, s9
	s_addc_u32 s9, 0, s25
	s_mul_i32 s25, s0, s9
	s_mul_hi_u32 s28, s0, s5
	s_add_i32 s25, s28, s25
	s_mul_i32 s28, s1, s5
	s_add_i32 s25, s25, s28
	s_sub_i32 s30, s27, s25
	s_mul_i32 s28, s0, s5
	s_sub_u32 s26, s26, s28
	s_cselect_b64 s[28:29], -1, 0
	s_cmp_lg_u64 s[28:29], 0
	s_subb_u32 s33, s30, s1
	s_sub_u32 s34, s26, s0
	s_cselect_b64 s[30:31], -1, 0
	s_cmp_lg_u64 s[30:31], 0
	s_subb_u32 s30, s33, 0
	s_cmp_ge_u32 s30, s1
	s_cselect_b32 s31, -1, 0
	s_cmp_ge_u32 s34, s0
	s_cselect_b32 s33, -1, 0
	s_cmp_eq_u32 s30, s1
	s_cselect_b32 s30, s33, s31
	s_add_u32 s31, s5, 1
	s_addc_u32 s33, s9, 0
	s_add_u32 s34, s5, 2
	s_addc_u32 s35, s9, 0
	s_cmp_lg_u32 s30, 0
	s_cselect_b32 s30, s34, s31
	s_cselect_b32 s31, s35, s33
	s_cmp_lg_u64 s[28:29], 0
	s_subb_u32 s25, s27, s25
	s_cmp_ge_u32 s25, s1
	s_cselect_b32 s27, -1, 0
	s_cmp_ge_u32 s26, s0
	s_cselect_b32 s0, -1, 0
	s_cmp_eq_u32 s25, s1
	s_cselect_b32 s0, s0, s27
	s_cmp_lg_u32 s0, 0
	s_cselect_b32 s1, s31, s9
	s_cselect_b32 s0, s30, s5
	s_xor_b64 s[6:7], s[6:7], 0
	s_xor_b64 s[0:1], s[0:1], s[6:7]
	s_sub_u32 s6, s0, s6
	s_cbranch_execnz .LBB3_11
.LBB3_10:
	s_sub_i32 s0, 0, s22
	v_readfirstlane_b32 s1, v4
	s_mul_i32 s0, s0, s1
	s_mul_hi_u32 s0, s1, s0
	s_add_i32 s1, s1, s0
	s_mul_hi_u32 s0, s8, s1
	s_mul_i32 s5, s0, s22
	s_sub_i32 s5, s8, s5
	s_add_i32 s1, s0, 1
	s_sub_i32 s6, s5, s22
	s_cmp_ge_u32 s5, s22
	s_cselect_b32 s0, s1, s0
	s_cselect_b32 s5, s6, s5
	s_add_i32 s1, s0, 1
	s_cmp_ge_u32 s5, s22
	s_cselect_b32 s6, s1, s0
.LBB3_11:
	s_cmp_lg_u32 s10, s6
	s_mov_b64 s[8:9], -1
                                        ; implicit-def: $sgpr0_sgpr1
                                        ; implicit-def: $vgpr10
                                        ; implicit-def: $vgpr8
                                        ; implicit-def: $vgpr9
                                        ; implicit-def: $sgpr5
                                        ; implicit-def: $sgpr7
	s_cbranch_scc1 .LBB3_14
; %bb.12:
	s_andn2_b64 vcc, exec, s[8:9]
	s_cbranch_vccz .LBB3_17
.LBB3_13:
	s_andn2_b64 vcc, exec, s[0:1]
	s_cbranch_vccnz .LBB3_18
	s_branch .LBB3_22
.LBB3_14:
	s_add_i32 s0, s24, s22
	s_lshl_b32 s0, s0, 6
	s_add_i32 s0, s0, s15
	s_mov_b32 s1, s4
	s_lshl_b64 s[0:1], s[0:1], 3
	s_add_u32 s8, s18, s0
	s_mul_hi_u32 s0, s6, s12
	s_addc_u32 s9, s19, s1
	s_add_i32 s0, s0, s6
	s_lshr_b32 s5, s0, s13
	s_mul_i32 s0, s5, s14
	s_cmp_eq_u32 s0, s6
	s_cselect_b64 s[0:1], -1, 0
	s_cmp_lt_u32 s5, s11
	s_cselect_b64 s[26:27], -1, 0
	s_or_b64 s[26:27], s[26:27], s[0:1]
	s_mov_b64 s[0:1], -1
	s_and_b64 vcc, exec, s[26:27]
	s_mov_b32 s5, s24
	s_mov_b32 s7, s10
	s_cbranch_vccnz .LBB3_16
; %bb.15:
	s_add_i32 s5, s24, -1
	s_mov_b64 s[0:1], 0
	s_mov_b32 s7, s6
.LBB3_16:
	s_mul_i32 s6, s24, 0x1c00
	v_add_u32_e32 v8, s6, v0
	v_ashrrev_i32_e32 v9, 31, v8
	v_lshlrev_b64 v[8:9], 2, v[8:9]
	v_mov_b32_e32 v10, s21
	v_add_co_u32_e32 v8, vcc, s20, v8
	v_addc_co_u32_e32 v9, vcc, v10, v9, vcc
	global_load_dword v10, v[8:9], off
	s_load_dwordx2 s[8:9], s[8:9], 0x0
	v_max_f32_e32 v8, v7, v7
	s_waitcnt lgkmcnt(0)
	v_max_f32_e64 v9, s8, s8
	v_max_f32_e32 v8, v8, v9
	v_sub_f32_e32 v9, v7, v8
	v_sub_f32_e32 v11, s8, v8
	v_mul_f32_e32 v12, 0x3fb8aa3b, v9
	v_mul_f32_e32 v13, 0x3fb8aa3b, v11
	v_fma_f32 v14, v9, s2, -v12
	v_rndne_f32_e32 v15, v12
	v_fma_f32 v16, v11, s2, -v13
	v_rndne_f32_e32 v17, v13
	v_fmac_f32_e32 v14, 0x32a5705f, v9
	v_sub_f32_e32 v12, v12, v15
	v_fmac_f32_e32 v16, 0x32a5705f, v11
	v_sub_f32_e32 v13, v13, v17
	v_add_f32_e32 v12, v12, v14
	v_cvt_i32_f32_e32 v15, v15
	v_add_f32_e32 v13, v13, v16
	v_exp_f32_e32 v12, v12
	v_cvt_i32_f32_e32 v17, v17
	v_exp_f32_e32 v13, v13
	v_cmp_ngt_f32_e32 vcc, s16, v9
	v_ldexp_f32 v12, v12, v15
	v_cndmask_b32_e32 v12, 0, v12, vcc
	v_ldexp_f32 v13, v13, v17
	v_cmp_ngt_f32_e32 vcc, s16, v11
	v_cndmask_b32_e32 v13, 0, v13, vcc
	v_cmp_nlt_f32_e32 vcc, s17, v9
	v_cndmask_b32_e32 v12, v5, v12, vcc
	v_cmp_nlt_f32_e32 vcc, s17, v11
	v_cndmask_b32_e32 v13, v5, v13, vcc
	v_cmp_le_f32_e32 vcc, s23, v9
	v_cndmask_b32_e32 v12, 0, v12, vcc
	v_cmp_le_f32_e32 vcc, s23, v11
	v_cndmask_b32_e32 v11, 0, v13, vcc
	v_mul_f32_e32 v9, s9, v11
	v_fmac_f32_e32 v9, v6, v12
	s_waitcnt vmcnt(0)
	v_mul_f32_e32 v10, v10, v11
	v_fmac_f32_e32 v10, v3, v12
	s_cbranch_execnz .LBB3_13
.LBB3_17:
	s_add_i32 s5, s24, -1
	s_mov_b32 s7, s10
	v_mov_b32_e32 v9, v6
	v_mov_b32_e32 v8, v7
	s_waitcnt vmcnt(0)
	v_mov_b32_e32 v10, v3
	s_cbranch_execz .LBB3_22
.LBB3_18:
	s_mov_b32 s10, s7
	s_mov_b32 s24, s5
	v_mov_b32_e32 v6, v9
	v_mov_b32_e32 v7, v8
	s_waitcnt vmcnt(0)
	v_mov_b32_e32 v3, v10
	s_mul_hi_i32 s5, s24, s3
	s_cmp_lg_u64 s[4:5], 0
	s_mul_i32 s8, s24, s3
	s_cbranch_scc1 .LBB3_9
.LBB3_19:
                                        ; implicit-def: $sgpr6_sgpr7
	s_branch .LBB3_10
.LBB3_20:
                                        ; implicit-def: $sgpr10_sgpr11
	s_load_dwordx4 s[12:15], s[4:5], 0x44
	s_branch .LBB3_2
.LBB3_21:
                                        ; implicit-def: $sgpr18_sgpr19
	s_branch .LBB3_5
.LBB3_22:
	v_div_scale_f32 v0, s[0:1], v9, v9, v10
	s_waitcnt vmcnt(0)
	v_div_scale_f32 v3, vcc, v10, v9, v10
	v_rcp_f32_e32 v4, v0
	v_fma_f32 v5, -v0, v4, 1.0
	v_fmac_f32_e32 v4, v5, v4
	v_mul_f32_e32 v5, v3, v4
	v_fma_f32 v6, -v0, v5, v3
	v_fmac_f32_e32 v5, v6, v4
	v_fma_f32 v0, -v0, v5, v3
	v_div_fmas_f32 v0, v0, v4, v5
	v_div_fixup_f32 v0, v0, v9, v10
	global_store_dword v[1:2], v0, off
.LBB3_23:
	s_endpgm
	.section	.rodata,"a",@progbits
	.p2align	6, 0x0
	.amdhsa_kernel _ZL33flash_attn_stream_k_fixup_generalILi112ELi8ELi8EEvPfPK15HIP_vector_typeIfLj2EEiiiiS1_IjLj3EES5_S5_S5_
		.amdhsa_group_segment_fixed_size 0
		.amdhsa_private_segment_fixed_size 0
		.amdhsa_kernarg_size 336
		.amdhsa_user_sgpr_count 6
		.amdhsa_user_sgpr_private_segment_buffer 1
		.amdhsa_user_sgpr_dispatch_ptr 0
		.amdhsa_user_sgpr_queue_ptr 0
		.amdhsa_user_sgpr_kernarg_segment_ptr 1
		.amdhsa_user_sgpr_dispatch_id 0
		.amdhsa_user_sgpr_flat_scratch_init 0
		.amdhsa_user_sgpr_private_segment_size 0
		.amdhsa_uses_dynamic_stack 0
		.amdhsa_system_sgpr_private_segment_wavefront_offset 0
		.amdhsa_system_sgpr_workgroup_id_x 1
		.amdhsa_system_sgpr_workgroup_id_y 1
		.amdhsa_system_sgpr_workgroup_id_z 1
		.amdhsa_system_sgpr_workgroup_info 0
		.amdhsa_system_vgpr_workitem_id 0
		.amdhsa_next_free_vgpr 18
		.amdhsa_next_free_sgpr 36
		.amdhsa_reserve_vcc 1
		.amdhsa_reserve_flat_scratch 0
		.amdhsa_float_round_mode_32 0
		.amdhsa_float_round_mode_16_64 0
		.amdhsa_float_denorm_mode_32 3
		.amdhsa_float_denorm_mode_16_64 3
		.amdhsa_dx10_clamp 1
		.amdhsa_ieee_mode 1
		.amdhsa_fp16_overflow 0
		.amdhsa_exception_fp_ieee_invalid_op 0
		.amdhsa_exception_fp_denorm_src 0
		.amdhsa_exception_fp_ieee_div_zero 0
		.amdhsa_exception_fp_ieee_overflow 0
		.amdhsa_exception_fp_ieee_underflow 0
		.amdhsa_exception_fp_ieee_inexact 0
		.amdhsa_exception_int_div_zero 0
	.end_amdhsa_kernel
	.section	.text._ZL33flash_attn_stream_k_fixup_generalILi112ELi8ELi8EEvPfPK15HIP_vector_typeIfLj2EEiiiiS1_IjLj3EES5_S5_S5_,"axG",@progbits,_ZL33flash_attn_stream_k_fixup_generalILi112ELi8ELi8EEvPfPK15HIP_vector_typeIfLj2EEiiiiS1_IjLj3EES5_S5_S5_,comdat
.Lfunc_end3:
	.size	_ZL33flash_attn_stream_k_fixup_generalILi112ELi8ELi8EEvPfPK15HIP_vector_typeIfLj2EEiiiiS1_IjLj3EES5_S5_S5_, .Lfunc_end3-_ZL33flash_attn_stream_k_fixup_generalILi112ELi8ELi8EEvPfPK15HIP_vector_typeIfLj2EEiiiiS1_IjLj3EES5_S5_S5_
                                        ; -- End function
	.set _ZL33flash_attn_stream_k_fixup_generalILi112ELi8ELi8EEvPfPK15HIP_vector_typeIfLj2EEiiiiS1_IjLj3EES5_S5_S5_.num_vgpr, 18
	.set _ZL33flash_attn_stream_k_fixup_generalILi112ELi8ELi8EEvPfPK15HIP_vector_typeIfLj2EEiiiiS1_IjLj3EES5_S5_S5_.num_agpr, 0
	.set _ZL33flash_attn_stream_k_fixup_generalILi112ELi8ELi8EEvPfPK15HIP_vector_typeIfLj2EEiiiiS1_IjLj3EES5_S5_S5_.numbered_sgpr, 36
	.set _ZL33flash_attn_stream_k_fixup_generalILi112ELi8ELi8EEvPfPK15HIP_vector_typeIfLj2EEiiiiS1_IjLj3EES5_S5_S5_.num_named_barrier, 0
	.set _ZL33flash_attn_stream_k_fixup_generalILi112ELi8ELi8EEvPfPK15HIP_vector_typeIfLj2EEiiiiS1_IjLj3EES5_S5_S5_.private_seg_size, 0
	.set _ZL33flash_attn_stream_k_fixup_generalILi112ELi8ELi8EEvPfPK15HIP_vector_typeIfLj2EEiiiiS1_IjLj3EES5_S5_S5_.uses_vcc, 1
	.set _ZL33flash_attn_stream_k_fixup_generalILi112ELi8ELi8EEvPfPK15HIP_vector_typeIfLj2EEiiiiS1_IjLj3EES5_S5_S5_.uses_flat_scratch, 0
	.set _ZL33flash_attn_stream_k_fixup_generalILi112ELi8ELi8EEvPfPK15HIP_vector_typeIfLj2EEiiiiS1_IjLj3EES5_S5_S5_.has_dyn_sized_stack, 0
	.set _ZL33flash_attn_stream_k_fixup_generalILi112ELi8ELi8EEvPfPK15HIP_vector_typeIfLj2EEiiiiS1_IjLj3EES5_S5_S5_.has_recursion, 0
	.set _ZL33flash_attn_stream_k_fixup_generalILi112ELi8ELi8EEvPfPK15HIP_vector_typeIfLj2EEiiiiS1_IjLj3EES5_S5_S5_.has_indirect_call, 0
	.section	.AMDGPU.csdata,"",@progbits
; Kernel info:
; codeLenInByte = 2944
; TotalNumSgprs: 40
; NumVgprs: 18
; ScratchSize: 0
; MemoryBound: 0
; FloatMode: 240
; IeeeMode: 1
; LDSByteSize: 0 bytes/workgroup (compile time only)
; SGPRBlocks: 4
; VGPRBlocks: 4
; NumSGPRsForWavesPerEU: 40
; NumVGPRsForWavesPerEU: 18
; Occupancy: 10
; WaveLimiterHint : 0
; COMPUTE_PGM_RSRC2:SCRATCH_EN: 0
; COMPUTE_PGM_RSRC2:USER_SGPR: 6
; COMPUTE_PGM_RSRC2:TRAP_HANDLER: 0
; COMPUTE_PGM_RSRC2:TGID_X_EN: 1
; COMPUTE_PGM_RSRC2:TGID_Y_EN: 1
; COMPUTE_PGM_RSRC2:TGID_Z_EN: 1
; COMPUTE_PGM_RSRC2:TIDIG_COMP_CNT: 0
	.section	.text._ZL26flash_attn_combine_resultsILi112EEvPKfPK15HIP_vector_typeIfLj2EEPfi,"axG",@progbits,_ZL26flash_attn_combine_resultsILi112EEvPKfPK15HIP_vector_typeIfLj2EEPfi,comdat
	.globl	_ZL26flash_attn_combine_resultsILi112EEvPKfPK15HIP_vector_typeIfLj2EEPfi ; -- Begin function _ZL26flash_attn_combine_resultsILi112EEvPKfPK15HIP_vector_typeIfLj2EEPfi
	.p2align	8
	.type	_ZL26flash_attn_combine_resultsILi112EEvPKfPK15HIP_vector_typeIfLj2EEPfi,@function
_ZL26flash_attn_combine_resultsILi112EEvPKfPK15HIP_vector_typeIfLj2EEPfi: ; @_ZL26flash_attn_combine_resultsILi112EEvPKfPK15HIP_vector_typeIfLj2EEPfi
; %bb.0:
	s_load_dwordx2 s[12:13], s[4:5], 0x20
	s_load_dword s9, s[4:5], 0x18
	s_load_dwordx4 s[0:3], s[4:5], 0x0
	s_load_dwordx2 s[10:11], s[4:5], 0x10
	v_lshlrev_b32_e32 v4, 2, v0
	s_waitcnt lgkmcnt(0)
	s_mul_i32 s4, s12, s8
	s_add_i32 s4, s4, s6
	s_mul_i32 s8, s4, s13
	s_add_i32 s8, s8, s7
	s_lshl_b32 s12, s9, 1
	s_mul_i32 s4, s8, s9
	v_cmp_gt_i32_e32 vcc, s12, v0
	s_and_saveexec_b64 s[6:7], vcc
	s_cbranch_execz .LBB4_3
; %bb.1:
	s_ashr_i32 s5, s4, 31
	s_lshl_b64 s[14:15], s[4:5], 3
	s_add_u32 s2, s2, s14
	s_addc_u32 s3, s3, s15
	v_mov_b32_e32 v2, s3
	v_add_co_u32_e32 v1, vcc, s2, v4
	v_addc_co_u32_e32 v2, vcc, 0, v2, vcc
	v_add_u32_e32 v3, 0, v4
	s_mov_b64 s[2:3], 0
	v_mov_b32_e32 v5, v0
.LBB4_2:                                ; =>This Inner Loop Header: Depth=1
	global_load_dword v6, v[1:2], off
	v_add_co_u32_e32 v1, vcc, 0x1c0, v1
	v_add_u32_e32 v5, 0x70, v5
	v_addc_co_u32_e32 v2, vcc, 0, v2, vcc
	v_cmp_le_i32_e32 vcc, s12, v5
	s_or_b64 s[2:3], vcc, s[2:3]
	s_waitcnt vmcnt(0)
	ds_write_b32 v3, v6
	v_add_u32_e32 v3, 0x1c0, v3
	s_andn2_b64 exec, exec, s[2:3]
	s_cbranch_execnz .LBB4_2
.LBB4_3:
	s_or_b64 exec, exec, s[6:7]
	v_mov_b32_e32 v1, 0
	s_waitcnt lgkmcnt(0)
	s_barrier
	ds_read_b32 v5, v1
	s_cmp_lt_i32 s9, 2
	s_cbranch_scc1 .LBB4_11
; %bb.4:
	s_add_i32 s2, s9, -1
	s_add_i32 s3, s9, -2
	s_cmp_lt_u32 s3, 7
	s_cbranch_scc1 .LBB4_8
; %bb.5:
	s_mov_b32 s6, 0
	s_add_i32 s3, 0, 8
	s_and_b32 s5, s2, -8
.LBB4_6:                                ; =>This Inner Loop Header: Depth=1
	v_mov_b32_e32 v3, s3
	ds_read2_b32 v[1:2], v3 offset1:2
	ds_read2_b32 v[6:7], v3 offset0:4 offset1:6
	ds_read2_b32 v[8:9], v3 offset0:8 offset1:10
	;; [unrolled: 1-line block ×3, first 2 shown]
	s_mov_b32 s7, s6
	s_waitcnt lgkmcnt(3)
	v_max3_f32 v1, v5, v1, v2
	s_waitcnt lgkmcnt(2)
	v_max3_f32 v1, v1, v6, v7
	s_add_i32 s3, s3, 64
	s_add_i32 s6, s6, 8
	s_waitcnt lgkmcnt(1)
	v_max3_f32 v1, v1, v8, v9
	s_cmp_eq_u32 s5, s6
	s_waitcnt lgkmcnt(0)
	v_max3_f32 v5, v1, v10, v11
	s_cbranch_scc0 .LBB4_6
; %bb.7:
	s_add_i32 s3, s7, 9
	s_and_b32 s2, s2, 7
	s_cmp_eq_u32 s2, 0
	s_cbranch_scc0 .LBB4_9
	s_branch .LBB4_11
.LBB4_8:
	s_mov_b32 s3, 1
	s_and_b32 s2, s2, 7
	s_cmp_eq_u32 s2, 0
	s_cbranch_scc1 .LBB4_11
.LBB4_9:
	s_lshl_b32 s3, s3, 3
	s_add_i32 s3, s3, 0
.LBB4_10:                               ; =>This Inner Loop Header: Depth=1
	v_mov_b32_e32 v1, s3
	ds_read_b32 v1, v1
	s_waitcnt lgkmcnt(1)
	v_max_f32_e32 v2, v5, v5
	s_add_i32 s3, s3, 8
	s_add_i32 s2, s2, -1
	s_cmp_lg_u32 s2, 0
	s_waitcnt lgkmcnt(0)
	v_max_f32_e32 v1, v1, v1
	v_max_f32_e32 v5, v2, v1
	s_cbranch_scc1 .LBB4_10
.LBB4_11:
	s_cmp_lt_i32 s9, 1
	s_cbranch_scc1 .LBB4_16
; %bb.12:
	s_mul_i32 s2, s4, 0x70
	s_ashr_i32 s3, s2, 31
	s_cmp_lt_u32 s9, 8
	s_cbranch_scc1 .LBB4_17
; %bb.13:
	s_lshl_b64 s[6:7], s[2:3], 2
	s_add_u32 s5, s0, s6
	s_addc_u32 s14, s1, s7
	s_and_b32 s4, s9, 0x7ffffff8
	v_add_u32_e32 v1, 0x1c0, v0
	s_mov_b32 s6, 0
	v_mov_b32_e32 v3, 0
	v_mov_b32_e32 v6, 0
	s_mov_b32 s7, 0x3fb8aa3b
	s_mov_b32 s12, 0xc2ce8ed0
	;; [unrolled: 1-line block ×3, first 2 shown]
	v_mov_b32_e32 v8, 0x7f800000
	v_mov_b32_e32 v9, s14
	s_mov_b32 s14, 0
	v_mov_b32_e32 v7, 0
.LBB4_14:                               ; =>This Inner Loop Header: Depth=1
	v_mov_b32_e32 v16, s6
	ds_read2_b64 v[10:13], v16 offset1:1
	s_add_i32 s14, s14, 8
	s_add_i32 s6, s6, 64
	s_cmp_eq_u32 s4, s14
	s_waitcnt lgkmcnt(0)
	v_sub_f32_e32 v2, v10, v5
	v_mul_f32_e32 v10, 0x3fb8aa3b, v2
	v_fma_f32 v14, v2, s7, -v10
	v_rndne_f32_e32 v15, v10
	v_fmac_f32_e32 v14, 0x32a5705f, v2
	v_sub_f32_e32 v10, v10, v15
	v_add_f32_e32 v10, v10, v14
	v_exp_f32_e32 v10, v10
	v_cvt_i32_f32_e32 v14, v15
	v_cmp_ngt_f32_e32 vcc, s12, v2
	v_ldexp_f32 v10, v10, v14
	v_cndmask_b32_e32 v10, 0, v10, vcc
	v_cmp_nlt_f32_e32 vcc, s13, v2
	v_add_u32_e32 v2, 0xfffffe40, v1
	v_lshlrev_b64 v[14:15], 2, v[2:3]
	v_cndmask_b32_e32 v10, v8, v10, vcc
	v_add_co_u32_e32 v14, vcc, s5, v14
	v_addc_co_u32_e32 v15, vcc, v9, v15, vcc
	global_load_dword v2, v[14:15], off
	v_fmac_f32_e32 v7, v10, v11
	s_waitcnt vmcnt(0)
	v_fmac_f32_e32 v6, v2, v10
	v_sub_f32_e32 v2, v12, v5
	v_mul_f32_e32 v10, 0x3fb8aa3b, v2
	v_fma_f32 v11, v2, s7, -v10
	v_rndne_f32_e32 v12, v10
	v_fmac_f32_e32 v11, 0x32a5705f, v2
	v_sub_f32_e32 v10, v10, v12
	v_add_f32_e32 v10, v10, v11
	v_exp_f32_e32 v10, v10
	v_cvt_i32_f32_e32 v11, v12
	v_cmp_ngt_f32_e32 vcc, s12, v2
	v_ldexp_f32 v10, v10, v11
	v_cndmask_b32_e32 v10, 0, v10, vcc
	v_cmp_nlt_f32_e32 vcc, s13, v2
	v_add_u32_e32 v2, 0xfffffeb0, v1
	v_cndmask_b32_e32 v12, v8, v10, vcc
	v_lshlrev_b64 v[10:11], 2, v[2:3]
	v_fmac_f32_e32 v7, v12, v13
	v_add_co_u32_e32 v10, vcc, s5, v10
	v_addc_co_u32_e32 v11, vcc, v9, v11, vcc
	global_load_dword v2, v[10:11], off
	s_waitcnt vmcnt(0)
	v_fmac_f32_e32 v6, v2, v12
	ds_read2_b64 v[10:13], v16 offset0:2 offset1:3
	s_waitcnt lgkmcnt(0)
	v_sub_f32_e32 v2, v10, v5
	v_mul_f32_e32 v10, 0x3fb8aa3b, v2
	v_fma_f32 v14, v2, s7, -v10
	v_rndne_f32_e32 v15, v10
	v_fmac_f32_e32 v14, 0x32a5705f, v2
	v_sub_f32_e32 v10, v10, v15
	v_add_f32_e32 v10, v10, v14
	v_exp_f32_e32 v10, v10
	v_cvt_i32_f32_e32 v14, v15
	v_cmp_ngt_f32_e32 vcc, s12, v2
	v_ldexp_f32 v10, v10, v14
	v_cndmask_b32_e32 v10, 0, v10, vcc
	v_cmp_nlt_f32_e32 vcc, s13, v2
	v_add_u32_e32 v2, 0xffffff20, v1
	v_lshlrev_b64 v[14:15], 2, v[2:3]
	v_cndmask_b32_e32 v10, v8, v10, vcc
	v_add_co_u32_e32 v14, vcc, s5, v14
	v_addc_co_u32_e32 v15, vcc, v9, v15, vcc
	global_load_dword v2, v[14:15], off
	v_fmac_f32_e32 v7, v10, v11
	s_waitcnt vmcnt(0)
	v_fmac_f32_e32 v6, v2, v10
	v_sub_f32_e32 v2, v12, v5
	v_mul_f32_e32 v10, 0x3fb8aa3b, v2
	v_fma_f32 v11, v2, s7, -v10
	v_rndne_f32_e32 v12, v10
	v_fmac_f32_e32 v11, 0x32a5705f, v2
	v_sub_f32_e32 v10, v10, v12
	v_add_f32_e32 v10, v10, v11
	v_exp_f32_e32 v10, v10
	v_cvt_i32_f32_e32 v11, v12
	v_cmp_ngt_f32_e32 vcc, s12, v2
	v_ldexp_f32 v10, v10, v11
	v_cndmask_b32_e32 v10, 0, v10, vcc
	v_cmp_nlt_f32_e32 vcc, s13, v2
	v_add_u32_e32 v2, 0xffffff90, v1
	v_cndmask_b32_e32 v12, v8, v10, vcc
	v_lshlrev_b64 v[10:11], 2, v[2:3]
	v_fmac_f32_e32 v7, v12, v13
	v_add_co_u32_e32 v10, vcc, s5, v10
	v_addc_co_u32_e32 v11, vcc, v9, v11, vcc
	global_load_dword v2, v[10:11], off
	s_waitcnt vmcnt(0)
	v_fmac_f32_e32 v6, v2, v12
	ds_read2_b64 v[10:13], v16 offset0:4 offset1:5
	s_waitcnt lgkmcnt(0)
	v_sub_f32_e32 v2, v10, v5
	v_mul_f32_e32 v10, 0x3fb8aa3b, v2
	v_fma_f32 v14, v2, s7, -v10
	v_rndne_f32_e32 v15, v10
	v_fmac_f32_e32 v14, 0x32a5705f, v2
	v_sub_f32_e32 v10, v10, v15
	v_add_f32_e32 v10, v10, v14
	v_exp_f32_e32 v10, v10
	v_cvt_i32_f32_e32 v14, v15
	v_cmp_ngt_f32_e32 vcc, s12, v2
	v_ldexp_f32 v10, v10, v14
	v_cndmask_b32_e32 v10, 0, v10, vcc
	v_cmp_nlt_f32_e32 vcc, s13, v2
	v_mov_b32_e32 v2, v3
	v_lshlrev_b64 v[14:15], 2, v[1:2]
	v_cndmask_b32_e32 v10, v8, v10, vcc
	v_add_co_u32_e32 v14, vcc, s5, v14
	v_addc_co_u32_e32 v15, vcc, v9, v15, vcc
	global_load_dword v2, v[14:15], off
	v_fmac_f32_e32 v7, v10, v11
	s_waitcnt vmcnt(0)
	v_fmac_f32_e32 v6, v2, v10
	v_sub_f32_e32 v2, v12, v5
	v_mul_f32_e32 v10, 0x3fb8aa3b, v2
	v_fma_f32 v11, v2, s7, -v10
	v_rndne_f32_e32 v12, v10
	v_fmac_f32_e32 v11, 0x32a5705f, v2
	v_sub_f32_e32 v10, v10, v12
	v_add_f32_e32 v10, v10, v11
	v_exp_f32_e32 v10, v10
	v_cvt_i32_f32_e32 v11, v12
	v_cmp_ngt_f32_e32 vcc, s12, v2
	v_ldexp_f32 v10, v10, v11
	v_cndmask_b32_e32 v10, 0, v10, vcc
	v_cmp_nlt_f32_e32 vcc, s13, v2
	v_add_u32_e32 v2, 0x70, v1
	v_cndmask_b32_e32 v12, v8, v10, vcc
	v_lshlrev_b64 v[10:11], 2, v[2:3]
	v_fmac_f32_e32 v7, v12, v13
	v_add_co_u32_e32 v10, vcc, s5, v10
	v_addc_co_u32_e32 v11, vcc, v9, v11, vcc
	global_load_dword v2, v[10:11], off
	s_waitcnt vmcnt(0)
	v_fmac_f32_e32 v6, v2, v12
	ds_read2_b64 v[10:13], v16 offset0:6 offset1:7
	s_waitcnt lgkmcnt(0)
	v_sub_f32_e32 v2, v10, v5
	v_mul_f32_e32 v10, 0x3fb8aa3b, v2
	v_fma_f32 v14, v2, s7, -v10
	v_rndne_f32_e32 v15, v10
	v_fmac_f32_e32 v14, 0x32a5705f, v2
	v_sub_f32_e32 v10, v10, v15
	v_add_f32_e32 v10, v10, v14
	v_exp_f32_e32 v10, v10
	v_cvt_i32_f32_e32 v14, v15
	v_cmp_ngt_f32_e32 vcc, s12, v2
	v_ldexp_f32 v10, v10, v14
	v_cndmask_b32_e32 v10, 0, v10, vcc
	v_cmp_nlt_f32_e32 vcc, s13, v2
	v_add_u32_e32 v2, 0xe0, v1
	v_lshlrev_b64 v[14:15], 2, v[2:3]
	v_cndmask_b32_e32 v10, v8, v10, vcc
	v_add_co_u32_e32 v14, vcc, s5, v14
	v_addc_co_u32_e32 v15, vcc, v9, v15, vcc
	global_load_dword v2, v[14:15], off
	v_fmac_f32_e32 v7, v10, v11
	s_waitcnt vmcnt(0)
	v_fmac_f32_e32 v6, v2, v10
	v_sub_f32_e32 v2, v12, v5
	v_mul_f32_e32 v10, 0x3fb8aa3b, v2
	v_fma_f32 v11, v2, s7, -v10
	v_rndne_f32_e32 v12, v10
	v_fmac_f32_e32 v11, 0x32a5705f, v2
	v_sub_f32_e32 v10, v10, v12
	v_add_f32_e32 v10, v10, v11
	v_exp_f32_e32 v10, v10
	v_cvt_i32_f32_e32 v11, v12
	v_cmp_ngt_f32_e32 vcc, s12, v2
	v_ldexp_f32 v10, v10, v11
	v_cndmask_b32_e32 v10, 0, v10, vcc
	v_cmp_nlt_f32_e32 vcc, s13, v2
	v_add_u32_e32 v2, 0x150, v1
	v_cndmask_b32_e32 v12, v8, v10, vcc
	v_lshlrev_b64 v[10:11], 2, v[2:3]
	v_fmac_f32_e32 v7, v12, v13
	v_add_co_u32_e32 v10, vcc, s5, v10
	v_addc_co_u32_e32 v11, vcc, v9, v11, vcc
	global_load_dword v2, v[10:11], off
	v_add_u32_e32 v1, 0x380, v1
	s_waitcnt vmcnt(0)
	v_fmac_f32_e32 v6, v2, v12
	s_cbranch_scc0 .LBB4_14
; %bb.15:
	s_and_b32 s5, s9, 7
	s_cmp_eq_u32 s5, 0
	s_cbranch_scc0 .LBB4_18
	s_branch .LBB4_20
.LBB4_16:
	v_mov_b32_e32 v0, 0x7fc00000
	s_branch .LBB4_21
.LBB4_17:
	s_mov_b32 s4, 0
	v_mov_b32_e32 v6, 0
	v_mov_b32_e32 v7, 0
	s_and_b32 s5, s9, 7
	s_cmp_eq_u32 s5, 0
	s_cbranch_scc1 .LBB4_20
.LBB4_18:
	s_mul_i32 s6, s4, 0x70
	s_lshl_b64 s[2:3], s[2:3], 2
	v_add_u32_e32 v0, s6, v0
	v_mov_b32_e32 v1, 0
	v_lshlrev_b64 v[0:1], 2, v[0:1]
	s_add_u32 s0, s0, s2
	s_addc_u32 s1, s1, s3
	v_mov_b32_e32 v2, s1
	v_add_co_u32_e32 v0, vcc, s0, v0
	s_lshl_b32 s0, s4, 3
	v_addc_co_u32_e32 v1, vcc, v2, v1, vcc
	s_add_i32 s0, s0, 0
	s_mov_b32 s1, 0x3fb8aa3b
	s_mov_b32 s2, 0xc2ce8ed0
	;; [unrolled: 1-line block ×3, first 2 shown]
	v_mov_b32_e32 v2, 0x7f800000
.LBB4_19:                               ; =>This Inner Loop Header: Depth=1
	global_load_dword v3, v[0:1], off
	v_mov_b32_e32 v8, s0
	ds_read_b64 v[8:9], v8
	v_add_co_u32_e32 v0, vcc, 0x1c0, v0
	v_addc_co_u32_e32 v1, vcc, 0, v1, vcc
	s_waitcnt lgkmcnt(0)
	v_sub_f32_e32 v8, v8, v5
	v_mul_f32_e32 v10, 0x3fb8aa3b, v8
	v_fma_f32 v11, v8, s1, -v10
	v_rndne_f32_e32 v12, v10
	v_fmac_f32_e32 v11, 0x32a5705f, v8
	v_sub_f32_e32 v10, v10, v12
	v_add_f32_e32 v10, v10, v11
	v_cvt_i32_f32_e32 v12, v12
	v_exp_f32_e32 v10, v10
	v_cmp_ngt_f32_e32 vcc, s2, v8
	s_add_i32 s0, s0, 8
	s_add_i32 s5, s5, -1
	v_ldexp_f32 v10, v10, v12
	v_cndmask_b32_e32 v10, 0, v10, vcc
	v_cmp_nlt_f32_e32 vcc, s3, v8
	v_cndmask_b32_e32 v8, v2, v10, vcc
	s_cmp_lg_u32 s5, 0
	v_fmac_f32_e32 v7, v8, v9
	s_waitcnt vmcnt(0)
	v_fmac_f32_e32 v6, v3, v8
	s_cbranch_scc1 .LBB4_19
.LBB4_20:
	v_div_scale_f32 v0, s[0:1], v7, v7, v6
	v_div_scale_f32 v1, vcc, v6, v7, v6
	v_rcp_f32_e32 v2, v0
	v_fma_f32 v3, -v0, v2, 1.0
	v_fmac_f32_e32 v2, v3, v2
	v_mul_f32_e32 v3, v1, v2
	s_waitcnt lgkmcnt(0)
	v_fma_f32 v5, -v0, v3, v1
	v_fmac_f32_e32 v3, v5, v2
	v_fma_f32 v0, -v0, v3, v1
	v_div_fmas_f32 v0, v0, v2, v3
	v_div_fixup_f32 v0, v0, v7, v6
.LBB4_21:
	s_mul_i32 s0, s8, 0x70
	s_ashr_i32 s1, s0, 31
	s_lshl_b64 s[0:1], s[0:1], 2
	s_add_u32 s0, s10, s0
	s_addc_u32 s1, s11, s1
	global_store_dword v4, v0, s[0:1]
	s_endpgm
	.section	.rodata,"a",@progbits
	.p2align	6, 0x0
	.amdhsa_kernel _ZL26flash_attn_combine_resultsILi112EEvPKfPK15HIP_vector_typeIfLj2EEPfi
		.amdhsa_group_segment_fixed_size 0
		.amdhsa_private_segment_fixed_size 0
		.amdhsa_kernarg_size 288
		.amdhsa_user_sgpr_count 6
		.amdhsa_user_sgpr_private_segment_buffer 1
		.amdhsa_user_sgpr_dispatch_ptr 0
		.amdhsa_user_sgpr_queue_ptr 0
		.amdhsa_user_sgpr_kernarg_segment_ptr 1
		.amdhsa_user_sgpr_dispatch_id 0
		.amdhsa_user_sgpr_flat_scratch_init 0
		.amdhsa_user_sgpr_private_segment_size 0
		.amdhsa_uses_dynamic_stack 0
		.amdhsa_system_sgpr_private_segment_wavefront_offset 0
		.amdhsa_system_sgpr_workgroup_id_x 1
		.amdhsa_system_sgpr_workgroup_id_y 1
		.amdhsa_system_sgpr_workgroup_id_z 1
		.amdhsa_system_sgpr_workgroup_info 0
		.amdhsa_system_vgpr_workitem_id 0
		.amdhsa_next_free_vgpr 17
		.amdhsa_next_free_sgpr 16
		.amdhsa_reserve_vcc 1
		.amdhsa_reserve_flat_scratch 0
		.amdhsa_float_round_mode_32 0
		.amdhsa_float_round_mode_16_64 0
		.amdhsa_float_denorm_mode_32 3
		.amdhsa_float_denorm_mode_16_64 3
		.amdhsa_dx10_clamp 1
		.amdhsa_ieee_mode 1
		.amdhsa_fp16_overflow 0
		.amdhsa_exception_fp_ieee_invalid_op 0
		.amdhsa_exception_fp_denorm_src 0
		.amdhsa_exception_fp_ieee_div_zero 0
		.amdhsa_exception_fp_ieee_overflow 0
		.amdhsa_exception_fp_ieee_underflow 0
		.amdhsa_exception_fp_ieee_inexact 0
		.amdhsa_exception_int_div_zero 0
	.end_amdhsa_kernel
	.section	.text._ZL26flash_attn_combine_resultsILi112EEvPKfPK15HIP_vector_typeIfLj2EEPfi,"axG",@progbits,_ZL26flash_attn_combine_resultsILi112EEvPKfPK15HIP_vector_typeIfLj2EEPfi,comdat
.Lfunc_end4:
	.size	_ZL26flash_attn_combine_resultsILi112EEvPKfPK15HIP_vector_typeIfLj2EEPfi, .Lfunc_end4-_ZL26flash_attn_combine_resultsILi112EEvPKfPK15HIP_vector_typeIfLj2EEPfi
                                        ; -- End function
	.set _ZL26flash_attn_combine_resultsILi112EEvPKfPK15HIP_vector_typeIfLj2EEPfi.num_vgpr, 17
	.set _ZL26flash_attn_combine_resultsILi112EEvPKfPK15HIP_vector_typeIfLj2EEPfi.num_agpr, 0
	.set _ZL26flash_attn_combine_resultsILi112EEvPKfPK15HIP_vector_typeIfLj2EEPfi.numbered_sgpr, 16
	.set _ZL26flash_attn_combine_resultsILi112EEvPKfPK15HIP_vector_typeIfLj2EEPfi.num_named_barrier, 0
	.set _ZL26flash_attn_combine_resultsILi112EEvPKfPK15HIP_vector_typeIfLj2EEPfi.private_seg_size, 0
	.set _ZL26flash_attn_combine_resultsILi112EEvPKfPK15HIP_vector_typeIfLj2EEPfi.uses_vcc, 1
	.set _ZL26flash_attn_combine_resultsILi112EEvPKfPK15HIP_vector_typeIfLj2EEPfi.uses_flat_scratch, 0
	.set _ZL26flash_attn_combine_resultsILi112EEvPKfPK15HIP_vector_typeIfLj2EEPfi.has_dyn_sized_stack, 0
	.set _ZL26flash_attn_combine_resultsILi112EEvPKfPK15HIP_vector_typeIfLj2EEPfi.has_recursion, 0
	.set _ZL26flash_attn_combine_resultsILi112EEvPKfPK15HIP_vector_typeIfLj2EEPfi.has_indirect_call, 0
	.section	.AMDGPU.csdata,"",@progbits
; Kernel info:
; codeLenInByte = 1936
; TotalNumSgprs: 20
; NumVgprs: 17
; ScratchSize: 0
; MemoryBound: 0
; FloatMode: 240
; IeeeMode: 1
; LDSByteSize: 0 bytes/workgroup (compile time only)
; SGPRBlocks: 2
; VGPRBlocks: 4
; NumSGPRsForWavesPerEU: 20
; NumVGPRsForWavesPerEU: 17
; Occupancy: 10
; WaveLimiterHint : 0
; COMPUTE_PGM_RSRC2:SCRATCH_EN: 0
; COMPUTE_PGM_RSRC2:USER_SGPR: 6
; COMPUTE_PGM_RSRC2:TRAP_HANDLER: 0
; COMPUTE_PGM_RSRC2:TGID_X_EN: 1
; COMPUTE_PGM_RSRC2:TGID_Y_EN: 1
; COMPUTE_PGM_RSRC2:TGID_Z_EN: 1
; COMPUTE_PGM_RSRC2:TIDIG_COMP_CNT: 0
	.section	.text._ZL15flash_attn_tileILi112ELi112ELi4ELi8ELb0EEvPKcS1_S1_S1_S1_PKiPfP15HIP_vector_typeIfLj2EEffffjfiS5_IjLj3EEiiiiiiiiiiiliiliiiiil,"axG",@progbits,_ZL15flash_attn_tileILi112ELi112ELi4ELi8ELb0EEvPKcS1_S1_S1_S1_PKiPfP15HIP_vector_typeIfLj2EEffffjfiS5_IjLj3EEiiiiiiiiiiiliiliiiiil,comdat
	.globl	_ZL15flash_attn_tileILi112ELi112ELi4ELi8ELb0EEvPKcS1_S1_S1_S1_PKiPfP15HIP_vector_typeIfLj2EEffffjfiS5_IjLj3EEiiiiiiiiiiiliiliiiiil ; -- Begin function _ZL15flash_attn_tileILi112ELi112ELi4ELi8ELb0EEvPKcS1_S1_S1_S1_PKiPfP15HIP_vector_typeIfLj2EEffffjfiS5_IjLj3EEiiiiiiiiiiiliiliiiiil
	.p2align	8
	.type	_ZL15flash_attn_tileILi112ELi112ELi4ELi8ELb0EEvPKcS1_S1_S1_S1_PKiPfP15HIP_vector_typeIfLj2EEffffjfiS5_IjLj3EEiiiiiiiiiiiliiliiiiil,@function
_ZL15flash_attn_tileILi112ELi112ELi4ELi8ELb0EEvPKcS1_S1_S1_S1_PKiPfP15HIP_vector_typeIfLj2EEffffjfiS5_IjLj3EEiiiiiiiiiiiliiliiiiil: ; @_ZL15flash_attn_tileILi112ELi112ELi4ELi8ELb0EEvPKcS1_S1_S1_S1_PKiPfP15HIP_vector_typeIfLj2EEffffjfiS5_IjLj3EEiiiiiiiiiiiliiliiiiil
; %bb.0:
	s_load_dwordx4 s[52:55], s[4:5], 0x5c
	s_load_dwordx2 s[56:57], s[4:5], 0x80
	s_mov_b64 s[66:67], s[2:3]
	s_mov_b64 s[64:65], s[0:1]
	s_add_u32 s64, s64, s9
	s_addc_u32 s65, s65, 0
	s_waitcnt lgkmcnt(0)
	s_ashr_i32 s0, s55, 31
	s_lshr_b32 s0, s0, 29
	s_add_i32 s0, s55, s0
	s_ashr_i32 s0, s0, 3
	v_mov_b32_e32 v23, v0
	v_cvt_f32_u32_e32 v0, s0
	s_sub_i32 s1, 0, s0
	s_load_dwordx16 s[36:51], s[4:5], 0x0
	s_mov_b64 s[58:59], 0
	v_rcp_iflag_f32_e32 v0, v0
	v_mul_f32_e32 v0, 0x4f7ffffe, v0
	v_cvt_u32_f32_e32 v0, v0
	v_readfirstlane_b32 s2, v0
	s_mul_i32 s1, s1, s2
	s_mul_hi_u32 s1, s2, s1
	s_add_i32 s2, s2, s1
	s_mul_hi_u32 s1, s8, s2
	s_mul_i32 s2, s1, s0
	s_sub_i32 s2, s8, s2
	s_add_i32 s3, s1, 1
	s_sub_i32 s9, s2, s0
	s_cmp_ge_u32 s2, s0
	s_cselect_b32 s1, s3, s1
	s_cselect_b32 s2, s9, s2
	s_add_i32 s3, s1, 1
	s_cmp_ge_u32 s2, s0
	s_cselect_b32 s33, s3, s1
	s_abs_i32 s1, s57
	v_cvt_f32_u32_e32 v0, s1
	s_lshl_b32 s0, s8, 3
	s_sub_i32 s8, 0, s1
	s_abs_i32 s3, s55
	v_rcp_iflag_f32_e32 v0, v0
	s_xor_b32 s2, s55, s57
	s_ashr_i32 s2, s2, 31
	v_mul_f32_e32 v0, 0x4f7ffffe, v0
	v_cvt_u32_f32_e32 v0, v0
	v_readfirstlane_b32 s9, v0
	s_mul_i32 s8, s8, s9
	s_mul_hi_u32 s8, s9, s8
	s_add_i32 s9, s9, s8
	s_mul_hi_u32 s8, s3, s9
	s_mul_i32 s9, s8, s1
	s_sub_i32 s3, s3, s9
	s_add_i32 s10, s8, 1
	s_sub_i32 s9, s3, s1
	s_cmp_ge_u32 s3, s1
	s_cselect_b32 s8, s10, s8
	s_cselect_b32 s3, s9, s3
	s_add_i32 s9, s8, 1
	s_cmp_ge_u32 s3, s1
	s_cselect_b32 s1, s9, s8
	s_xor_b32 s1, s1, s2
	s_sub_i32 s11, s1, s2
	s_abs_i32 s10, s11
	v_cvt_f32_u32_e32 v0, s10
	s_load_dwordx2 s[2:3], s[4:5], 0xb8
	s_mul_i32 s1, s33, s55
	s_waitcnt lgkmcnt(0)
	s_cmp_eq_u64 s[42:43], 0
	v_rcp_iflag_f32_e32 v0, v0
	v_mul_f32_e32 v0, 0x4f7ffffe, v0
	v_cvt_u32_f32_e32 v0, v0
	v_readfirstlane_b32 s12, v0
	s_cbranch_scc1 .LBB5_2
; %bb.1:
	s_abs_i32 s2, s2
	v_cvt_f32_u32_e32 v0, s2
	s_sub_i32 s15, 0, s2
	s_abs_i32 s14, s33
	s_ashr_i32 s13, s33, 31
	v_rcp_iflag_f32_e32 v0, v0
	s_load_dwordx2 s[8:9], s[4:5], 0xc8
	v_mul_f32_e32 v0, 0x4f7ffffe, v0
	v_cvt_u32_f32_e32 v0, v0
	v_readfirstlane_b32 s16, v0
	s_mul_i32 s15, s15, s16
	s_mul_hi_u32 s15, s16, s15
	s_add_i32 s16, s16, s15
	s_mul_hi_u32 s15, s14, s16
	s_mul_i32 s15, s15, s2
	s_sub_i32 s14, s14, s15
	s_sub_i32 s15, s14, s2
	s_cmp_ge_u32 s14, s2
	s_cselect_b32 s14, s15, s14
	s_sub_i32 s15, s14, s2
	s_cmp_ge_u32 s14, s2
	s_cselect_b32 s2, s15, s14
	s_xor_b32 s2, s2, s13
	s_sub_i32 s2, s2, s13
	s_ashr_i32 s13, s2, 31
	s_waitcnt lgkmcnt(0)
	s_mul_hi_u32 s14, s8, s2
	s_mul_i32 s13, s8, s13
	s_mul_i32 s9, s9, s2
	s_add_i32 s13, s14, s13
	s_add_i32 s13, s13, s9
	s_mul_i32 s2, s8, s2
	s_add_u32 s58, s42, s2
	s_addc_u32 s59, s43, s13
.LBB5_2:
	v_lshrrev_b32_e32 v0, 1, v1
	v_lshl_add_u32 v3, s6, 2, v0
	v_mul_hi_u32 v0, s52, v3
	v_lshlrev_b32_e32 v2, 2, v1
	v_lshlrev_b32_e32 v4, 3, v23
	s_sub_i32 s42, s0, s1
	v_add_u32_e32 v0, v3, v0
	v_lshrrev_b32_e32 v0, s53, v0
	v_mul_lo_u32 v0, v0, s54
	v_cmp_gt_u32_e64 s[0:1], 28, v23
	v_lshlrev_b32_e32 v22, 2, v23
	buffer_store_dword v4, off, s[64:67], 0 ; 4-byte Folded Spill
	buffer_store_dword v3, off, s[64:67], 0 offset:104 ; 4-byte Folded Spill
	v_sub_u32_e32 v3, v3, v0
	v_and_b32_e32 v24, 4, v2
	s_and_saveexec_b64 s[8:9], s[0:1]
	s_cbranch_execz .LBB5_4
; %bb.3:
	s_load_dwordx4 s[16:19], s[4:5], 0x70
	v_or_b32_e32 v20, 1, v2
	v_and_b32_e32 v11, 5, v20
	v_lshlrev_b32_e32 v7, 2, v22
	s_waitcnt lgkmcnt(0)
	s_mul_i32 s2, s33, s18
	s_ashr_i32 s15, s2, 31
	s_mul_i32 s13, s42, s17
	s_add_u32 s2, s36, s2
	s_addc_u32 s15, s37, s15
	s_ashr_i32 s18, s13, 31
	s_add_u32 s2, s2, s13
	s_mov_b32 s14, s16
	s_addc_u32 s13, s15, s18
	s_ashr_i32 s15, s16, 31
	s_lshr_b64 s[18:19], s[14:15], 2
	v_mad_u64_u32 v[4:5], s[18:19], s18, v3, 0
	s_lshr_b32 s14, s15, 2
	v_mov_b32_e32 v0, v5
	v_mad_u64_u32 v[5:6], s[14:15], s14, v3, v[0:1]
	s_ashr_i32 s15, s17, 31
	s_mov_b32 s14, s17
	v_lshlrev_b64 v[4:5], 2, v[4:5]
	s_lshr_b64 s[16:17], s[14:15], 2
	v_mov_b32_e32 v0, s13
	v_add_co_u32_e32 v6, vcc, s2, v4
	s_lshr_b32 s2, s15, 2
	v_mad_u64_u32 v[8:9], s[14:15], s16, v11, 0
	v_addc_co_u32_e32 v0, vcc, v0, v5, vcc
	v_mul_lo_u32 v10, s2, v24
	v_mad_u64_u32 v[4:5], s[14:15], s16, v24, 0
	v_add_co_u32_e32 v19, vcc, v6, v7
	v_addc_co_u32_e32 v21, vcc, 0, v0, vcc
	v_mov_b32_e32 v0, v9
	v_or_b32_e32 v5, v5, v10
	v_mad_u64_u32 v[9:10], s[14:15], s2, v11, v[0:1]
	v_or_b32_e32 v0, 2, v2
	v_and_b32_e32 v14, 6, v0
	v_mad_u64_u32 v[12:13], s[14:15], s16, v14, 0
	v_lshlrev_b64 v[4:5], 2, v[4:5]
	v_lshlrev_b64 v[8:9], 2, v[8:9]
	v_mov_b32_e32 v0, v13
	v_mad_u64_u32 v[13:14], s[14:15], s2, v14, v[0:1]
	v_or_b32_e32 v0, 3, v2
	v_and_b32_e32 v18, 7, v0
	v_mad_u64_u32 v[16:17], s[14:15], s16, v18, 0
	v_add_co_u32_e32 v4, vcc, v19, v4
	v_addc_co_u32_e32 v5, vcc, v21, v5, vcc
	v_add_co_u32_e32 v8, vcc, v19, v8
	global_load_dwordx4 v[4:7], v[4:5], off
	v_addc_co_u32_e32 v9, vcc, v21, v9, vcc
	v_lshlrev_b64 v[12:13], 2, v[12:13]
	v_mov_b32_e32 v0, v17
	global_load_dwordx4 v[8:11], v[8:9], off
	v_mad_u64_u32 v[17:18], s[14:15], s2, v18, v[0:1]
	v_add_co_u32_e32 v12, vcc, v19, v12
	v_addc_co_u32_e32 v13, vcc, v21, v13, vcc
	global_load_dwordx4 v[12:15], v[12:13], off
	v_lshlrev_b64 v[16:17], 2, v[16:17]
	s_load_dword s2, s[4:5], 0x40
	v_add_co_u32_e32 v16, vcc, v19, v16
	v_addc_co_u32_e32 v17, vcc, v21, v17, vcc
	global_load_dwordx4 v[16:19], v[16:17], off
	s_movk_i32 s13, 0x380
	v_lshlrev_b32_e32 v21, 3, v23
	v_mad_u32_u24 v0, v1, s13, v21
	s_movk_i32 s14, 0xe0
	v_mad_u32_u24 v20, v20, s14, v21
	s_waitcnt vmcnt(3) lgkmcnt(0)
	v_fma_mixlo_f16 v4, s2, v4, 0
	v_fma_mixlo_f16 v5, s2, v5, 0
	;; [unrolled: 1-line block ×4, first 2 shown]
	v_lshlrev_b32_e32 v5, 16, v5
	s_waitcnt vmcnt(2)
	v_fma_mixlo_f16 v8, s2, v8, 0
	v_fma_mixlo_f16 v9, s2, v9, 0
	v_and_b32_e32 v4, 0xffff, v4
	v_lshlrev_b32_e32 v7, 16, v7
	v_and_b32_e32 v6, 0xffff, v6
	v_lshlrev_b32_e32 v9, 16, v9
	v_and_b32_e32 v8, 0xffff, v8
	v_or_b32_e32 v4, v5, v4
	v_or3_b32 v5, v7, v6, 0
	v_or_b32_e32 v6, v9, v8
	v_or3_b32 v4, 0, 0, v4
	ds_write_b64 v0, v[4:5]
	v_or3_b32 v4, 0, 0, v6
	s_waitcnt vmcnt(1)
	v_fma_mixlo_f16 v0, s2, v12, 0
	v_fma_mixlo_f16 v6, s2, v13, 0
	v_lshlrev_b32_e32 v6, 16, v6
	v_and_b32_e32 v0, 0xffff, v0
	v_fma_mixlo_f16 v10, s2, v10, 0
	v_fma_mixlo_f16 v11, s2, v11, 0
	v_or_b32_e32 v0, v6, v0
	v_fma_mixlo_f16 v6, s2, v14, 0
	v_fma_mixlo_f16 v7, s2, v15, 0
	v_lshlrev_b32_e32 v11, 16, v11
	v_and_b32_e32 v10, 0xffff, v10
	v_lshlrev_b32_e32 v7, 16, v7
	v_and_b32_e32 v6, 0xffff, v6
	v_or3_b32 v5, v11, v10, 0
	v_or3_b32 v7, v7, v6, 0
	;; [unrolled: 1-line block ×3, first 2 shown]
	ds_write2_b64 v20, v[4:5], v[6:7] offset1:28
	s_waitcnt vmcnt(0)
	v_fma_mixlo_f16 v0, s2, v16, 0
	v_fma_mixlo_f16 v4, s2, v17, 0
	v_lshlrev_b32_e32 v4, 16, v4
	v_and_b32_e32 v0, 0xffff, v0
	v_or_b32_e32 v0, v4, v0
	v_fma_mixlo_f16 v4, s2, v18, 0
	v_fma_mixlo_f16 v5, s2, v19, 0
	v_lshlrev_b32_e32 v5, 16, v5
	v_and_b32_e32 v4, 0xffff, v4
	v_or3_b32 v5, v5, v4, 0
	v_or3_b32 v4, 0, 0, v0
	ds_write_b64 v20, v[4:5] offset:448
.LBB5_4:
	s_or_b64 exec, exec, s[8:9]
	s_cmp_eq_u64 s[46:47], 0
	s_waitcnt vmcnt(0) lgkmcnt(0)
	s_barrier
	s_cbranch_scc1 .LBB5_6
; %bb.5:
	s_load_dword s2, s[4:5], 0xd0
	s_mov_b32 s9, 0
	s_waitcnt lgkmcnt(0)
	s_mul_i32 s2, s2, s33
	s_add_i32 s8, s2, s6
	s_lshl_b64 s[8:9], s[8:9], 2
	s_add_u32 s8, s46, s8
	s_addc_u32 s9, s47, s9
	s_load_dword s56, s[8:9], 0x0
.LBB5_6:
	s_lshl_b32 s6, s7, 5
	s_waitcnt lgkmcnt(0)
	s_cmp_lt_i32 s6, s56
	v_mbcnt_lo_u32_b32 v4, -1, 0
	buffer_store_dword v24, off, s[64:67], 0 offset:108 ; 4-byte Folded Spill
	s_cbranch_scc1 .LBB5_8
; %bb.7:
	v_mbcnt_hi_u32_b32 v93, -1, v4
	v_and_b32_e32 v0, 0x60, v93
	v_add_u32_e32 v117, 32, v0
	v_xor_b32_e32 v0, 8, v93
	v_xor_b32_e32 v116, 16, v93
	buffer_store_dword v0, off, s[64:67], 0 offset:12 ; 4-byte Folded Spill
	v_xor_b32_e32 v0, 4, v93
	v_xor_b32_e32 v114, 2, v93
	;; [unrolled: 1-line block ×3, first 2 shown]
	s_mov_b64 s[8:9], 0
	buffer_store_dword v0, off, s[64:67], 0 offset:16 ; 4-byte Folded Spill
	s_branch .LBB5_9
.LBB5_8:
                                        ; implicit-def: $vgpr0
	s_mov_b64 s[8:9], -1
                                        ; implicit-def: $vgpr93
                                        ; implicit-def: $vgpr117
                                        ; implicit-def: $vgpr116
                                        ; kill: killed $vgpr0
                                        ; implicit-def: $vgpr0
                                        ; kill: killed $vgpr0
                                        ; implicit-def: $vgpr114
                                        ; implicit-def: $vgpr115
.LBB5_9:
	s_andn2_b64 vcc, exec, s[8:9]
	buffer_store_dword v22, off, s[64:67], 0 offset:120 ; 4-byte Folded Spill
	s_nop 0
	buffer_store_dword v23, off, s[64:67], 0 offset:124 ; 4-byte Folded Spill
	buffer_store_dword v23, off, s[64:67], 0 offset:112 ; 4-byte Folded Spill
	s_nop 0
	buffer_store_dword v24, off, s[64:67], 0 offset:116 ; 4-byte Folded Spill
	s_cbranch_vccnz .LBB5_37
; %bb.10:
	s_sub_i32 s2, 0, s10
	s_mul_i32 s2, s2, s12
	s_mul_hi_u32 s2, s12, s2
	s_add_i32 s2, s12, s2
	s_load_dwordx2 s[8:9], s[4:5], 0x8c
	s_load_dwordx4 s[12:15], s[4:5], 0x98
	s_abs_i32 s18, s42
	s_mul_hi_u32 s2, s18, s2
	s_ashr_i32 s19, s42, 31
	s_waitcnt lgkmcnt(0)
	s_ashr_i32 s46, s8, 2
	s_ashr_i32 s43, s14, 2
	s_ashr_i32 s14, s3, 1
	s_ashr_i32 s3, s33, 31
	s_mul_hi_u32 s8, s12, s33
	s_mul_i32 s20, s12, s3
	s_add_i32 s8, s8, s20
	s_mul_i32 s13, s13, s33
	s_ashr_i32 s11, s11, 31
	s_add_i32 s8, s8, s13
	s_mul_i32 s12, s12, s33
	s_add_u32 s12, s38, s12
	s_mul_i32 s13, s2, s10
	s_addc_u32 s8, s39, s8
	s_sub_i32 s13, s18, s13
	s_xor_b32 s11, s19, s11
	s_add_i32 s18, s2, 1
	s_sub_i32 s19, s13, s10
	s_cmp_ge_u32 s13, s10
	s_cselect_b32 s2, s18, s2
	s_cselect_b32 s13, s19, s13
	s_add_i32 s18, s2, 1
	s_cmp_ge_u32 s13, s10
	s_cselect_b32 s2, s18, s2
	s_load_dwordx2 s[16:17], s[4:5], 0xa8
	s_xor_b32 s2, s2, s11
	s_sub_i32 s2, s2, s11
	s_mul_i32 s9, s2, s9
	s_ashr_i32 s10, s9, 31
	s_add_u32 s47, s12, s9
	s_addc_u32 s52, s8, s10
	s_waitcnt lgkmcnt(0)
	s_mul_hi_u32 s8, s16, s33
	s_mul_i32 s3, s16, s3
	s_add_i32 s3, s8, s3
	s_mul_i32 s8, s17, s33
	s_add_i32 s3, s3, s8
	s_mul_i32 s8, s16, s33
	s_add_u32 s8, s40, s8
	s_mul_i32 s2, s2, s15
	s_addc_u32 s3, s41, s3
	s_ashr_i32 s9, s2, 31
	s_add_u32 s40, s8, s2
	v_lshrrev_b32_e32 v5, 1, v23
	v_and_b32_e32 v16, 4, v22
	s_addc_u32 s41, s3, s9
	v_lshl_add_u32 v0, v1, 5, v23
	v_lshl_add_u32 v7, v1, 4, v5
	v_lshrrev_b32_e32 v5, 2, v23
	v_lshlrev_b32_e32 v6, 7, v23
	v_lshlrev_b32_e32 v12, 2, v16
	v_and_b32_e32 v17, 12, v22
	v_mad_u64_u32 v[18:19], s[8:9], v3, s14, v[23:24]
	v_mov_b32_e32 v3, 0x2c40
	v_cmp_gt_u32_e32 vcc, 32, v0
	v_lshl_add_u32 v13, v1, 3, v5
	v_mul_lo_u32 v5, s46, v0
	v_mul_u32_u24_e32 v95, 0x380, v1
	v_add_u32_e32 v0, 0x1c60, v6
	v_lshl_or_b32 v9, v7, 7, v12
	v_lshlrev_b32_e32 v14, 2, v17
	v_lshl_add_u32 v100, v1, 8, v3
	v_lshrrev_b32_e32 v1, 3, v23
	buffer_store_dword v0, off, s[64:67], 0 offset:20 ; 4-byte Folded Spill
	v_add_u32_e32 v0, 0x1c40, v9
	v_lshl_or_b32 v11, v13, 7, v14
	v_add_u32_e32 v3, v1, v2
	v_mul_u32_u24_e32 v2, 0xe0, v7
	buffer_store_dword v0, off, s[64:67], 0 offset:24 ; 4-byte Folded Spill
	v_add_u32_e32 v0, 0x1c00, v11
	v_or_b32_e32 v2, v2, v12
	v_cmp_gt_u32_e64 s[2:3], 32, v7
	v_mul_lo_u32 v8, s46, v7
	buffer_store_dword v0, off, s[64:67], 0 offset:28 ; 4-byte Folded Spill
	v_cmp_gt_u32_e64 s[8:9], 16, v7
	v_mul_lo_u32 v1, s43, v7
	v_add_u32_e32 v0, 0x1cc0, v2
	v_mul_u32_u24_e32 v7, 0xe0, v13
	s_movk_i32 s14, 0x1c80
	buffer_store_dword v18, off, s[64:67], 0 offset:32 ; 4-byte Folded Spill
	s_nop 0
	buffer_store_dword v19, off, s[64:67], 0 offset:36 ; 4-byte Folded Spill
	buffer_store_dword v0, off, s[64:67], 0 offset:40 ; 4-byte Folded Spill
	v_add3_u32 v0, v7, v14, s14
	v_add_u32_e32 v94, 0x1c00, v6
	v_ashrrev_i32_e32 v6, 31, v5
	buffer_store_dword v0, off, s[64:67], 0 offset:44 ; 4-byte Folded Spill
	v_and_b32_e32 v0, 28, v22
	s_movk_i32 s15, 0x1c00
	v_cmp_gt_u32_e64 s[12:13], 16, v3
	v_mul_lo_u32 v14, s43, v3
	v_mul_u32_u24_e32 v3, 0xe0, v3
	v_lshlrev_b32_e32 v7, 2, v0
	v_lshlrev_b64 v[5:6], 2, v[5:6]
	v_mul_lo_u32 v10, s46, v13
	buffer_store_dword v0, off, s[64:67], 0 offset:48 ; 4-byte Folded Spill
	v_add3_u32 v0, v3, v7, s15
	v_ashrrev_i32_e32 v9, 31, v8
	buffer_store_dword v0, off, s[64:67], 0 offset:52 ; 4-byte Folded Spill
	buffer_store_dword v5, off, s[64:67], 0 offset:56 ; 4-byte Folded Spill
	s_nop 0
	buffer_store_dword v6, off, s[64:67], 0 offset:60 ; 4-byte Folded Spill
	v_lshlrev_b64 v[5:6], 2, v[8:9]
	v_ashrrev_i32_e32 v11, 31, v10
	buffer_store_dword v5, off, s[64:67], 0 offset:64 ; 4-byte Folded Spill
	s_nop 0
	buffer_store_dword v6, off, s[64:67], 0 offset:68 ; 4-byte Folded Spill
	v_lshlrev_b64 v[5:6], 2, v[10:11]
	v_mul_lo_u32 v12, s43, v13
	v_lshlrev_b32_e32 v0, 2, v16
	v_ashrrev_i32_e32 v2, 31, v1
	buffer_store_dword v5, off, s[64:67], 0 offset:72 ; 4-byte Folded Spill
	s_nop 0
	buffer_store_dword v6, off, s[64:67], 0 offset:76 ; 4-byte Folded Spill
	buffer_store_dword v0, off, s[64:67], 0 offset:4 ; 4-byte Folded Spill
	v_lshlrev_b32_e32 v0, 2, v17
	buffer_store_dword v0, off, s[64:67], 0 offset:8 ; 4-byte Folded Spill
	v_lshlrev_b64 v[0:1], 2, v[1:2]
	v_cmp_gt_u32_e64 s[30:31], 32, v13
	v_cmp_gt_u32_e64 s[10:11], 16, v13
	v_ashrrev_i32_e32 v13, 31, v12
	buffer_store_dword v0, off, s[64:67], 0 offset:80 ; 4-byte Folded Spill
	s_nop 0
	buffer_store_dword v1, off, s[64:67], 0 offset:84 ; 4-byte Folded Spill
	v_lshlrev_b64 v[0:1], 2, v[12:13]
	v_ashrrev_i32_e32 v15, 31, v14
	buffer_store_dword v0, off, s[64:67], 0 offset:88 ; 4-byte Folded Spill
	s_nop 0
	buffer_store_dword v1, off, s[64:67], 0 offset:92 ; 4-byte Folded Spill
	s_add_u32 s36, s4, 0xd0
	v_lshlrev_b64 v[0:1], 2, v[14:15]
	v_mov_b32_e32 v92, 0
	s_addc_u32 s37, s5, 0
	v_mov_b32_e32 v7, 0xfeffffff
	s_mov_b32 s53, 0x3fb8aa3b
	s_mov_b32 s57, 0xc2ce8ed0
	s_mov_b32 s60, 0x42b17218
	s_mov_b32 s61, 0x10001
	v_mbcnt_hi_u32_b32 v93, -1, v4
	v_mov_b32_e32 v73, 0x7f800000
	v_mov_b32_e32 v89, 0
	;; [unrolled: 1-line block ×15, first 2 shown]
	buffer_store_dword v0, off, s[64:67], 0 offset:96 ; 4-byte Folded Spill
	s_nop 0
	buffer_store_dword v1, off, s[64:67], 0 offset:100 ; 4-byte Folded Spill
.LBB5_11:                               ; =>This Inner Loop Header: Depth=1
	s_mul_hi_i32 s15, s6, s46
	s_mul_i32 s14, s6, s46
	s_lshl_b64 s[14:15], s[14:15], 2
	s_add_u32 s18, s47, s14
	s_addc_u32 s19, s52, s15
	s_and_saveexec_b64 s[16:17], vcc
	s_cbranch_execnz .LBB5_31
; %bb.12:                               ;   in Loop: Header=BB5_11 Depth=1
	s_or_b64 exec, exec, s[16:17]
	s_and_saveexec_b64 s[16:17], s[2:3]
	s_cbranch_execnz .LBB5_32
.LBB5_13:                               ;   in Loop: Header=BB5_11 Depth=1
	s_or_b64 exec, exec, s[16:17]
	s_and_saveexec_b64 s[16:17], s[30:31]
	s_cbranch_execz .LBB5_15
.LBB5_14:                               ;   in Loop: Header=BB5_11 Depth=1
	buffer_load_dword v2, off, s[64:67], 0 offset:72 ; 4-byte Folded Reload
	buffer_load_dword v3, off, s[64:67], 0 offset:76 ; 4-byte Folded Reload
	;; [unrolled: 1-line block ×3, first 2 shown]
	v_mov_b32_e32 v1, s19
	s_waitcnt vmcnt(2)
	v_add_co_u32_e64 v2, s[14:15], s18, v2
	s_waitcnt vmcnt(1)
	v_addc_co_u32_e64 v3, s[14:15], v1, v3, s[14:15]
	s_waitcnt vmcnt(0)
	v_add_co_u32_e64 v1, s[14:15], v2, v0
	v_addc_co_u32_e64 v2, s[14:15], 0, v3, s[14:15]
	global_load_dwordx4 v[1:4], v[1:2], off
	s_nop 0
	buffer_load_dword v0, off, s[64:67], 0 offset:28 ; 4-byte Folded Reload
	s_waitcnt vmcnt(0)
	ds_write_b128 v0, v[1:4]
.LBB5_15:                               ;   in Loop: Header=BB5_11 Depth=1
	s_or_b64 exec, exec, s[16:17]
	s_waitcnt vmcnt(0) lgkmcnt(0)
	s_barrier
	ds_read_b128 v[9:12], v94
	ds_read_b128 v[13:16], v95
	ds_read_b128 v[17:20], v95 offset:224
	ds_read_b128 v[21:24], v95 offset:448
	;; [unrolled: 1-line block ×3, first 2 shown]
	v_mov_b32_e32 v1, 0
	s_waitcnt lgkmcnt(3)
	;;#ASMSTART
	v_dot2_f32_f16 v1, v9, v13, v1
	;;#ASMEND
	;;#ASMSTART
	v_dot2_f32_f16 v1, v10, v14, v1
	;;#ASMEND
	;;#ASMSTART
	v_dot2_f32_f16 v1, v11, v15, v1
	;;#ASMEND
	v_mov_b32_e32 v2, 0
	;;#ASMSTART
	v_dot2_f32_f16 v1, v12, v16, v1
	;;#ASMEND
	s_waitcnt lgkmcnt(2)
	;;#ASMSTART
	v_dot2_f32_f16 v2, v9, v17, v2
	;;#ASMEND
	;;#ASMSTART
	v_dot2_f32_f16 v2, v10, v18, v2
	;;#ASMEND
	;;#ASMSTART
	v_dot2_f32_f16 v2, v11, v19, v2
	;;#ASMEND
	v_mov_b32_e32 v3, 0
	;;#ASMSTART
	v_dot2_f32_f16 v2, v12, v20, v2
	;;#ASMEND
	s_waitcnt lgkmcnt(1)
	;;#ASMSTART
	v_dot2_f32_f16 v3, v9, v21, v3
	;;#ASMEND
	;;#ASMSTART
	v_dot2_f32_f16 v3, v10, v22, v3
	;;#ASMEND
	;;#ASMSTART
	v_dot2_f32_f16 v3, v11, v23, v3
	;;#ASMEND
	v_mov_b32_e32 v4, 0
	;;#ASMSTART
	v_dot2_f32_f16 v3, v12, v24, v3
	;;#ASMEND
	s_waitcnt lgkmcnt(0)
	;;#ASMSTART
	v_dot2_f32_f16 v4, v9, v25, v4
	;;#ASMEND
	;;#ASMSTART
	v_dot2_f32_f16 v4, v10, v26, v4
	;;#ASMEND
	;;#ASMSTART
	v_dot2_f32_f16 v4, v11, v27, v4
	;;#ASMEND
	;;#ASMSTART
	v_dot2_f32_f16 v4, v12, v28, v4
	;;#ASMEND
	ds_read_b128 v[9:12], v94 offset:16
	ds_read_b128 v[13:16], v95 offset:16
	ds_read_b128 v[17:20], v95 offset:240
	ds_read_b128 v[21:24], v95 offset:464
	ds_read_b128 v[25:28], v95 offset:688
	s_waitcnt lgkmcnt(3)
	;;#ASMSTART
	v_dot2_f32_f16 v1, v9, v13, v1
	;;#ASMEND
	;;#ASMSTART
	v_dot2_f32_f16 v1, v10, v14, v1
	;;#ASMEND
	;;#ASMSTART
	v_dot2_f32_f16 v1, v11, v15, v1
	;;#ASMEND
	;;#ASMSTART
	v_dot2_f32_f16 v1, v12, v16, v1
	;;#ASMEND
	s_waitcnt lgkmcnt(2)
	;;#ASMSTART
	v_dot2_f32_f16 v2, v9, v17, v2
	;;#ASMEND
	;;#ASMSTART
	v_dot2_f32_f16 v2, v10, v18, v2
	;;#ASMEND
	;;#ASMSTART
	v_dot2_f32_f16 v2, v11, v19, v2
	;;#ASMEND
	;;#ASMSTART
	v_dot2_f32_f16 v2, v12, v20, v2
	;;#ASMEND
	s_waitcnt lgkmcnt(1)
	;;#ASMSTART
	v_dot2_f32_f16 v3, v9, v21, v3
	;;#ASMEND
	;;#ASMSTART
	v_dot2_f32_f16 v3, v10, v22, v3
	;;#ASMEND
	;;#ASMSTART
	v_dot2_f32_f16 v3, v11, v23, v3
	;;#ASMEND
	;;#ASMSTART
	v_dot2_f32_f16 v3, v12, v24, v3
	;;#ASMEND
	s_waitcnt lgkmcnt(0)
	;;#ASMSTART
	v_dot2_f32_f16 v4, v9, v25, v4
	;;#ASMEND
	;;#ASMSTART
	v_dot2_f32_f16 v4, v10, v26, v4
	;;#ASMEND
	;;#ASMSTART
	v_dot2_f32_f16 v4, v11, v27, v4
	;;#ASMEND
	;;#ASMSTART
	v_dot2_f32_f16 v4, v12, v28, v4
	;;#ASMEND
	ds_read_b128 v[9:12], v94 offset:32
	ds_read_b128 v[13:16], v95 offset:32
	ds_read_b128 v[17:20], v95 offset:256
	ds_read_b128 v[21:24], v95 offset:480
	ds_read_b128 v[25:28], v95 offset:704
	s_waitcnt lgkmcnt(3)
	;;#ASMSTART
	v_dot2_f32_f16 v1, v9, v13, v1
	;;#ASMEND
	;;#ASMSTART
	v_dot2_f32_f16 v1, v10, v14, v1
	;;#ASMEND
	;;#ASMSTART
	v_dot2_f32_f16 v1, v11, v15, v1
	;;#ASMEND
	;;#ASMSTART
	v_dot2_f32_f16 v1, v12, v16, v1
	;;#ASMEND
	s_waitcnt lgkmcnt(2)
	;;#ASMSTART
	v_dot2_f32_f16 v2, v9, v17, v2
	;;#ASMEND
	;;#ASMSTART
	v_dot2_f32_f16 v2, v10, v18, v2
	;;#ASMEND
	;;#ASMSTART
	v_dot2_f32_f16 v2, v11, v19, v2
	;;#ASMEND
	;;#ASMSTART
	v_dot2_f32_f16 v2, v12, v20, v2
	;;#ASMEND
	s_waitcnt lgkmcnt(1)
	;;#ASMSTART
	v_dot2_f32_f16 v3, v9, v21, v3
	;;#ASMEND
	;;#ASMSTART
	v_dot2_f32_f16 v3, v10, v22, v3
	;;#ASMEND
	;;#ASMSTART
	v_dot2_f32_f16 v3, v11, v23, v3
	;;#ASMEND
	;;#ASMSTART
	v_dot2_f32_f16 v3, v12, v24, v3
	;;#ASMEND
	;; [unrolled: 57-line block ×6, first 2 shown]
	s_waitcnt lgkmcnt(0)
	;;#ASMSTART
	v_dot2_f32_f16 v4, v9, v25, v4
	;;#ASMEND
	;;#ASMSTART
	v_dot2_f32_f16 v4, v10, v26, v4
	;;#ASMEND
	;;#ASMSTART
	v_dot2_f32_f16 v4, v11, v27, v4
	;;#ASMEND
	;;#ASMSTART
	v_dot2_f32_f16 v4, v12, v28, v4
	;;#ASMEND
	s_barrier
	s_and_saveexec_b64 s[16:17], vcc
	s_cbranch_execnz .LBB5_33
; %bb.16:                               ;   in Loop: Header=BB5_11 Depth=1
	s_or_b64 exec, exec, s[16:17]
	s_and_saveexec_b64 s[16:17], s[2:3]
	s_cbranch_execnz .LBB5_34
.LBB5_17:                               ;   in Loop: Header=BB5_11 Depth=1
	s_or_b64 exec, exec, s[16:17]
	s_and_saveexec_b64 s[16:17], s[30:31]
	s_cbranch_execz .LBB5_19
.LBB5_18:                               ;   in Loop: Header=BB5_11 Depth=1
	buffer_load_dword v10, off, s[64:67], 0 offset:72 ; 4-byte Folded Reload
	buffer_load_dword v11, off, s[64:67], 0 offset:76 ; 4-byte Folded Reload
	;; [unrolled: 1-line block ×3, first 2 shown]
	v_mov_b32_e32 v9, s19
	s_waitcnt vmcnt(2)
	v_add_co_u32_e64 v10, s[14:15], s18, v10
	s_waitcnt vmcnt(1)
	v_addc_co_u32_e64 v11, s[14:15], v9, v11, s[14:15]
	s_waitcnt vmcnt(0)
	v_add_co_u32_e64 v9, s[14:15], v10, v0
	v_addc_co_u32_e64 v10, s[14:15], 0, v11, s[14:15]
	global_load_dwordx4 v[9:12], v[9:10], off offset:112
	s_nop 0
	buffer_load_dword v0, off, s[64:67], 0 offset:28 ; 4-byte Folded Reload
	s_waitcnt vmcnt(0)
	ds_write_b128 v0, v[9:12]
.LBB5_19:                               ;   in Loop: Header=BB5_11 Depth=1
	s_or_b64 exec, exec, s[16:17]
	s_waitcnt lgkmcnt(0)
	s_barrier
	ds_read_b128 v[9:12], v94
	ds_read_b128 v[13:16], v95 offset:112
	ds_read_b128 v[17:20], v95 offset:336
	ds_read_b128 v[21:24], v95 offset:560
	ds_read_b128 v[25:28], v95 offset:784
	s_waitcnt lgkmcnt(3)
	;;#ASMSTART
	v_dot2_f32_f16 v1, v9, v13, v1
	;;#ASMEND
	;;#ASMSTART
	v_dot2_f32_f16 v1, v10, v14, v1
	;;#ASMEND
	;;#ASMSTART
	v_dot2_f32_f16 v1, v11, v15, v1
	;;#ASMEND
	;;#ASMSTART
	v_dot2_f32_f16 v1, v12, v16, v1
	;;#ASMEND
	s_waitcnt lgkmcnt(2)
	;;#ASMSTART
	v_dot2_f32_f16 v2, v9, v17, v2
	;;#ASMEND
	;;#ASMSTART
	v_dot2_f32_f16 v2, v10, v18, v2
	;;#ASMEND
	;;#ASMSTART
	v_dot2_f32_f16 v2, v11, v19, v2
	;;#ASMEND
	;;#ASMSTART
	v_dot2_f32_f16 v2, v12, v20, v2
	;;#ASMEND
	s_waitcnt lgkmcnt(1)
	;;#ASMSTART
	v_dot2_f32_f16 v3, v9, v21, v3
	;;#ASMEND
	;;#ASMSTART
	v_dot2_f32_f16 v3, v10, v22, v3
	;;#ASMEND
	;;#ASMSTART
	v_dot2_f32_f16 v3, v11, v23, v3
	;;#ASMEND
	;;#ASMSTART
	v_dot2_f32_f16 v3, v12, v24, v3
	;;#ASMEND
	s_waitcnt lgkmcnt(0)
	;;#ASMSTART
	v_dot2_f32_f16 v4, v9, v25, v4
	;;#ASMEND
	;;#ASMSTART
	v_dot2_f32_f16 v4, v10, v26, v4
	;;#ASMEND
	;;#ASMSTART
	v_dot2_f32_f16 v4, v11, v27, v4
	;;#ASMEND
	;;#ASMSTART
	v_dot2_f32_f16 v4, v12, v28, v4
	;;#ASMEND
	ds_read_b128 v[9:12], v94 offset:16
	ds_read_b128 v[13:16], v95 offset:128
	ds_read_b128 v[17:20], v95 offset:352
	ds_read_b128 v[21:24], v95 offset:576
	ds_read_b128 v[25:28], v95 offset:800
	s_waitcnt lgkmcnt(3)
	;;#ASMSTART
	v_dot2_f32_f16 v1, v9, v13, v1
	;;#ASMEND
	;;#ASMSTART
	v_dot2_f32_f16 v1, v10, v14, v1
	;;#ASMEND
	;;#ASMSTART
	v_dot2_f32_f16 v1, v11, v15, v1
	;;#ASMEND
	;;#ASMSTART
	v_dot2_f32_f16 v1, v12, v16, v1
	;;#ASMEND
	s_waitcnt lgkmcnt(2)
	;;#ASMSTART
	v_dot2_f32_f16 v2, v9, v17, v2
	;;#ASMEND
	;;#ASMSTART
	v_dot2_f32_f16 v2, v10, v18, v2
	;;#ASMEND
	;;#ASMSTART
	v_dot2_f32_f16 v2, v11, v19, v2
	;;#ASMEND
	;;#ASMSTART
	v_dot2_f32_f16 v2, v12, v20, v2
	;;#ASMEND
	s_waitcnt lgkmcnt(1)
	;;#ASMSTART
	v_dot2_f32_f16 v3, v9, v21, v3
	;;#ASMEND
	;;#ASMSTART
	v_dot2_f32_f16 v3, v10, v22, v3
	;;#ASMEND
	;;#ASMSTART
	v_dot2_f32_f16 v3, v11, v23, v3
	;;#ASMEND
	;;#ASMSTART
	v_dot2_f32_f16 v3, v12, v24, v3
	;;#ASMEND
	s_waitcnt lgkmcnt(0)
	;;#ASMSTART
	v_dot2_f32_f16 v4, v9, v25, v4
	;;#ASMEND
	;;#ASMSTART
	v_dot2_f32_f16 v4, v10, v26, v4
	;;#ASMEND
	;;#ASMSTART
	v_dot2_f32_f16 v4, v11, v27, v4
	;;#ASMEND
	;;#ASMSTART
	v_dot2_f32_f16 v4, v12, v28, v4
	;;#ASMEND
	ds_read_b128 v[9:12], v94 offset:32
	;; [unrolled: 57-line block ×6, first 2 shown]
	ds_read_b128 v[13:16], v95 offset:208
	ds_read_b128 v[17:20], v95 offset:432
	;; [unrolled: 1-line block ×4, first 2 shown]
	s_waitcnt lgkmcnt(3)
	;;#ASMSTART
	v_dot2_f32_f16 v1, v9, v13, v1
	;;#ASMEND
	;;#ASMSTART
	v_dot2_f32_f16 v1, v10, v14, v1
	;;#ASMEND
	;;#ASMSTART
	v_dot2_f32_f16 v1, v11, v15, v1
	;;#ASMEND
	;;#ASMSTART
	v_dot2_f32_f16 v1, v12, v16, v1
	;;#ASMEND
	s_waitcnt lgkmcnt(2)
	;;#ASMSTART
	v_dot2_f32_f16 v2, v9, v17, v2
	;;#ASMEND
	;;#ASMSTART
	v_dot2_f32_f16 v2, v10, v18, v2
	;;#ASMEND
	;;#ASMSTART
	v_dot2_f32_f16 v2, v11, v19, v2
	;;#ASMEND
	;;#ASMSTART
	v_dot2_f32_f16 v2, v12, v20, v2
	;;#ASMEND
	;; [unrolled: 13-line block ×4, first 2 shown]
	buffer_load_dword v9, off, s[64:67], 0 offset:32 ; 4-byte Folded Reload
	buffer_load_dword v10, off, s[64:67], 0 offset:36 ; 4-byte Folded Reload
	v_mov_b32_e32 v11, s59
	v_xor_b32_e32 v116, 16, v93
	v_max_f32_e32 v12, v8, v8
	v_max_f32_e32 v13, v6, v6
	;; [unrolled: 1-line block ×3, first 2 shown]
	v_xor_b32_e32 v0, 8, v93
	v_xor_b32_e32 v16, 4, v93
	buffer_store_dword v0, off, s[64:67], 0 offset:12 ; 4-byte Folded Spill
	buffer_store_dword v16, off, s[64:67], 0 offset:16 ; 4-byte Folded Spill
	v_xor_b32_e32 v114, 2, v93
	v_xor_b32_e32 v115, 1, v93
	s_mul_hi_i32 s35, s6, s43
	s_mul_i32 s34, s6, s43
	s_lshl_b64 s[34:35], s[34:35], 2
	s_add_u32 s62, s40, s34
	s_addc_u32 s63, s41, s35
	s_waitcnt vmcnt(3)
	v_add_u32_e32 v9, s6, v9
	s_waitcnt vmcnt(2)
	v_ashrrev_i32_e32 v10, 31, v9
	v_lshlrev_b64 v[9:10], 1, v[9:10]
	v_add_co_u32_e64 v9, s[14:15], s58, v9
	v_addc_co_u32_e64 v10, s[14:15], v11, v10, s[14:15]
	global_load_ushort v9, v[9:10], off
	v_and_b32_e32 v10, 0x60, v93
	v_add_u32_e32 v117, 32, v10
	v_cmp_lt_i32_e64 s[14:15], v116, v117
	v_max_f32_e32 v11, v7, v7
	v_cndmask_b32_e64 v10, v93, v116, s[14:15]
	v_lshlrev_b32_e32 v10, 2, v10
	v_cmp_lt_i32_e64 s[14:15], v0, v117
	v_cndmask_b32_e64 v15, v93, v0, s[14:15]
	v_lshlrev_b32_e32 v15, 2, v15
	v_cmp_lt_i32_e64 s[14:15], v16, v117
	v_cndmask_b32_e64 v16, v93, v16, s[14:15]
	s_waitcnt vmcnt(0)
	s_barrier
	buffer_load_dword v0, off, s[64:67], 0  ; 4-byte Folded Reload
	v_lshlrev_b32_e32 v16, 2, v16
	v_cmp_lt_i32_e64 s[14:15], v114, v117
	v_cndmask_b32_e64 v17, v93, v114, s[14:15]
	v_cmp_lt_i32_e64 s[14:15], v115, v117
	v_cndmask_b32_e64 v18, v93, v115, s[14:15]
	v_cvt_f32_f16_e32 v9, v9
	v_add_f32_e32 v19, v1, v9
	v_add_f32_e32 v20, v2, v9
	;; [unrolled: 1-line block ×8, first 2 shown]
	v_max_f32_e32 v1, v11, v1
	v_max_f32_e32 v2, v12, v2
	v_max_f32_e32 v3, v13, v3
	v_max_f32_e32 v4, v14, v4
	ds_bpermute_b32 v11, v10, v1
	ds_bpermute_b32 v12, v10, v2
	;; [unrolled: 1-line block ×4, first 2 shown]
	v_lshlrev_b32_e32 v14, 2, v17
	s_waitcnt lgkmcnt(3)
	v_max_f32_e32 v11, v11, v11
	v_max_f32_e32 v1, v1, v11
	s_waitcnt lgkmcnt(2)
	v_max_f32_e32 v12, v12, v12
	s_waitcnt lgkmcnt(0)
	v_max_f32_e32 v10, v10, v10
	v_max_f32_e32 v4, v4, v10
	ds_bpermute_b32 v10, v15, v1
	v_max_f32_e32 v2, v2, v12
	ds_bpermute_b32 v11, v15, v2
	v_max_f32_e32 v13, v13, v13
	v_max_f32_e32 v3, v3, v13
	s_waitcnt lgkmcnt(1)
	v_max_f32_e32 v10, v10, v10
	v_max_f32_e32 v1, v1, v10
	ds_bpermute_b32 v10, v16, v1
	s_waitcnt lgkmcnt(1)
	v_max_f32_e32 v11, v11, v11
	v_max_f32_e32 v2, v2, v11
	ds_bpermute_b32 v12, v15, v3
	ds_bpermute_b32 v11, v16, v2
	s_waitcnt lgkmcnt(2)
	v_max_f32_e32 v10, v10, v10
	v_max_f32_e32 v1, v1, v10
	ds_bpermute_b32 v13, v15, v4
	ds_bpermute_b32 v10, v14, v1
	s_waitcnt lgkmcnt(3)
	v_max_f32_e32 v12, v12, v12
	s_waitcnt lgkmcnt(2)
	v_max_f32_e32 v11, v11, v11
	v_max_f32_e32 v3, v3, v12
	s_waitcnt lgkmcnt(1)
	v_max_f32_e32 v13, v13, v13
	;; [unrolled: 3-line block ×3, first 2 shown]
	v_lshlrev_b32_e32 v15, 2, v18
	v_max_f32_e32 v4, v4, v13
	ds_bpermute_b32 v12, v16, v3
	ds_bpermute_b32 v11, v14, v2
	v_max_f32_e32 v1, v1, v10
	ds_bpermute_b32 v13, v16, v4
	ds_bpermute_b32 v10, v15, v1
	s_waitcnt lgkmcnt(3)
	v_max_f32_e32 v12, v12, v12
	s_waitcnt lgkmcnt(2)
	v_max_f32_e32 v11, v11, v11
	v_max_f32_e32 v3, v3, v12
	;; [unrolled: 1-line block ×3, first 2 shown]
	s_waitcnt lgkmcnt(0)
	v_max_f32_e32 v10, v10, v10
	v_max_f32_e32 v11, v13, v13
	;; [unrolled: 1-line block ×3, first 2 shown]
	ds_bpermute_b32 v10, v14, v3
	v_max_f32_e32 v4, v4, v11
	ds_bpermute_b32 v11, v14, v4
	ds_bpermute_b32 v12, v15, v2
	v_sub_f32_e32 v126, v7, v1
	s_waitcnt lgkmcnt(2)
	v_max_f32_e32 v10, v10, v10
	v_max_f32_e32 v3, v3, v10
	s_waitcnt lgkmcnt(1)
	v_max_f32_e32 v11, v11, v11
	ds_bpermute_b32 v10, v15, v3
	v_max_f32_e32 v4, v4, v11
	ds_bpermute_b32 v11, v15, v4
	s_waitcnt lgkmcnt(2)
	v_max_f32_e32 v12, v12, v12
	v_max_f32_e32 v2, v2, v12
	s_waitcnt lgkmcnt(1)
	v_max_f32_e32 v10, v10, v10
	v_max_f32_e32 v3, v3, v10
	;; [unrolled: 3-line block ×3, first 2 shown]
	v_sub_f32_e32 v10, v19, v1
	v_mul_f32_e32 v11, 0x3fb8aa3b, v10
	v_fma_f32 v12, v10, s53, -v11
	v_rndne_f32_e32 v13, v11
	v_fmac_f32_e32 v12, 0x32a5705f, v10
	v_sub_f32_e32 v11, v11, v13
	v_add_f32_e32 v11, v11, v12
	v_exp_f32_e32 v11, v11
	v_cvt_i32_f32_e32 v12, v13
	v_cmp_ngt_f32_e64 s[18:19], s57, v10
	v_sub_f32_e32 v127, v8, v2
	v_sub_f32_e32 v9, v9, v4
	v_ldexp_f32 v7, v11, v12
	v_cndmask_b32_e64 v7, 0, v7, s[18:19]
	v_cmp_nlt_f32_e64 s[18:19], s60, v10
	v_sub_f32_e32 v10, v20, v2
	v_mul_f32_e32 v11, 0x3fb8aa3b, v10
	v_fma_f32 v12, v10, s53, -v11
	v_rndne_f32_e32 v13, v11
	v_fmac_f32_e32 v12, 0x32a5705f, v10
	v_sub_f32_e32 v11, v11, v13
	v_add_f32_e32 v11, v11, v12
	v_exp_f32_e32 v11, v11
	v_cvt_i32_f32_e32 v12, v13
	v_cmp_ngt_f32_e64 s[22:23], s57, v10
	v_sub_f32_e32 v84, v6, v3
	v_sub_f32_e32 v69, v5, v4
	v_ldexp_f32 v8, v11, v12
	v_cndmask_b32_e64 v8, 0, v8, s[22:23]
	v_cmp_nlt_f32_e64 s[22:23], s60, v10
	v_sub_f32_e32 v10, v21, v3
	v_mul_f32_e32 v11, 0x3fb8aa3b, v10
	v_fma_f32 v12, v10, s53, -v11
	v_rndne_f32_e32 v13, v11
	v_fmac_f32_e32 v12, 0x32a5705f, v10
	v_sub_f32_e32 v11, v11, v13
	v_add_f32_e32 v11, v11, v12
	v_exp_f32_e32 v11, v11
	v_cvt_i32_f32_e32 v12, v13
	v_cmp_ngt_f32_e64 s[26:27], s57, v10
	v_cndmask_b32_e64 v119, v73, v7, s[18:19]
	v_cndmask_b32_e64 v118, v73, v8, s[22:23]
	v_ldexp_f32 v6, v11, v12
	v_mul_f32_e32 v11, 0x3fb8aa3b, v9
	v_fma_f32 v12, v9, s53, -v11
	v_rndne_f32_e32 v13, v11
	v_fmac_f32_e32 v12, 0x32a5705f, v9
	v_sub_f32_e32 v11, v11, v13
	v_add_f32_e32 v11, v11, v12
	v_exp_f32_e32 v11, v11
	v_cvt_i32_f32_e32 v12, v13
	v_cndmask_b32_e64 v6, 0, v6, s[26:27]
	v_cmp_nlt_f32_e64 s[26:27], s60, v10
	v_cndmask_b32_e64 v121, v73, v6, s[26:27]
	v_ldexp_f32 v5, v11, v12
	v_cmp_ngt_f32_e64 s[26:27], s57, v9
	v_cndmask_b32_e64 v5, 0, v5, s[26:27]
	v_cmp_nlt_f32_e64 s[26:27], s60, v9
	v_cndmask_b32_e64 v120, v73, v5, s[26:27]
	v_cvt_f16_f32_e32 v7, v119
	v_cvt_f16_f32_e32 v8, v118
	;; [unrolled: 1-line block ×4, first 2 shown]
	v_cmp_ngt_f32_e64 s[14:15], s57, v126
	v_cmp_nlt_f32_e64 s[16:17], s60, v126
	v_cmp_ngt_f32_e64 s[18:19], s57, v127
	v_cmp_nlt_f32_e64 s[20:21], s60, v127
	;; [unrolled: 2-line block ×4, first 2 shown]
	s_waitcnt vmcnt(0)
	v_add_u32_e32 v9, v100, v0
	v_pack_b32_f16 v6, v6, v5
	v_pack_b32_f16 v5, v7, v8
	ds_write_b64 v9, v[5:6]
	s_and_saveexec_b64 s[38:39], s[8:9]
	s_cbranch_execz .LBB5_21
; %bb.20:                               ;   in Loop: Header=BB5_11 Depth=1
	buffer_load_dword v6, off, s[64:67], 0 offset:80 ; 4-byte Folded Reload
	buffer_load_dword v7, off, s[64:67], 0 offset:84 ; 4-byte Folded Reload
	;; [unrolled: 1-line block ×3, first 2 shown]
	v_mov_b32_e32 v5, s63
	s_waitcnt vmcnt(2)
	v_add_co_u32_e64 v6, s[34:35], s62, v6
	s_waitcnt vmcnt(1)
	v_addc_co_u32_e64 v7, s[34:35], v5, v7, s[34:35]
	s_waitcnt vmcnt(0)
	v_add_co_u32_e64 v5, s[34:35], v6, v0
	v_addc_co_u32_e64 v6, s[34:35], 0, v7, s[34:35]
	global_load_dwordx4 v[5:8], v[5:6], off offset:192
	s_nop 0
	buffer_load_dword v0, off, s[64:67], 0 offset:40 ; 4-byte Folded Reload
	s_waitcnt vmcnt(0)
	ds_write_b128 v0, v[5:8]
.LBB5_21:                               ;   in Loop: Header=BB5_11 Depth=1
	s_or_b64 exec, exec, s[38:39]
	s_and_saveexec_b64 s[38:39], s[10:11]
	s_cbranch_execz .LBB5_23
; %bb.22:                               ;   in Loop: Header=BB5_11 Depth=1
	buffer_load_dword v6, off, s[64:67], 0 offset:88 ; 4-byte Folded Reload
	buffer_load_dword v7, off, s[64:67], 0 offset:92 ; 4-byte Folded Reload
	;; [unrolled: 1-line block ×3, first 2 shown]
	v_mov_b32_e32 v5, s63
	s_waitcnt vmcnt(2)
	v_add_co_u32_e64 v6, s[34:35], s62, v6
	s_waitcnt vmcnt(1)
	v_addc_co_u32_e64 v7, s[34:35], v5, v7, s[34:35]
	s_waitcnt vmcnt(0)
	v_add_co_u32_e64 v5, s[34:35], v6, v0
	v_addc_co_u32_e64 v6, s[34:35], 0, v7, s[34:35]
	global_load_dwordx4 v[5:8], v[5:6], off offset:128
	s_nop 0
	buffer_load_dword v0, off, s[64:67], 0 offset:44 ; 4-byte Folded Reload
	s_waitcnt vmcnt(0)
	ds_write_b128 v0, v[5:8]
.LBB5_23:                               ;   in Loop: Header=BB5_11 Depth=1
	s_or_b64 exec, exec, s[38:39]
	buffer_load_dword v0, off, s[64:67], 0 offset:48 ; 4-byte Folded Reload
	s_waitcnt vmcnt(0)
	v_lshlrev_b32_e32 v83, 2, v0
	s_and_saveexec_b64 s[38:39], s[12:13]
	s_cbranch_execz .LBB5_25
; %bb.24:                               ;   in Loop: Header=BB5_11 Depth=1
	buffer_load_dword v6, off, s[64:67], 0 offset:96 ; 4-byte Folded Reload
	buffer_load_dword v7, off, s[64:67], 0 offset:100 ; 4-byte Folded Reload
	v_mov_b32_e32 v5, s63
	buffer_load_dword v0, off, s[64:67], 0 offset:52 ; 4-byte Folded Reload
	s_waitcnt vmcnt(2)
	v_add_co_u32_e64 v6, s[34:35], s62, v6
	s_waitcnt vmcnt(1)
	v_addc_co_u32_e64 v7, s[34:35], v5, v7, s[34:35]
	v_add_co_u32_e64 v5, s[34:35], v6, v83
	v_addc_co_u32_e64 v6, s[34:35], 0, v7, s[34:35]
	global_load_dwordx4 v[5:8], v[5:6], off
	s_waitcnt vmcnt(0)
	ds_write_b128 v0, v[5:8]
.LBB5_25:                               ;   in Loop: Header=BB5_11 Depth=1
	s_or_b64 exec, exec, s[38:39]
	s_waitcnt lgkmcnt(0)
	s_barrier
	buffer_load_dword v0, off, s[64:67], 0  ; 4-byte Folded Reload
	s_or_b32 s34, s6, 16
	s_mul_hi_i32 s35, s34, s43
	s_mul_i32 s34, s34, s43
	s_lshl_b64 s[34:35], s[34:35], 2
	s_add_u32 s62, s40, s34
	s_addc_u32 s63, s41, s35
	s_waitcnt vmcnt(0)
	v_add_u32_e32 v125, 0x1800, v0
	v_add_u32_e32 v124, 0x1c00, v0
	;; [unrolled: 1-line block ×3, first 2 shown]
	ds_read2_b64 v[33:36], v125 offset0:128 offset1:156
	ds_read_b128 v[65:68], v100
	ds_read_b128 v[61:64], v100 offset:16
	ds_read_b128 v[53:56], v100 offset:32
	;; [unrolled: 1-line block ×3, first 2 shown]
	ds_read2_b64 v[29:32], v125 offset0:184 offset1:212
	ds_read2_b64 v[25:28], v124 offset0:112 offset1:140
	;; [unrolled: 1-line block ×5, first 2 shown]
	ds_read_b128 v[57:60], v100 offset:64
	ds_read_b128 v[49:52], v100 offset:80
	ds_read2_b64 v[9:12], v123 offset0:208 offset1:236
	v_add_u32_e32 v0, 0x2800, v0
	ds_read2_b64 v[5:8], v0 offset0:8 offset1:36
	ds_read_b128 v[45:48], v100 offset:96
	ds_read_b128 v[37:40], v100 offset:112
	v_mov_b32_e32 v113, v0
	s_waitcnt lgkmcnt(0)
	s_barrier
	s_and_saveexec_b64 s[38:39], s[8:9]
	s_cbranch_execnz .LBB5_35
; %bb.26:                               ;   in Loop: Header=BB5_11 Depth=1
	s_or_b64 exec, exec, s[38:39]
	s_and_saveexec_b64 s[38:39], s[10:11]
	s_cbranch_execnz .LBB5_36
.LBB5_27:                               ;   in Loop: Header=BB5_11 Depth=1
	s_or_b64 exec, exec, s[38:39]
	s_and_saveexec_b64 s[38:39], s[12:13]
	s_cbranch_execz .LBB5_29
.LBB5_28:                               ;   in Loop: Header=BB5_11 Depth=1
	buffer_load_dword v70, off, s[64:67], 0 offset:96 ; 4-byte Folded Reload
	buffer_load_dword v71, off, s[64:67], 0 offset:100 ; 4-byte Folded Reload
	v_mov_b32_e32 v101, s63
	buffer_load_dword v0, off, s[64:67], 0 offset:52 ; 4-byte Folded Reload
	s_waitcnt vmcnt(2)
	v_add_co_u32_e64 v102, s[34:35], s62, v70
	s_waitcnt vmcnt(1)
	v_addc_co_u32_e64 v103, s[34:35], v101, v71, s[34:35]
	v_add_co_u32_e64 v101, s[34:35], v102, v83
	v_addc_co_u32_e64 v102, s[34:35], 0, v103, s[34:35]
	global_load_dwordx4 v[101:104], v[101:102], off
	s_waitcnt vmcnt(0)
	ds_write_b128 v0, v[101:104]
.LBB5_29:                               ;   in Loop: Header=BB5_11 Depth=1
	s_or_b64 exec, exec, s[38:39]
	v_mul_f32_e32 v83, 0x3fb8aa3b, v126
	v_fma_f32 v101, v126, s53, -v83
	v_rndne_f32_e32 v102, v83
	v_fmac_f32_e32 v101, 0x32a5705f, v126
	v_sub_f32_e32 v83, v83, v102
	v_add_f32_e32 v83, v83, v101
	v_cvt_i32_f32_e32 v101, v102
	v_exp_f32_e32 v83, v83
	v_mul_u32_u24_sdwa v104, v67, s61 dst_sel:DWORD dst_unused:UNUSED_PAD src0_sel:WORD_0 src1_sel:DWORD
	v_mul_u32_u24_sdwa v67, v67, s61 dst_sel:DWORD dst_unused:UNUSED_PAD src0_sel:WORD_1 src1_sel:DWORD
	v_mul_u32_u24_sdwa v126, v64, s61 dst_sel:DWORD dst_unused:UNUSED_PAD src0_sel:WORD_0 src1_sel:DWORD
	v_ldexp_f32 v83, v83, v101
	v_mul_f32_e32 v101, 0x3fb8aa3b, v127
	v_fma_f32 v102, v127, s53, -v101
	v_rndne_f32_e32 v103, v101
	v_fmac_f32_e32 v102, 0x32a5705f, v127
	v_sub_f32_e32 v101, v101, v103
	v_add_f32_e32 v101, v101, v102
	v_exp_f32_e32 v101, v101
	v_cvt_i32_f32_e32 v102, v103
	v_cndmask_b32_e64 v83, 0, v83, s[14:15]
	v_cndmask_b32_e64 v83, v73, v83, s[16:17]
	v_fmac_f32_e32 v119, v111, v83
	v_ldexp_f32 v101, v101, v102
	v_mul_f32_e32 v102, 0x3fb8aa3b, v84
	v_fma_f32 v103, v84, s53, -v102
	v_fmac_f32_e32 v103, 0x32a5705f, v84
	v_rndne_f32_e32 v84, v102
	v_sub_f32_e32 v102, v102, v84
	v_add_f32_e32 v102, v102, v103
	v_exp_f32_e32 v102, v102
	v_cvt_i32_f32_e32 v84, v84
	v_cndmask_b32_e64 v101, 0, v101, s[18:19]
	v_cndmask_b32_e64 v101, v73, v101, s[20:21]
	v_cvt_f16_f32_e32 v83, v83
	v_ldexp_f32 v84, v102, v84
	v_mul_f32_e32 v102, 0x3fb8aa3b, v69
	v_fma_f32 v103, v69, s53, -v102
	v_fmac_f32_e32 v103, 0x32a5705f, v69
	v_rndne_f32_e32 v69, v102
	v_sub_f32_e32 v102, v102, v69
	v_add_f32_e32 v102, v102, v103
	v_exp_f32_e32 v102, v102
	v_cvt_i32_f32_e32 v69, v69
	v_cndmask_b32_e64 v84, 0, v84, s[22:23]
	v_cndmask_b32_e64 v84, v73, v84, s[24:25]
	v_fmac_f32_e32 v118, v110, v101
	v_ldexp_f32 v69, v102, v69
	v_cndmask_b32_e64 v69, 0, v69, s[26:27]
	v_cndmask_b32_e64 v69, v73, v69, s[28:29]
	v_fmac_f32_e32 v120, v108, v69
	v_cvt_f16_f32_e32 v69, v69
	v_fmac_f32_e32 v121, v109, v84
	v_cvt_f16_f32_e32 v101, v101
	v_cvt_f16_f32_e32 v84, v84
	v_mul_u32_u24_e32 v69, 0x10001, v69
	v_mul_u32_u24_sdwa v102, v65, s61 dst_sel:DWORD dst_unused:UNUSED_PAD src0_sel:WORD_0 src1_sel:DWORD
	v_mul_u32_u24_e32 v83, 0x10001, v83
	v_mul_u32_u24_sdwa v65, v65, s61 dst_sel:DWORD dst_unused:UNUSED_PAD src0_sel:WORD_1 src1_sel:DWORD
	v_pk_mul_f16 v89, v89, v69
	v_pk_mul_f16 v69, v92, v69
	;; [unrolled: 1-line block ×3, first 2 shown]
	v_mul_u32_u24_e32 v101, 0x10001, v101
	v_mul_u32_u24_e32 v84, 0x10001, v84
	v_mul_u32_u24_sdwa v103, v66, s61 dst_sel:DWORD dst_unused:UNUSED_PAD src0_sel:WORD_0 src1_sel:DWORD
	v_pk_mul_f16 v98, v98, v83
	v_pk_fma_f16 v83, v112, v83, v92
	v_pk_mul_f16 v92, v33, v65
	v_mul_u32_u24_sdwa v66, v66, s61 dst_sel:DWORD dst_unused:UNUSED_PAD src0_sel:WORD_1 src1_sel:DWORD
	v_pk_mul_f16 v91, v91, v101
	v_pk_mul_f16 v90, v90, v84
	v_pk_fma_f16 v92, v122, v101, v92
	v_pk_mul_f16 v101, v33, v103
	v_mul_u32_u24_sdwa v108, v68, s61 dst_sel:DWORD dst_unused:UNUSED_PAD src0_sel:WORD_0 src1_sel:DWORD
	v_mul_u32_u24_sdwa v68, v68, s61 dst_sel:DWORD dst_unused:UNUSED_PAD src0_sel:WORD_1 src1_sel:DWORD
	v_pk_fma_f16 v84, v107, v84, v101
	v_pk_fma_f16 v33, v33, v66, v89
	;; [unrolled: 1-line block ×6, first 2 shown]
	v_mul_u32_u24_sdwa v109, v61, s61 dst_sel:DWORD dst_unused:UNUSED_PAD src0_sel:WORD_0 src1_sel:DWORD
	v_mul_u32_u24_sdwa v61, v61, s61 dst_sel:DWORD dst_unused:UNUSED_PAD src0_sel:WORD_1 src1_sel:DWORD
	v_mul_u32_u24_sdwa v110, v62, s61 dst_sel:DWORD dst_unused:UNUSED_PAD src0_sel:WORD_0 src1_sel:DWORD
	v_mul_u32_u24_sdwa v62, v62, s61 dst_sel:DWORD dst_unused:UNUSED_PAD src0_sel:WORD_1 src1_sel:DWORD
	v_pk_fma_f16 v66, v35, v104, v83
	v_pk_fma_f16 v69, v35, v67, v92
	;; [unrolled: 1-line block ×8, first 2 shown]
	v_mul_u32_u24_sdwa v111, v63, s61 dst_sel:DWORD dst_unused:UNUSED_PAD src0_sel:WORD_0 src1_sel:DWORD
	v_mul_u32_u24_sdwa v63, v63, s61 dst_sel:DWORD dst_unused:UNUSED_PAD src0_sel:WORD_1 src1_sel:DWORD
	v_mul_u32_u24_sdwa v64, v64, s61 dst_sel:DWORD dst_unused:UNUSED_PAD src0_sel:WORD_1 src1_sel:DWORD
	v_pk_fma_f16 v36, v29, v109, v66
	v_pk_fma_f16 v66, v29, v61, v69
	v_pk_fma_f16 v68, v29, v110, v83
	v_pk_fma_f16 v29, v29, v62, v33
	v_pk_fma_f16 v33, v30, v109, v35
	v_pk_fma_f16 v35, v30, v61, v65
	v_pk_fma_f16 v61, v30, v110, v67
	v_pk_fma_f16 v30, v30, v62, v34
	v_mul_u32_u24_sdwa v127, v53, s61 dst_sel:DWORD dst_unused:UNUSED_PAD src0_sel:WORD_0 src1_sel:DWORD
	v_mul_u32_u24_sdwa v53, v53, s61 dst_sel:DWORD dst_unused:UNUSED_PAD src0_sel:WORD_1 src1_sel:DWORD
	v_mul_u32_u24_sdwa v0, v54, s61 dst_sel:DWORD dst_unused:UNUSED_PAD src0_sel:WORD_0 src1_sel:DWORD
	v_mul_u32_u24_sdwa v54, v54, s61 dst_sel:DWORD dst_unused:UNUSED_PAD src0_sel:WORD_1 src1_sel:DWORD
	v_pk_fma_f16 v34, v31, v111, v36
	v_pk_fma_f16 v36, v31, v63, v66
	v_pk_fma_f16 v62, v31, v126, v68
	v_pk_fma_f16 v29, v31, v64, v29
	v_pk_fma_f16 v31, v32, v111, v33
	v_pk_fma_f16 v33, v32, v63, v35
	v_pk_fma_f16 v35, v32, v126, v61
	v_pk_fma_f16 v30, v32, v64, v30
	v_mul_u32_u24_sdwa v70, v55, s61 dst_sel:DWORD dst_unused:UNUSED_PAD src0_sel:WORD_0 src1_sel:DWORD
	v_mul_u32_u24_sdwa v55, v55, s61 dst_sel:DWORD dst_unused:UNUSED_PAD src0_sel:WORD_1 src1_sel:DWORD
	v_mul_u32_u24_sdwa v96, v56, s61 dst_sel:DWORD dst_unused:UNUSED_PAD src0_sel:WORD_0 src1_sel:DWORD
	;; [unrolled: 12-line block ×12, first 2 shown]
	v_mul_u32_u24_sdwa v40, v40, s61 dst_sel:DWORD dst_unused:UNUSED_PAD src0_sel:WORD_1 src1_sel:DWORD
	v_pk_fma_f16 v12, v5, v85, v14
	v_pk_fma_f16 v14, v5, v37, v16
	;; [unrolled: 1-line block ×16, first 2 shown]
	s_waitcnt lgkmcnt(0)
	s_barrier
	ds_read_b128 v[5:8], v100 offset:128
	ds_read2_b64 v[9:12], v125 offset0:128 offset1:156
	ds_read_b128 v[13:16], v100 offset:144
	ds_read_b128 v[17:20], v100 offset:160
	;; [unrolled: 1-line block ×3, first 2 shown]
	s_waitcnt lgkmcnt(4)
	v_mul_u32_u24_sdwa v32, v5, s61 dst_sel:DWORD dst_unused:UNUSED_PAD src0_sel:WORD_0 src1_sel:DWORD
	v_mul_u32_u24_sdwa v5, v5, s61 dst_sel:DWORD dst_unused:UNUSED_PAD src0_sel:WORD_1 src1_sel:DWORD
	v_mul_u32_u24_sdwa v33, v6, s61 dst_sel:DWORD dst_unused:UNUSED_PAD src0_sel:WORD_0 src1_sel:DWORD
	v_mul_u32_u24_sdwa v6, v6, s61 dst_sel:DWORD dst_unused:UNUSED_PAD src0_sel:WORD_1 src1_sel:DWORD
	s_waitcnt lgkmcnt(3)
	v_pk_fma_f16 v25, v9, v32, v25
	v_pk_fma_f16 v26, v9, v5, v26
	v_pk_fma_f16 v27, v9, v33, v27
	v_pk_fma_f16 v9, v9, v6, v28
	v_pk_fma_f16 v28, v10, v32, v29
	v_pk_fma_f16 v5, v10, v5, v30
	v_pk_fma_f16 v0, v10, v33, v0
	v_pk_fma_f16 v6, v10, v6, v31
	v_mul_u32_u24_sdwa v10, v7, s61 dst_sel:DWORD dst_unused:UNUSED_PAD src0_sel:WORD_0 src1_sel:DWORD
	v_mul_u32_u24_sdwa v7, v7, s61 dst_sel:DWORD dst_unused:UNUSED_PAD src0_sel:WORD_1 src1_sel:DWORD
	v_mul_u32_u24_sdwa v29, v8, s61 dst_sel:DWORD dst_unused:UNUSED_PAD src0_sel:WORD_0 src1_sel:DWORD
	v_mul_u32_u24_sdwa v8, v8, s61 dst_sel:DWORD dst_unused:UNUSED_PAD src0_sel:WORD_1 src1_sel:DWORD
	v_pk_fma_f16 v25, v11, v10, v25
	v_pk_fma_f16 v26, v11, v7, v26
	;; [unrolled: 1-line block ×8, first 2 shown]
	ds_read2_b64 v[5:8], v125 offset0:184 offset1:212
	s_waitcnt lgkmcnt(3)
	v_mul_u32_u24_sdwa v28, v13, s61 dst_sel:DWORD dst_unused:UNUSED_PAD src0_sel:WORD_0 src1_sel:DWORD
	v_mul_u32_u24_sdwa v13, v13, s61 dst_sel:DWORD dst_unused:UNUSED_PAD src0_sel:WORD_1 src1_sel:DWORD
	v_mul_u32_u24_sdwa v29, v14, s61 dst_sel:DWORD dst_unused:UNUSED_PAD src0_sel:WORD_0 src1_sel:DWORD
	v_mul_u32_u24_sdwa v14, v14, s61 dst_sel:DWORD dst_unused:UNUSED_PAD src0_sel:WORD_1 src1_sel:DWORD
	s_waitcnt lgkmcnt(0)
	v_pk_fma_f16 v25, v5, v28, v25
	v_pk_fma_f16 v26, v5, v13, v26
	v_pk_fma_f16 v27, v5, v29, v27
	v_pk_fma_f16 v5, v5, v14, v9
	v_pk_fma_f16 v9, v6, v28, v10
	v_pk_fma_f16 v10, v6, v13, v11
	v_pk_fma_f16 v0, v6, v29, v0
	v_pk_fma_f16 v6, v6, v14, v12
	v_mul_u32_u24_sdwa v11, v15, s61 dst_sel:DWORD dst_unused:UNUSED_PAD src0_sel:WORD_0 src1_sel:DWORD
	v_mul_u32_u24_sdwa v12, v15, s61 dst_sel:DWORD dst_unused:UNUSED_PAD src0_sel:WORD_1 src1_sel:DWORD
	v_mul_u32_u24_sdwa v13, v16, s61 dst_sel:DWORD dst_unused:UNUSED_PAD src0_sel:WORD_0 src1_sel:DWORD
	v_mul_u32_u24_sdwa v14, v16, s61 dst_sel:DWORD dst_unused:UNUSED_PAD src0_sel:WORD_1 src1_sel:DWORD
	v_pk_fma_f16 v15, v7, v11, v25
	v_pk_fma_f16 v16, v7, v12, v26
	v_pk_fma_f16 v25, v7, v13, v27
	v_pk_fma_f16 v26, v7, v14, v5
	v_pk_fma_f16 v9, v8, v11, v9
	v_pk_fma_f16 v10, v8, v12, v10
	v_pk_fma_f16 v0, v8, v13, v0
	v_pk_fma_f16 v11, v8, v14, v6
	ds_read2_b64 v[5:8], v124 offset0:112 offset1:140
	v_mul_u32_u24_sdwa v12, v17, s61 dst_sel:DWORD dst_unused:UNUSED_PAD src0_sel:WORD_0 src1_sel:DWORD
	v_mul_u32_u24_sdwa v13, v17, s61 dst_sel:DWORD dst_unused:UNUSED_PAD src0_sel:WORD_1 src1_sel:DWORD
	v_mul_u32_u24_sdwa v14, v18, s61 dst_sel:DWORD dst_unused:UNUSED_PAD src0_sel:WORD_0 src1_sel:DWORD
	v_mul_u32_u24_sdwa v17, v18, s61 dst_sel:DWORD dst_unused:UNUSED_PAD src0_sel:WORD_1 src1_sel:DWORD
	s_waitcnt lgkmcnt(0)
	v_pk_fma_f16 v15, v5, v12, v15
	v_pk_fma_f16 v16, v5, v13, v16
	;; [unrolled: 1-line block ×8, first 2 shown]
	v_mul_u32_u24_sdwa v11, v19, s61 dst_sel:DWORD dst_unused:UNUSED_PAD src0_sel:WORD_0 src1_sel:DWORD
	v_mul_u32_u24_sdwa v12, v19, s61 dst_sel:DWORD dst_unused:UNUSED_PAD src0_sel:WORD_1 src1_sel:DWORD
	v_mul_u32_u24_sdwa v13, v20, s61 dst_sel:DWORD dst_unused:UNUSED_PAD src0_sel:WORD_0 src1_sel:DWORD
	v_mul_u32_u24_sdwa v14, v20, s61 dst_sel:DWORD dst_unused:UNUSED_PAD src0_sel:WORD_1 src1_sel:DWORD
	v_pk_fma_f16 v15, v7, v11, v15
	v_pk_fma_f16 v16, v7, v12, v16
	;; [unrolled: 1-line block ×8, first 2 shown]
	ds_read2_b64 v[5:8], v123 offset0:40 offset1:68
	v_mul_u32_u24_sdwa v12, v21, s61 dst_sel:DWORD dst_unused:UNUSED_PAD src0_sel:WORD_0 src1_sel:DWORD
	v_mul_u32_u24_sdwa v13, v21, s61 dst_sel:DWORD dst_unused:UNUSED_PAD src0_sel:WORD_1 src1_sel:DWORD
	v_mul_u32_u24_sdwa v14, v22, s61 dst_sel:DWORD dst_unused:UNUSED_PAD src0_sel:WORD_0 src1_sel:DWORD
	v_mul_u32_u24_sdwa v19, v22, s61 dst_sel:DWORD dst_unused:UNUSED_PAD src0_sel:WORD_1 src1_sel:DWORD
	s_waitcnt lgkmcnt(0)
	v_pk_fma_f16 v15, v5, v12, v15
	v_pk_fma_f16 v16, v5, v13, v16
	;; [unrolled: 1-line block ×6, first 2 shown]
	v_mul_u32_u24_sdwa v11, v23, s61 dst_sel:DWORD dst_unused:UNUSED_PAD src0_sel:WORD_0 src1_sel:DWORD
	v_mul_u32_u24_sdwa v12, v23, s61 dst_sel:DWORD dst_unused:UNUSED_PAD src0_sel:WORD_1 src1_sel:DWORD
	v_pk_fma_f16 v17, v5, v14, v17
	v_pk_fma_f16 v5, v5, v19, v18
	;; [unrolled: 1-line block ×6, first 2 shown]
	ds_read_b128 v[9:12], v100 offset:192
	v_mul_u32_u24_sdwa v13, v24, s61 dst_sel:DWORD dst_unused:UNUSED_PAD src0_sel:WORD_0 src1_sel:DWORD
	v_mul_u32_u24_sdwa v14, v24, s61 dst_sel:DWORD dst_unused:UNUSED_PAD src0_sel:WORD_1 src1_sel:DWORD
	v_pk_fma_f16 v17, v7, v13, v17
	v_pk_fma_f16 v20, v7, v14, v5
	;; [unrolled: 1-line block ×4, first 2 shown]
	ds_read2_b64 v[5:8], v123 offset0:96 offset1:124
	ds_read_b128 v[13:16], v100 offset:208
	s_waitcnt lgkmcnt(2)
	v_mul_u32_u24_sdwa v24, v9, s61 dst_sel:DWORD dst_unused:UNUSED_PAD src0_sel:WORD_0 src1_sel:DWORD
	v_mul_u32_u24_sdwa v9, v9, s61 dst_sel:DWORD dst_unused:UNUSED_PAD src0_sel:WORD_1 src1_sel:DWORD
	v_mul_u32_u24_sdwa v25, v10, s61 dst_sel:DWORD dst_unused:UNUSED_PAD src0_sel:WORD_0 src1_sel:DWORD
	v_mul_u32_u24_sdwa v10, v10, s61 dst_sel:DWORD dst_unused:UNUSED_PAD src0_sel:WORD_1 src1_sel:DWORD
	s_waitcnt lgkmcnt(1)
	v_pk_fma_f16 v18, v5, v24, v18
	v_pk_fma_f16 v19, v5, v9, v19
	;; [unrolled: 1-line block ×8, first 2 shown]
	v_mul_u32_u24_sdwa v10, v11, s61 dst_sel:DWORD dst_unused:UNUSED_PAD src0_sel:WORD_0 src1_sel:DWORD
	v_mul_u32_u24_sdwa v11, v11, s61 dst_sel:DWORD dst_unused:UNUSED_PAD src0_sel:WORD_1 src1_sel:DWORD
	v_mul_u32_u24_sdwa v21, v12, s61 dst_sel:DWORD dst_unused:UNUSED_PAD src0_sel:WORD_0 src1_sel:DWORD
	v_mul_u32_u24_sdwa v12, v12, s61 dst_sel:DWORD dst_unused:UNUSED_PAD src0_sel:WORD_1 src1_sel:DWORD
	v_pk_fma_f16 v18, v7, v10, v18
	v_pk_fma_f16 v19, v7, v11, v19
	;; [unrolled: 1-line block ×8, first 2 shown]
	ds_read2_b64 v[5:8], v123 offset0:152 offset1:180
	s_waitcnt lgkmcnt(1)
	v_mul_u32_u24_sdwa v12, v13, s61 dst_sel:DWORD dst_unused:UNUSED_PAD src0_sel:WORD_0 src1_sel:DWORD
	v_mul_u32_u24_sdwa v13, v13, s61 dst_sel:DWORD dst_unused:UNUSED_PAD src0_sel:WORD_1 src1_sel:DWORD
	v_mul_u32_u24_sdwa v20, v14, s61 dst_sel:DWORD dst_unused:UNUSED_PAD src0_sel:WORD_0 src1_sel:DWORD
	v_mul_u32_u24_sdwa v14, v14, s61 dst_sel:DWORD dst_unused:UNUSED_PAD src0_sel:WORD_1 src1_sel:DWORD
	s_waitcnt lgkmcnt(0)
	v_pk_fma_f16 v18, v5, v12, v18
	v_pk_fma_f16 v19, v5, v13, v19
	;; [unrolled: 1-line block ×6, first 2 shown]
	v_mul_u32_u24_sdwa v11, v15, s61 dst_sel:DWORD dst_unused:UNUSED_PAD src0_sel:WORD_0 src1_sel:DWORD
	v_mul_u32_u24_sdwa v12, v15, s61 dst_sel:DWORD dst_unused:UNUSED_PAD src0_sel:WORD_1 src1_sel:DWORD
	v_pk_fma_f16 v17, v5, v20, v17
	v_pk_fma_f16 v5, v5, v14, v22
	;; [unrolled: 1-line block ×6, first 2 shown]
	ds_read_b128 v[9:12], v100 offset:224
	v_mul_u32_u24_sdwa v13, v16, s61 dst_sel:DWORD dst_unused:UNUSED_PAD src0_sel:WORD_0 src1_sel:DWORD
	v_mul_u32_u24_sdwa v14, v16, s61 dst_sel:DWORD dst_unused:UNUSED_PAD src0_sel:WORD_1 src1_sel:DWORD
	v_pk_fma_f16 v17, v7, v13, v17
	v_pk_fma_f16 v20, v7, v14, v5
	;; [unrolled: 1-line block ×4, first 2 shown]
	ds_read2_b64 v[5:8], v123 offset0:208 offset1:236
	ds_read_b128 v[13:16], v100 offset:240
	s_waitcnt lgkmcnt(2)
	v_mul_u32_u24_sdwa v24, v9, s61 dst_sel:DWORD dst_unused:UNUSED_PAD src0_sel:WORD_0 src1_sel:DWORD
	v_mul_u32_u24_sdwa v9, v9, s61 dst_sel:DWORD dst_unused:UNUSED_PAD src0_sel:WORD_1 src1_sel:DWORD
	v_mul_u32_u24_sdwa v25, v10, s61 dst_sel:DWORD dst_unused:UNUSED_PAD src0_sel:WORD_0 src1_sel:DWORD
	v_mul_u32_u24_sdwa v10, v10, s61 dst_sel:DWORD dst_unused:UNUSED_PAD src0_sel:WORD_1 src1_sel:DWORD
	s_waitcnt lgkmcnt(1)
	v_pk_fma_f16 v18, v5, v24, v18
	v_pk_fma_f16 v19, v5, v9, v19
	;; [unrolled: 1-line block ×8, first 2 shown]
	v_mul_u32_u24_sdwa v10, v11, s61 dst_sel:DWORD dst_unused:UNUSED_PAD src0_sel:WORD_0 src1_sel:DWORD
	v_mul_u32_u24_sdwa v11, v11, s61 dst_sel:DWORD dst_unused:UNUSED_PAD src0_sel:WORD_1 src1_sel:DWORD
	v_mul_u32_u24_sdwa v21, v12, s61 dst_sel:DWORD dst_unused:UNUSED_PAD src0_sel:WORD_0 src1_sel:DWORD
	v_mul_u32_u24_sdwa v12, v12, s61 dst_sel:DWORD dst_unused:UNUSED_PAD src0_sel:WORD_1 src1_sel:DWORD
	v_pk_fma_f16 v18, v7, v10, v18
	v_pk_fma_f16 v19, v7, v11, v19
	;; [unrolled: 1-line block ×8, first 2 shown]
	ds_read2_b64 v[5:8], v113 offset0:8 offset1:36
	s_waitcnt lgkmcnt(0)
	s_barrier
	s_load_dword s14, s[36:37], 0x4
	v_mul_u32_u24_sdwa v12, v13, s61 dst_sel:DWORD dst_unused:UNUSED_PAD src0_sel:WORD_0 src1_sel:DWORD
	v_mul_u32_u24_sdwa v13, v13, s61 dst_sel:DWORD dst_unused:UNUSED_PAD src0_sel:WORD_1 src1_sel:DWORD
	v_mul_u32_u24_sdwa v20, v14, s61 dst_sel:DWORD dst_unused:UNUSED_PAD src0_sel:WORD_0 src1_sel:DWORD
	v_mul_u32_u24_sdwa v14, v14, s61 dst_sel:DWORD dst_unused:UNUSED_PAD src0_sel:WORD_1 src1_sel:DWORD
	s_waitcnt lgkmcnt(0)
	s_lshl_b32 s14, s14, 5
	v_pk_fma_f16 v18, v5, v12, v18
	v_pk_fma_f16 v19, v5, v13, v19
	;; [unrolled: 1-line block ×8, first 2 shown]
	v_mul_u32_u24_sdwa v11, v15, s61 dst_sel:DWORD dst_unused:UNUSED_PAD src0_sel:WORD_0 src1_sel:DWORD
	v_mul_u32_u24_sdwa v12, v15, s61 dst_sel:DWORD dst_unused:UNUSED_PAD src0_sel:WORD_1 src1_sel:DWORD
	v_mul_u32_u24_sdwa v13, v16, s61 dst_sel:DWORD dst_unused:UNUSED_PAD src0_sel:WORD_0 src1_sel:DWORD
	v_mul_u32_u24_sdwa v14, v16, s61 dst_sel:DWORD dst_unused:UNUSED_PAD src0_sel:WORD_1 src1_sel:DWORD
	s_add_i32 s6, s14, s6
	v_pk_fma_f16 v112, v7, v11, v18
	v_pk_fma_f16 v122, v7, v12, v19
	;; [unrolled: 1-line block ×7, first 2 shown]
	s_cmp_ge_i32 s6, s56
	v_pk_fma_f16 v92, v8, v14, v6
	s_cbranch_scc1 .LBB5_38
; %bb.30:                               ;   in Loop: Header=BB5_11 Depth=1
	v_mov_b32_e32 v7, v1
	v_mov_b32_e32 v8, v2
	;; [unrolled: 1-line block ×9, first 2 shown]
	s_branch .LBB5_11
.LBB5_31:                               ;   in Loop: Header=BB5_11 Depth=1
	buffer_load_dword v3, off, s[64:67], 0 offset:56 ; 4-byte Folded Reload
	buffer_load_dword v4, off, s[64:67], 0 offset:60 ; 4-byte Folded Reload
	v_mov_b32_e32 v2, s19
	buffer_load_dword v0, off, s[64:67], 0 offset:20 ; 4-byte Folded Reload
	s_waitcnt vmcnt(2)
	v_add_co_u32_e64 v1, s[14:15], s18, v3
	s_waitcnt vmcnt(1)
	v_addc_co_u32_e64 v2, s[14:15], v2, v4, s[14:15]
	global_load_dwordx4 v[1:4], v[1:2], off offset:96
	s_waitcnt vmcnt(0)
	ds_write_b128 v0, v[1:4]
	s_or_b64 exec, exec, s[16:17]
	s_and_saveexec_b64 s[16:17], s[2:3]
	s_cbranch_execz .LBB5_13
.LBB5_32:                               ;   in Loop: Header=BB5_11 Depth=1
	buffer_load_dword v2, off, s[64:67], 0 offset:64 ; 4-byte Folded Reload
	buffer_load_dword v3, off, s[64:67], 0 offset:68 ; 4-byte Folded Reload
	;; [unrolled: 1-line block ×3, first 2 shown]
	v_mov_b32_e32 v1, s19
	s_waitcnt vmcnt(2)
	v_add_co_u32_e64 v2, s[14:15], s18, v2
	s_waitcnt vmcnt(1)
	v_addc_co_u32_e64 v3, s[14:15], v1, v3, s[14:15]
	s_waitcnt vmcnt(0)
	v_add_co_u32_e64 v1, s[14:15], v2, v0
	v_addc_co_u32_e64 v2, s[14:15], 0, v3, s[14:15]
	global_load_dwordx4 v[1:4], v[1:2], off offset:64
	s_nop 0
	buffer_load_dword v0, off, s[64:67], 0 offset:24 ; 4-byte Folded Reload
	s_waitcnt vmcnt(0)
	ds_write_b128 v0, v[1:4]
	s_or_b64 exec, exec, s[16:17]
	s_and_saveexec_b64 s[16:17], s[30:31]
	s_cbranch_execnz .LBB5_14
	s_branch .LBB5_15
.LBB5_33:                               ;   in Loop: Header=BB5_11 Depth=1
	buffer_load_dword v11, off, s[64:67], 0 offset:56 ; 4-byte Folded Reload
	buffer_load_dword v12, off, s[64:67], 0 offset:60 ; 4-byte Folded Reload
	v_mov_b32_e32 v10, s19
	buffer_load_dword v0, off, s[64:67], 0 offset:20 ; 4-byte Folded Reload
	s_waitcnt vmcnt(2)
	v_add_co_u32_e64 v9, s[14:15], s18, v11
	s_waitcnt vmcnt(1)
	v_addc_co_u32_e64 v10, s[14:15], v10, v12, s[14:15]
	global_load_dwordx4 v[9:12], v[9:10], off offset:208
	s_waitcnt vmcnt(0)
	ds_write_b128 v0, v[9:12]
	s_or_b64 exec, exec, s[16:17]
	s_and_saveexec_b64 s[16:17], s[2:3]
	s_cbranch_execz .LBB5_17
.LBB5_34:                               ;   in Loop: Header=BB5_11 Depth=1
	buffer_load_dword v10, off, s[64:67], 0 offset:64 ; 4-byte Folded Reload
	buffer_load_dword v11, off, s[64:67], 0 offset:68 ; 4-byte Folded Reload
	;; [unrolled: 1-line block ×3, first 2 shown]
	v_mov_b32_e32 v9, s19
	s_waitcnt vmcnt(2)
	v_add_co_u32_e64 v10, s[14:15], s18, v10
	s_waitcnt vmcnt(1)
	v_addc_co_u32_e64 v11, s[14:15], v9, v11, s[14:15]
	s_waitcnt vmcnt(0)
	v_add_co_u32_e64 v9, s[14:15], v10, v0
	v_addc_co_u32_e64 v10, s[14:15], 0, v11, s[14:15]
	global_load_dwordx4 v[9:12], v[9:10], off offset:176
	s_nop 0
	buffer_load_dword v0, off, s[64:67], 0 offset:24 ; 4-byte Folded Reload
	s_waitcnt vmcnt(0)
	ds_write_b128 v0, v[9:12]
	s_or_b64 exec, exec, s[16:17]
	s_and_saveexec_b64 s[16:17], s[30:31]
	s_cbranch_execnz .LBB5_18
	s_branch .LBB5_19
.LBB5_35:                               ;   in Loop: Header=BB5_11 Depth=1
	buffer_load_dword v74, off, s[64:67], 0 offset:80 ; 4-byte Folded Reload
	buffer_load_dword v75, off, s[64:67], 0 offset:84 ; 4-byte Folded Reload
	;; [unrolled: 1-line block ×3, first 2 shown]
	v_mov_b32_e32 v101, s63
	s_waitcnt vmcnt(2)
	v_add_co_u32_e64 v102, s[34:35], s62, v74
	s_waitcnt vmcnt(1)
	v_addc_co_u32_e64 v103, s[34:35], v101, v75, s[34:35]
	s_waitcnt vmcnt(0)
	v_add_co_u32_e64 v101, s[34:35], v102, v0
	v_addc_co_u32_e64 v102, s[34:35], 0, v103, s[34:35]
	global_load_dwordx4 v[101:104], v[101:102], off offset:192
	s_nop 0
	buffer_load_dword v0, off, s[64:67], 0 offset:40 ; 4-byte Folded Reload
	s_waitcnt vmcnt(0)
	ds_write_b128 v0, v[101:104]
	s_or_b64 exec, exec, s[38:39]
	s_and_saveexec_b64 s[38:39], s[10:11]
	s_cbranch_execz .LBB5_27
.LBB5_36:                               ;   in Loop: Header=BB5_11 Depth=1
	buffer_load_dword v74, off, s[64:67], 0 offset:88 ; 4-byte Folded Reload
	buffer_load_dword v75, off, s[64:67], 0 offset:92 ; 4-byte Folded Reload
	;; [unrolled: 1-line block ×3, first 2 shown]
	v_mov_b32_e32 v101, s63
	s_waitcnt vmcnt(2)
	v_add_co_u32_e64 v102, s[34:35], s62, v74
	s_waitcnt vmcnt(1)
	v_addc_co_u32_e64 v103, s[34:35], v101, v75, s[34:35]
	s_waitcnt vmcnt(0)
	v_add_co_u32_e64 v101, s[34:35], v102, v0
	v_addc_co_u32_e64 v102, s[34:35], 0, v103, s[34:35]
	global_load_dwordx4 v[101:104], v[101:102], off offset:128
	s_nop 0
	buffer_load_dword v0, off, s[64:67], 0 offset:44 ; 4-byte Folded Reload
	s_waitcnt vmcnt(0)
	ds_write_b128 v0, v[101:104]
	s_or_b64 exec, exec, s[38:39]
	s_and_saveexec_b64 s[38:39], s[12:13]
	s_cbranch_execnz .LBB5_28
	s_branch .LBB5_29
.LBB5_37:
	v_mov_b32_e32 v112, 0
	v_mov_b32_e32 v120, 0
	;; [unrolled: 1-line block ×16, first 2 shown]
.LBB5_38:
	buffer_load_dword v6, off, s[64:67], 0 offset:12 ; 4-byte Folded Reload
	buffer_load_dword v8, off, s[64:67], 0 offset:16 ; 4-byte Folded Reload
	v_cmp_lt_i32_e32 vcc, v116, v117
	v_cndmask_b32_e32 v0, v93, v116, vcc
	v_lshlrev_b32_e32 v0, 2, v0
	ds_bpermute_b32 v5, v0, v119
	ds_bpermute_b32 v11, v0, v118
	;; [unrolled: 1-line block ×4, first 2 shown]
	s_cmp_lg_u64 s[44:45], 0
	s_waitcnt lgkmcnt(3)
	v_add_f32_e32 v5, v119, v5
	s_waitcnt lgkmcnt(2)
	v_add_f32_e32 v11, v118, v11
	;; [unrolled: 2-line block ×4, first 2 shown]
	s_cselect_b64 s[2:3], -1, 0
	s_cmp_eq_u32 s7, 0
	s_cselect_b64 s[8:9], -1, 0
	s_and_b64 s[2:3], s[8:9], s[2:3]
	s_waitcnt vmcnt(1)
	v_cmp_lt_i32_e32 vcc, v6, v117
	v_cndmask_b32_e32 v6, v93, v6, vcc
	v_lshlrev_b32_e32 v6, 2, v6
	ds_bpermute_b32 v7, v6, v5
	ds_bpermute_b32 v13, v6, v11
	ds_bpermute_b32 v14, v6, v12
	ds_bpermute_b32 v6, v6, v0
	s_waitcnt vmcnt(0)
	v_cmp_lt_i32_e32 vcc, v8, v117
	v_cndmask_b32_e32 v8, v93, v8, vcc
	v_lshlrev_b32_e32 v8, 2, v8
	s_waitcnt lgkmcnt(3)
	v_add_f32_e32 v5, v5, v7
	s_waitcnt lgkmcnt(2)
	v_add_f32_e32 v11, v11, v13
	s_waitcnt lgkmcnt(1)
	v_add_f32_e32 v12, v12, v14
	s_waitcnt lgkmcnt(0)
	v_add_f32_e32 v0, v0, v6
	ds_bpermute_b32 v7, v8, v5
	ds_bpermute_b32 v13, v8, v11
	ds_bpermute_b32 v14, v8, v12
	ds_bpermute_b32 v6, v8, v0
	v_cmp_lt_i32_e32 vcc, v114, v117
	v_cndmask_b32_e32 v9, v93, v114, vcc
	v_lshlrev_b32_e32 v9, 2, v9
	s_waitcnt lgkmcnt(3)
	v_add_f32_e32 v5, v5, v7
	s_waitcnt lgkmcnt(2)
	v_add_f32_e32 v8, v11, v13
	s_waitcnt lgkmcnt(1)
	v_add_f32_e32 v12, v12, v14
	s_waitcnt lgkmcnt(0)
	v_add_f32_e32 v0, v0, v6
	ds_bpermute_b32 v7, v9, v5
	ds_bpermute_b32 v11, v9, v8
	ds_bpermute_b32 v13, v9, v12
	ds_bpermute_b32 v6, v9, v0
	;; [unrolled: 15-line block ×3, first 2 shown]
	s_and_b64 vcc, exec, s[2:3]
	s_waitcnt lgkmcnt(3)
	v_add_f32_e32 v5, v5, v7
	s_waitcnt lgkmcnt(2)
	v_add_f32_e32 v6, v8, v9
	s_waitcnt lgkmcnt(1)
	v_add_f32_e32 v7, v11, v12
	s_waitcnt lgkmcnt(0)
	v_add_f32_e32 v8, v0, v10
	s_cbranch_vccz .LBB5_41
; %bb.39:
	buffer_load_dword v34, off, s[64:67], 0 offset:108 ; 4-byte Folded Reload
	v_mov_b32_e32 v0, s45
	v_max_f32_e32 v14, v2, v2
	s_mov_b32 s6, 0x3fb8aa3b
	v_max_f32_e32 v15, v3, v3
	s_mov_b32 s3, 0xc2ce8ed0
	s_mov_b32 s2, 0x42b17218
	v_mov_b32_e32 v17, 0x7f800000
	s_waitcnt vmcnt(0)
	v_add_u32_e32 v9, s42, v34
	v_ashrrev_i32_e32 v10, 31, v9
	v_lshlrev_b64 v[9:10], 2, v[9:10]
	v_add_co_u32_e32 v9, vcc, s44, v9
	v_addc_co_u32_e32 v10, vcc, v0, v10, vcc
	global_load_dwordx4 v[9:12], v[9:10], off
	v_max_f32_e32 v0, v1, v1
	s_waitcnt vmcnt(0)
	v_max_f32_e32 v13, v9, v9
	v_max_f32_e32 v13, v0, v13
	;; [unrolled: 1-line block ×3, first 2 shown]
	v_sub_f32_e32 v0, v1, v13
	v_max_f32_e32 v14, v14, v16
	v_sub_f32_e32 v1, v9, v13
	v_mul_f32_e32 v9, 0x3fb8aa3b, v0
	v_max_f32_e32 v18, v11, v11
	v_sub_f32_e32 v2, v2, v14
	v_mul_f32_e32 v16, 0x3fb8aa3b, v1
	v_fma_f32 v22, v0, s6, -v9
	v_rndne_f32_e32 v23, v9
	v_max_f32_e32 v15, v15, v18
	v_sub_f32_e32 v10, v10, v14
	v_mul_f32_e32 v18, 0x3fb8aa3b, v2
	v_fma_f32 v24, v1, s6, -v16
	v_rndne_f32_e32 v25, v16
	v_fmac_f32_e32 v22, 0x32a5705f, v0
	v_sub_f32_e32 v9, v9, v23
	v_mul_f32_e32 v19, 0x3fb8aa3b, v10
	v_fma_f32 v26, v2, s6, -v18
	v_rndne_f32_e32 v27, v18
	v_fmac_f32_e32 v24, 0x32a5705f, v1
	v_sub_f32_e32 v16, v16, v25
	v_add_f32_e32 v9, v9, v22
	v_fma_f32 v28, v10, s6, -v19
	v_rndne_f32_e32 v29, v19
	v_cvt_i32_f32_e32 v23, v23
	v_fmac_f32_e32 v26, 0x32a5705f, v2
	v_sub_f32_e32 v18, v18, v27
	v_add_f32_e32 v16, v16, v24
	v_exp_f32_e32 v9, v9
	v_cvt_i32_f32_e32 v25, v25
	v_fmac_f32_e32 v28, 0x32a5705f, v10
	v_sub_f32_e32 v19, v19, v29
	v_add_f32_e32 v18, v18, v26
	v_exp_f32_e32 v16, v16
	v_cvt_i32_f32_e32 v27, v27
	v_add_f32_e32 v19, v19, v28
	v_exp_f32_e32 v18, v18
	v_cvt_i32_f32_e32 v29, v29
	v_exp_f32_e32 v19, v19
	v_ldexp_f32 v9, v9, v23
	v_cmp_ngt_f32_e32 vcc, s3, v0
	v_ldexp_f32 v16, v16, v25
	v_cndmask_b32_e32 v9, 0, v9, vcc
	v_cmp_ngt_f32_e32 vcc, s3, v1
	v_ldexp_f32 v18, v18, v27
	v_cndmask_b32_e32 v16, 0, v16, vcc
	;; [unrolled: 3-line block ×3, first 2 shown]
	v_cmp_ngt_f32_e32 vcc, s3, v10
	v_cndmask_b32_e32 v19, 0, v19, vcc
	v_cmp_nlt_f32_e32 vcc, s2, v0
	v_cndmask_b32_e32 v0, v17, v9, vcc
	v_cmp_nlt_f32_e32 vcc, s2, v1
	v_sub_f32_e32 v3, v3, v15
	v_cndmask_b32_e32 v9, v17, v16, vcc
	v_cmp_nlt_f32_e32 vcc, s2, v2
	v_mul_f32_e32 v20, 0x3fb8aa3b, v3
	v_cndmask_b32_e32 v1, v17, v18, vcc
	v_sub_f32_e32 v11, v11, v15
	v_fma_f32 v30, v3, s6, -v20
	v_rndne_f32_e32 v31, v20
	v_cvt_f16_f32_e32 v2, v0
	v_cvt_f16_f32_e32 v16, v1
	v_mul_f32_e32 v21, 0x3fb8aa3b, v11
	v_fmac_f32_e32 v30, 0x32a5705f, v3
	v_sub_f32_e32 v20, v20, v31
	v_fma_f32 v32, v11, s6, -v21
	v_rndne_f32_e32 v33, v21
	v_add_f32_e32 v20, v20, v30
	v_cmp_nlt_f32_e32 vcc, s2, v10
	v_cvt_i32_f32_e32 v31, v31
	v_fmac_f32_e32 v32, 0x32a5705f, v11
	v_sub_f32_e32 v21, v21, v33
	v_exp_f32_e32 v20, v20
	v_cndmask_b32_e32 v10, v17, v19, vcc
	v_add_f32_e32 v21, v21, v32
	v_fmac_f32_e32 v9, v5, v0
	v_fmac_f32_e32 v10, v6, v1
	v_mul_u32_u24_e32 v0, 0x10001, v2
	v_mul_u32_u24_e32 v1, 0x10001, v16
	v_pk_mul_f16 v112, v112, v0
	v_pk_mul_f16 v98, v98, v0
	;; [unrolled: 1-line block ×4, first 2 shown]
	v_exp_f32_e32 v0, v21
	v_cvt_i32_f32_e32 v1, v33
	v_ldexp_f32 v20, v20, v31
	v_cmp_ngt_f32_e32 vcc, s3, v3
	v_cndmask_b32_e32 v2, 0, v20, vcc
	v_cmp_nlt_f32_e32 vcc, s2, v3
	v_cndmask_b32_e32 v2, v17, v2, vcc
	v_ldexp_f32 v0, v0, v1
	v_cmp_ngt_f32_e32 vcc, s3, v11
	v_cndmask_b32_e32 v0, 0, v0, vcc
	v_cmp_nlt_f32_e32 vcc, s2, v11
	v_cndmask_b32_e32 v11, v17, v0, vcc
	v_fmac_f32_e32 v11, v7, v2
	v_cvt_f16_f32_e32 v0, v2
	v_max_f32_e32 v1, v12, v12
	v_max_f32_e32 v2, v4, v4
	;; [unrolled: 1-line block ×3, first 2 shown]
	v_sub_f32_e32 v1, v4, v16
	v_mul_f32_e32 v2, 0x3fb8aa3b, v1
	v_fma_f32 v3, v1, s6, -v2
	v_rndne_f32_e32 v4, v2
	v_fmac_f32_e32 v3, 0x32a5705f, v1
	v_sub_f32_e32 v2, v2, v4
	v_add_f32_e32 v2, v2, v3
	v_exp_f32_e32 v2, v2
	v_cvt_i32_f32_e32 v3, v4
	v_mul_u32_u24_e32 v0, 0x10001, v0
	v_pk_mul_f16 v107, v107, v0
	v_pk_mul_f16 v90, v90, v0
	v_ldexp_f32 v0, v2, v3
	v_sub_f32_e32 v2, v12, v16
	v_mul_f32_e32 v3, 0x3fb8aa3b, v2
	v_fma_f32 v4, v2, s6, -v3
	v_rndne_f32_e32 v5, v3
	v_fmac_f32_e32 v4, 0x32a5705f, v2
	v_sub_f32_e32 v3, v3, v5
	v_add_f32_e32 v3, v3, v4
	v_exp_f32_e32 v3, v3
	v_cvt_i32_f32_e32 v4, v5
	v_cmp_ngt_f32_e32 vcc, s3, v1
	v_cndmask_b32_e32 v0, 0, v0, vcc
	v_cmp_nlt_f32_e32 vcc, s2, v1
	v_cndmask_b32_e32 v0, v17, v0, vcc
	v_ldexp_f32 v1, v3, v4
	v_cmp_ngt_f32_e32 vcc, s3, v2
	v_cndmask_b32_e32 v1, 0, v1, vcc
	v_cmp_nlt_f32_e32 vcc, s2, v2
	v_cndmask_b32_e32 v12, v17, v1, vcc
	buffer_load_dword v17, off, s[64:67], 0 offset:104 ; 4-byte Folded Reload
	v_cvt_f16_f32_e32 v3, v0
	v_fmac_f32_e32 v12, v8, v0
	v_mov_b32_e32 v5, v9
	v_mov_b32_e32 v6, v10
	v_mul_u32_u24_e32 v0, 0x10001, v3
	v_mov_b32_e32 v1, v13
	v_pk_mul_f16 v89, v89, v0
	v_pk_mul_f16 v92, v92, v0
	v_mov_b32_e32 v2, v14
	v_mov_b32_e32 v3, v15
	;; [unrolled: 1-line block ×5, first 2 shown]
	s_waitcnt vmcnt(0)
	v_cmp_gt_i32_e32 vcc, s54, v17
	s_and_saveexec_b64 s[2:3], vcc
	s_cbranch_execnz .LBB5_42
.LBB5_40:
	s_endpgm
.LBB5_41:
	buffer_load_dword v17, off, s[64:67], 0 offset:104 ; 4-byte Folded Reload
	buffer_load_dword v34, off, s[64:67], 0 offset:108 ; 4-byte Folded Reload
	v_mov_b32_e32 v12, v8
	v_mov_b32_e32 v11, v7
	;; [unrolled: 1-line block ×4, first 2 shown]
	s_waitcnt vmcnt(1)
	v_cmp_gt_i32_e32 vcc, s54, v17
	s_and_saveexec_b64 s[2:3], vcc
	s_cbranch_execz .LBB5_40
.LBB5_42:
	s_load_dword s6, s[4:5], 0xd4
	v_mov_b32_e32 v14, 1.0
	s_waitcnt lgkmcnt(0)
	s_cmp_lg_u32 s6, 1
	s_cselect_b64 s[2:3], -1, 0
	s_cmp_eq_u32 s6, 1
	s_cselect_b64 s[8:9], -1, 0
	s_and_b64 vcc, exec, s[2:3]
	s_cbranch_vccnz .LBB5_44
; %bb.43:
	v_div_scale_f32 v0, s[4:5], v5, v5, 1.0
	v_div_scale_f32 v13, vcc, 1.0, v5, 1.0
	v_rcp_f32_e32 v14, v0
	v_fma_f32 v15, -v0, v14, 1.0
	v_fmac_f32_e32 v14, v15, v14
	v_mul_f32_e32 v15, v13, v14
	v_fma_f32 v16, -v0, v15, v13
	v_fmac_f32_e32 v15, v16, v14
	v_fma_f32 v0, -v0, v15, v13
	v_div_fmas_f32 v0, v0, v14, v15
	v_div_fixup_f32 v14, v0, v5, 1.0
.LBB5_44:
	s_mul_i32 s33, s33, s54
	v_add_u32_e32 v0, s33, v17
	v_mul_lo_u32 v0, v0, s55
	s_waitcnt vmcnt(0)
	v_add3_u32 v0, s42, v34, v0
	v_mul_lo_u32 v5, s6, v0
	v_add_u32_e32 v13, s7, v5
	s_and_saveexec_b64 s[4:5], s[0:1]
	s_cbranch_execz .LBB5_46
; %bb.45:
	buffer_load_dword v15, off, s[64:67], 0 offset:112 ; 4-byte Folded Reload
	buffer_load_dword v16, off, s[64:67], 0 offset:116 ; 4-byte Folded Reload
	s_movk_i32 s10, 0x70
	v_cvt_f32_f16_sdwa v20, v112 dst_sel:DWORD dst_unused:UNUSED_PAD src0_sel:WORD_1
	v_cvt_f32_f16_e32 v21, v112
	s_waitcnt vmcnt(1)
	v_lshlrev_b32_e32 v0, 2, v15
	s_waitcnt vmcnt(0)
	v_mad_u64_u32 v[15:16], s[10:11], v13, s10, v[0:1]
	v_mov_b32_e32 v16, 0
	v_mov_b32_e32 v0, s49
	v_lshlrev_b64 v[15:16], 2, v[15:16]
	v_add_co_u32_e32 v18, vcc, s48, v15
	v_addc_co_u32_e32 v19, vcc, v0, v16, vcc
	v_cvt_f32_f16_sdwa v0, v98 dst_sel:DWORD dst_unused:UNUSED_PAD src0_sel:WORD_1
	v_cvt_f32_f16_e32 v15, v98
	v_mul_f32_e32 v17, v14, v0
	v_mul_f32_e32 v16, v14, v15
	;; [unrolled: 1-line block ×4, first 2 shown]
	global_store_dwordx4 v[18:19], v[14:17], off
.LBB5_46:
	s_or_b64 exec, exec, s[4:5]
	buffer_load_dword v14, off, s[64:67], 0 offset:112 ; 4-byte Folded Reload
	buffer_load_dword v15, off, s[64:67], 0 offset:116 ; 4-byte Folded Reload
	s_waitcnt vmcnt(1)
	v_cmp_eq_u32_e32 vcc, 0, v14
	s_and_b64 s[4:5], vcc, s[2:3]
	s_and_saveexec_b64 s[2:3], s[4:5]
	s_cbranch_execz .LBB5_48
; %bb.47:
	v_ashrrev_i32_e32 v14, 31, v13
	v_lshlrev_b64 v[13:14], 3, v[13:14]
	v_mov_b32_e32 v0, s51
	v_add_co_u32_e32 v13, vcc, s50, v13
	v_addc_co_u32_e32 v14, vcc, v0, v14, vcc
	v_mov_b32_e32 v0, v1
	v_mov_b32_e32 v1, v9
	global_store_dwordx2 v[13:14], v[0:1], off
.LBB5_48:
	s_or_b64 exec, exec, s[2:3]
	buffer_load_dword v20, off, s[64:67], 0 offset:120 ; 4-byte Folded Reload
	buffer_load_dword v21, off, s[64:67], 0 offset:124 ; 4-byte Folded Reload
	v_cndmask_b32_e64 v0, 0, 1, s[8:9]
	v_cmp_ne_u32_e64 s[2:3], 1, v0
	s_andn2_b64 vcc, exec, s[8:9]
	v_mov_b32_e32 v1, 1.0
	s_cbranch_vccz .LBB5_57
; %bb.49:
	v_add_u32_e32 v5, s6, v5
	v_add_u32_e32 v0, s7, v5
	s_and_saveexec_b64 s[8:9], s[0:1]
	s_cbranch_execnz .LBB5_58
.LBB5_50:
	s_or_b64 exec, exec, s[8:9]
	s_and_saveexec_b64 s[8:9], s[4:5]
	s_cbranch_execnz .LBB5_59
.LBB5_51:
	s_or_b64 exec, exec, s[8:9]
	s_and_b64 vcc, exec, s[2:3]
	v_mov_b32_e32 v1, 1.0
	s_cbranch_vccz .LBB5_60
.LBB5_52:
	v_add_u32_e32 v2, s6, v5
	v_add_u32_e32 v0, s7, v2
	s_and_saveexec_b64 s[8:9], s[0:1]
	s_cbranch_execnz .LBB5_61
.LBB5_53:
	s_or_b64 exec, exec, s[8:9]
	s_and_saveexec_b64 s[8:9], s[4:5]
	s_cbranch_execnz .LBB5_62
.LBB5_54:
	s_or_b64 exec, exec, s[8:9]
	s_and_b64 vcc, exec, s[2:3]
	v_mov_b32_e32 v1, 1.0
	s_cbranch_vccz .LBB5_63
.LBB5_55:
	s_add_i32 s7, s7, s6
	v_add_u32_e32 v0, s7, v2
	s_and_saveexec_b64 s[2:3], s[0:1]
	s_cbranch_execnz .LBB5_64
.LBB5_56:
	s_or_b64 exec, exec, s[2:3]
	s_and_b64 exec, exec, s[4:5]
	s_cbranch_execz .LBB5_40
	s_branch .LBB5_65
.LBB5_57:
	v_div_scale_f32 v0, s[8:9], v6, v6, 1.0
	v_div_scale_f32 v1, vcc, 1.0, v6, 1.0
	v_rcp_f32_e32 v9, v0
	v_fma_f32 v13, -v0, v9, 1.0
	v_fmac_f32_e32 v9, v13, v9
	v_mul_f32_e32 v13, v1, v9
	v_fma_f32 v14, -v0, v13, v1
	v_fmac_f32_e32 v13, v14, v9
	v_fma_f32 v0, -v0, v13, v1
	v_div_fmas_f32 v0, v0, v9, v13
	v_div_fixup_f32 v1, v0, v6, 1.0
	v_add_u32_e32 v5, s6, v5
	v_add_u32_e32 v0, s7, v5
	s_and_saveexec_b64 s[8:9], s[0:1]
	s_cbranch_execz .LBB5_50
.LBB5_58:
	s_movk_i32 s10, 0x70
	s_waitcnt vmcnt(0)
	v_mad_u64_u32 v[13:14], s[10:11], v0, s10, v[20:21]
	v_mov_b32_e32 v14, 0
	v_mov_b32_e32 v6, s49
	v_lshlrev_b64 v[13:14], 2, v[13:14]
	v_cvt_f32_f16_e32 v9, v91
	v_add_co_u32_e32 v17, vcc, s48, v13
	v_addc_co_u32_e32 v18, vcc, v6, v14, vcc
	v_cvt_f32_f16_sdwa v6, v91 dst_sel:DWORD dst_unused:UNUSED_PAD src0_sel:WORD_1
	v_cvt_f32_f16_sdwa v13, v122 dst_sel:DWORD dst_unused:UNUSED_PAD src0_sel:WORD_1
	v_cvt_f32_f16_e32 v19, v122
	v_mul_f32_e32 v15, v1, v9
	v_mul_f32_e32 v16, v1, v6
	;; [unrolled: 1-line block ×4, first 2 shown]
	global_store_dwordx4 v[17:18], v[13:16], off
	s_or_b64 exec, exec, s[8:9]
	s_and_saveexec_b64 s[8:9], s[4:5]
	s_cbranch_execz .LBB5_51
.LBB5_59:
	v_ashrrev_i32_e32 v1, 31, v0
	v_lshlrev_b64 v[0:1], 3, v[0:1]
	v_mov_b32_e32 v6, s51
	v_add_co_u32_e32 v0, vcc, s50, v0
	v_addc_co_u32_e32 v1, vcc, v6, v1, vcc
	v_mov_b32_e32 v9, v2
	global_store_dwordx2 v[0:1], v[9:10], off
	s_or_b64 exec, exec, s[8:9]
	s_and_b64 vcc, exec, s[2:3]
	v_mov_b32_e32 v1, 1.0
	s_cbranch_vccnz .LBB5_52
.LBB5_60:
	v_div_scale_f32 v0, s[8:9], v7, v7, 1.0
	v_div_scale_f32 v1, vcc, 1.0, v7, 1.0
	v_rcp_f32_e32 v2, v0
	v_fma_f32 v6, -v0, v2, 1.0
	v_fmac_f32_e32 v2, v6, v2
	v_mul_f32_e32 v6, v1, v2
	v_fma_f32 v9, -v0, v6, v1
	v_fmac_f32_e32 v6, v9, v2
	v_fma_f32 v0, -v0, v6, v1
	v_div_fmas_f32 v0, v0, v2, v6
	v_div_fixup_f32 v1, v0, v7, 1.0
	v_add_u32_e32 v2, s6, v5
	v_add_u32_e32 v0, s7, v2
	s_and_saveexec_b64 s[8:9], s[0:1]
	s_cbranch_execz .LBB5_53
.LBB5_61:
	s_movk_i32 s10, 0x70
	s_waitcnt vmcnt(0)
	v_mad_u64_u32 v[5:6], s[10:11], v0, s10, v[20:21]
	v_mov_b32_e32 v6, 0
	v_mov_b32_e32 v7, s49
	v_lshlrev_b64 v[5:6], 2, v[5:6]
	v_cvt_f32_f16_e32 v9, v90
	v_add_co_u32_e32 v5, vcc, s48, v5
	v_addc_co_u32_e32 v6, vcc, v7, v6, vcc
	v_cvt_f32_f16_sdwa v7, v90 dst_sel:DWORD dst_unused:UNUSED_PAD src0_sel:WORD_1
	v_cvt_f32_f16_sdwa v10, v107 dst_sel:DWORD dst_unused:UNUSED_PAD src0_sel:WORD_1
	v_cvt_f32_f16_e32 v13, v107
	v_mul_f32_e32 v15, v1, v9
	v_mul_f32_e32 v16, v1, v7
	v_mul_f32_e32 v14, v1, v10
	v_mul_f32_e32 v13, v1, v13
	global_store_dwordx4 v[5:6], v[13:16], off
	s_or_b64 exec, exec, s[8:9]
	s_and_saveexec_b64 s[8:9], s[4:5]
	s_cbranch_execz .LBB5_54
.LBB5_62:
	v_ashrrev_i32_e32 v1, 31, v0
	v_lshlrev_b64 v[0:1], 3, v[0:1]
	v_mov_b32_e32 v5, s51
	v_add_co_u32_e32 v0, vcc, s50, v0
	v_addc_co_u32_e32 v1, vcc, v5, v1, vcc
	v_mov_b32_e32 v10, v3
	global_store_dwordx2 v[0:1], v[10:11], off
	s_or_b64 exec, exec, s[8:9]
	s_and_b64 vcc, exec, s[2:3]
	v_mov_b32_e32 v1, 1.0
	s_cbranch_vccnz .LBB5_55
.LBB5_63:
	v_div_scale_f32 v0, s[2:3], v8, v8, 1.0
	v_div_scale_f32 v1, vcc, 1.0, v8, 1.0
	v_rcp_f32_e32 v3, v0
	v_fma_f32 v5, -v0, v3, 1.0
	v_fmac_f32_e32 v3, v5, v3
	v_mul_f32_e32 v5, v1, v3
	v_fma_f32 v6, -v0, v5, v1
	v_fmac_f32_e32 v5, v6, v3
	v_fma_f32 v0, -v0, v5, v1
	v_div_fmas_f32 v0, v0, v3, v5
	v_div_fixup_f32 v1, v0, v8, 1.0
	s_add_i32 s7, s7, s6
	v_add_u32_e32 v0, s7, v2
	s_and_saveexec_b64 s[2:3], s[0:1]
	s_cbranch_execz .LBB5_56
.LBB5_64:
	s_movk_i32 s0, 0x70
	s_waitcnt vmcnt(0)
	v_mad_u64_u32 v[2:3], s[0:1], v0, s0, v[20:21]
	v_mov_b32_e32 v3, 0
	v_mov_b32_e32 v5, s49
	v_lshlrev_b64 v[2:3], 2, v[2:3]
	v_cvt_f32_f16_e32 v6, v92
	v_add_co_u32_e32 v2, vcc, s48, v2
	v_addc_co_u32_e32 v3, vcc, v5, v3, vcc
	v_cvt_f32_f16_sdwa v5, v92 dst_sel:DWORD dst_unused:UNUSED_PAD src0_sel:WORD_1
	v_cvt_f32_f16_sdwa v9, v89 dst_sel:DWORD dst_unused:UNUSED_PAD src0_sel:WORD_1
	v_cvt_f32_f16_e32 v10, v89
	v_mul_f32_e32 v7, v1, v6
	v_mul_f32_e32 v8, v1, v5
	;; [unrolled: 1-line block ×4, first 2 shown]
	global_store_dwordx4 v[2:3], v[5:8], off
	s_or_b64 exec, exec, s[2:3]
	s_and_b64 exec, exec, s[4:5]
	s_cbranch_execz .LBB5_40
.LBB5_65:
	v_ashrrev_i32_e32 v1, 31, v0
	v_lshlrev_b64 v[0:1], 3, v[0:1]
	v_mov_b32_e32 v2, s51
	v_add_co_u32_e32 v0, vcc, s50, v0
	v_addc_co_u32_e32 v1, vcc, v2, v1, vcc
	v_mov_b32_e32 v11, v4
	global_store_dwordx2 v[0:1], v[11:12], off
	s_endpgm
	.section	.rodata,"a",@progbits
	.p2align	6, 0x0
	.amdhsa_kernel _ZL15flash_attn_tileILi112ELi112ELi4ELi8ELb0EEvPKcS1_S1_S1_S1_PKiPfP15HIP_vector_typeIfLj2EEffffjfiS5_IjLj3EEiiiiiiiiiiiliiliiiiil
		.amdhsa_group_segment_fixed_size 13376
		.amdhsa_private_segment_fixed_size 132
		.amdhsa_kernarg_size 464
		.amdhsa_user_sgpr_count 6
		.amdhsa_user_sgpr_private_segment_buffer 1
		.amdhsa_user_sgpr_dispatch_ptr 0
		.amdhsa_user_sgpr_queue_ptr 0
		.amdhsa_user_sgpr_kernarg_segment_ptr 1
		.amdhsa_user_sgpr_dispatch_id 0
		.amdhsa_user_sgpr_flat_scratch_init 0
		.amdhsa_user_sgpr_private_segment_size 0
		.amdhsa_uses_dynamic_stack 0
		.amdhsa_system_sgpr_private_segment_wavefront_offset 1
		.amdhsa_system_sgpr_workgroup_id_x 1
		.amdhsa_system_sgpr_workgroup_id_y 1
		.amdhsa_system_sgpr_workgroup_id_z 1
		.amdhsa_system_sgpr_workgroup_info 0
		.amdhsa_system_vgpr_workitem_id 1
		.amdhsa_next_free_vgpr 128
		.amdhsa_next_free_sgpr 98
		.amdhsa_reserve_vcc 1
		.amdhsa_reserve_flat_scratch 0
		.amdhsa_float_round_mode_32 0
		.amdhsa_float_round_mode_16_64 0
		.amdhsa_float_denorm_mode_32 3
		.amdhsa_float_denorm_mode_16_64 3
		.amdhsa_dx10_clamp 1
		.amdhsa_ieee_mode 1
		.amdhsa_fp16_overflow 0
		.amdhsa_exception_fp_ieee_invalid_op 0
		.amdhsa_exception_fp_denorm_src 0
		.amdhsa_exception_fp_ieee_div_zero 0
		.amdhsa_exception_fp_ieee_overflow 0
		.amdhsa_exception_fp_ieee_underflow 0
		.amdhsa_exception_fp_ieee_inexact 0
		.amdhsa_exception_int_div_zero 0
	.end_amdhsa_kernel
	.section	.text._ZL15flash_attn_tileILi112ELi112ELi4ELi8ELb0EEvPKcS1_S1_S1_S1_PKiPfP15HIP_vector_typeIfLj2EEffffjfiS5_IjLj3EEiiiiiiiiiiiliiliiiiil,"axG",@progbits,_ZL15flash_attn_tileILi112ELi112ELi4ELi8ELb0EEvPKcS1_S1_S1_S1_PKiPfP15HIP_vector_typeIfLj2EEffffjfiS5_IjLj3EEiiiiiiiiiiiliiliiiiil,comdat
.Lfunc_end5:
	.size	_ZL15flash_attn_tileILi112ELi112ELi4ELi8ELb0EEvPKcS1_S1_S1_S1_PKiPfP15HIP_vector_typeIfLj2EEffffjfiS5_IjLj3EEiiiiiiiiiiiliiliiiiil, .Lfunc_end5-_ZL15flash_attn_tileILi112ELi112ELi4ELi8ELb0EEvPKcS1_S1_S1_S1_PKiPfP15HIP_vector_typeIfLj2EEffffjfiS5_IjLj3EEiiiiiiiiiiiliiliiiiil
                                        ; -- End function
	.set _ZL15flash_attn_tileILi112ELi112ELi4ELi8ELb0EEvPKcS1_S1_S1_S1_PKiPfP15HIP_vector_typeIfLj2EEffffjfiS5_IjLj3EEiiiiiiiiiiiliiliiiiil.num_vgpr, 128
	.set _ZL15flash_attn_tileILi112ELi112ELi4ELi8ELb0EEvPKcS1_S1_S1_S1_PKiPfP15HIP_vector_typeIfLj2EEffffjfiS5_IjLj3EEiiiiiiiiiiiliiliiiiil.num_agpr, 0
	.set _ZL15flash_attn_tileILi112ELi112ELi4ELi8ELb0EEvPKcS1_S1_S1_S1_PKiPfP15HIP_vector_typeIfLj2EEffffjfiS5_IjLj3EEiiiiiiiiiiiliiliiiiil.numbered_sgpr, 68
	.set _ZL15flash_attn_tileILi112ELi112ELi4ELi8ELb0EEvPKcS1_S1_S1_S1_PKiPfP15HIP_vector_typeIfLj2EEffffjfiS5_IjLj3EEiiiiiiiiiiiliiliiiiil.num_named_barrier, 0
	.set _ZL15flash_attn_tileILi112ELi112ELi4ELi8ELb0EEvPKcS1_S1_S1_S1_PKiPfP15HIP_vector_typeIfLj2EEffffjfiS5_IjLj3EEiiiiiiiiiiiliiliiiiil.private_seg_size, 132
	.set _ZL15flash_attn_tileILi112ELi112ELi4ELi8ELb0EEvPKcS1_S1_S1_S1_PKiPfP15HIP_vector_typeIfLj2EEffffjfiS5_IjLj3EEiiiiiiiiiiiliiliiiiil.uses_vcc, 1
	.set _ZL15flash_attn_tileILi112ELi112ELi4ELi8ELb0EEvPKcS1_S1_S1_S1_PKiPfP15HIP_vector_typeIfLj2EEffffjfiS5_IjLj3EEiiiiiiiiiiiliiliiiiil.uses_flat_scratch, 0
	.set _ZL15flash_attn_tileILi112ELi112ELi4ELi8ELb0EEvPKcS1_S1_S1_S1_PKiPfP15HIP_vector_typeIfLj2EEffffjfiS5_IjLj3EEiiiiiiiiiiiliiliiiiil.has_dyn_sized_stack, 0
	.set _ZL15flash_attn_tileILi112ELi112ELi4ELi8ELb0EEvPKcS1_S1_S1_S1_PKiPfP15HIP_vector_typeIfLj2EEffffjfiS5_IjLj3EEiiiiiiiiiiiliiliiiiil.has_recursion, 0
	.set _ZL15flash_attn_tileILi112ELi112ELi4ELi8ELb0EEvPKcS1_S1_S1_S1_PKiPfP15HIP_vector_typeIfLj2EEffffjfiS5_IjLj3EEiiiiiiiiiiiliiliiiiil.has_indirect_call, 0
	.section	.AMDGPU.csdata,"",@progbits
; Kernel info:
; codeLenInByte = 14304
; TotalNumSgprs: 72
; NumVgprs: 128
; ScratchSize: 132
; MemoryBound: 0
; FloatMode: 240
; IeeeMode: 1
; LDSByteSize: 13376 bytes/workgroup (compile time only)
; SGPRBlocks: 12
; VGPRBlocks: 31
; NumSGPRsForWavesPerEU: 102
; NumVGPRsForWavesPerEU: 128
; Occupancy: 2
; WaveLimiterHint : 1
; COMPUTE_PGM_RSRC2:SCRATCH_EN: 1
; COMPUTE_PGM_RSRC2:USER_SGPR: 6
; COMPUTE_PGM_RSRC2:TRAP_HANDLER: 0
; COMPUTE_PGM_RSRC2:TGID_X_EN: 1
; COMPUTE_PGM_RSRC2:TGID_Y_EN: 1
; COMPUTE_PGM_RSRC2:TGID_Z_EN: 1
; COMPUTE_PGM_RSRC2:TIDIG_COMP_CNT: 1
	.section	.text._ZL25flash_attn_mask_to_KV_maxILi4EEvPK7__half2Piiii,"axG",@progbits,_ZL25flash_attn_mask_to_KV_maxILi4EEvPK7__half2Piiii,comdat
	.globl	_ZL25flash_attn_mask_to_KV_maxILi4EEvPK7__half2Piiii ; -- Begin function _ZL25flash_attn_mask_to_KV_maxILi4EEvPK7__half2Piiii
	.p2align	8
	.type	_ZL25flash_attn_mask_to_KV_maxILi4EEvPK7__half2Piiii,@function
_ZL25flash_attn_mask_to_KV_maxILi4EEvPK7__half2Piiii: ; @_ZL25flash_attn_mask_to_KV_maxILi4EEvPK7__half2Piiii
; %bb.0:
	s_load_dwordx4 s[8:11], s[4:5], 0x0
	v_cmp_gt_u32_e32 vcc, 32, v0
	s_and_saveexec_b64 s[0:1], vcc
; %bb.1:
	v_lshlrev_b32_e32 v1, 2, v0
	v_mov_b32_e32 v2, 1
	ds_write_b32 v1, v2
; %bb.2:
	s_or_b64 exec, exec, s[0:1]
	s_load_dwordx4 s[12:15], s[4:5], 0x10
	s_load_dword s22, s[4:5], 0x20
	v_and_b32_e32 v1, 31, v0
	v_lshlrev_b32_e32 v6, 2, v1
	v_lshrrev_b32_e32 v5, 3, v0
	s_waitcnt lgkmcnt(0)
	s_mul_i32 s1, s6, s13
	s_mul_i32 s0, s14, s7
	s_lshl_b32 s1, s1, 2
	s_add_i32 s0, s0, s1
	s_ashr_i32 s1, s0, 31
	s_lshl_b64 s[0:1], s[0:1], 2
	s_add_u32 s23, s8, s0
	s_addc_u32 s24, s9, s1
	v_cmp_eq_u32_e64 s[0:1], 0, v1
	v_mbcnt_lo_u32_b32 v1, -1, 0
	s_lshl_b32 s12, s12, 8
	s_mov_b64 s[4:5], 0
	v_mov_b32_e32 v2, 0
	s_movk_i32 s25, 0x204
	v_mbcnt_hi_u32_b32 v7, -1, v1
	s_barrier
                                        ; implicit-def: $sgpr2_sgpr3
	s_branch .LBB6_5
.LBB6_3:                                ;   in Loop: Header=BB6_5 Depth=1
	s_or_b64 exec, exec, s[8:9]
	s_waitcnt lgkmcnt(0)
	s_barrier
	ds_read_b32 v10, v6
	s_waitcnt lgkmcnt(0)
	s_barrier
	ds_bpermute_b32 v1, v1, v10
	v_cmp_ne_u32_e32 vcc, 0, v10
	s_waitcnt lgkmcnt(0)
	v_cmp_ne_u32_e64 s[2:3], 0, v1
	s_and_b64 s[2:3], vcc, s[2:3]
	v_cndmask_b32_e64 v1, 0, 1, s[2:3]
	ds_bpermute_b32 v1, v3, v1
	s_waitcnt lgkmcnt(0)
	v_cmp_ne_u32_e32 vcc, 0, v1
	s_and_b64 s[2:3], vcc, s[2:3]
	v_cndmask_b32_e64 v1, 0, 1, s[2:3]
	ds_bpermute_b32 v1, v4, v1
	s_waitcnt lgkmcnt(0)
	v_cmp_ne_u32_e32 vcc, 0, v1
	;; [unrolled: 5-line block ×3, first 2 shown]
	s_and_b64 s[2:3], vcc, s[2:3]
	v_cndmask_b32_e64 v1, 0, 1, s[2:3]
	ds_bpermute_b32 v1, v9, v1
	s_xor_b64 s[2:3], s[2:3], -1
	s_waitcnt lgkmcnt(0)
	v_cmp_eq_u32_e32 vcc, 0, v1
	s_or_b64 s[2:3], vcc, s[2:3]
.LBB6_4:                                ;   in Loop: Header=BB6_5 Depth=1
	s_and_b64 s[8:9], exec, s[2:3]
	s_or_b64 s[4:5], s[8:9], s[4:5]
	v_mov_b32_e32 v1, s12
	s_mov_b32 s12, s26
	s_andn2_b64 exec, exec, s[4:5]
	s_cbranch_execz .LBB6_20
.LBB6_5:                                ; =>This Inner Loop Header: Depth=1
	s_add_i32 s26, s12, 0xffffff00
	s_or_b64 s[2:3], s[2:3], exec
	s_cmp_lt_i32 s26, 0
	s_cbranch_scc1 .LBB6_4
; %bb.6:                                ;   in Loop: Header=BB6_5 Depth=1
	s_lshr_b32 s2, s26, 1
	v_add_u32_e32 v1, s2, v0
	v_lshlrev_b64 v[3:4], 2, v[1:2]
	v_mov_b32_e32 v8, s24
	v_add_co_u32_e32 v3, vcc, s23, v3
	v_addc_co_u32_e32 v4, vcc, v8, v4, vcc
	global_load_dword v3, v[3:4], off
	v_mov_b32_e32 v4, 0
	s_waitcnt vmcnt(0)
	v_cmp_class_f16_e64 s[2:3], v3, s25
	v_cmp_class_f16_sdwa s[8:9], v3, s25 src0_sel:WORD_1 src1_sel:DWORD
	s_and_b64 s[8:9], s[2:3], s[8:9]
	s_and_saveexec_b64 s[2:3], s[8:9]
	s_cbranch_execz .LBB6_18
; %bb.7:                                ;   in Loop: Header=BB6_5 Depth=1
	v_add_u32_e32 v3, s13, v1
	v_ashrrev_i32_e32 v4, 31, v3
	v_lshlrev_b64 v[8:9], 2, v[3:4]
	v_mov_b32_e32 v1, s24
	v_add_co_u32_e32 v8, vcc, s23, v8
	v_addc_co_u32_e32 v9, vcc, v1, v9, vcc
	global_load_dword v1, v[8:9], off
	v_mov_b32_e32 v4, 0
	s_waitcnt vmcnt(0)
	v_cmp_class_f16_e64 s[14:15], v1, s25
	s_and_saveexec_b64 s[8:9], s[14:15]
	s_cbranch_execz .LBB6_17
; %bb.8:                                ;   in Loop: Header=BB6_5 Depth=1
	v_cmp_class_f16_sdwa s[16:17], v1, s25 src0_sel:WORD_1 src1_sel:DWORD
	v_mov_b32_e32 v4, 0
	s_and_saveexec_b64 s[14:15], s[16:17]
	s_cbranch_execz .LBB6_16
; %bb.9:                                ;   in Loop: Header=BB6_5 Depth=1
	v_add_u32_e32 v3, s13, v3
	v_ashrrev_i32_e32 v4, 31, v3
	v_lshlrev_b64 v[8:9], 2, v[3:4]
	v_mov_b32_e32 v1, s24
	v_add_co_u32_e32 v8, vcc, s23, v8
	v_addc_co_u32_e32 v9, vcc, v1, v9, vcc
	global_load_dword v1, v[8:9], off
	v_mov_b32_e32 v4, 0
	s_waitcnt vmcnt(0)
	v_cmp_class_f16_e64 s[18:19], v1, s25
	s_and_saveexec_b64 s[16:17], s[18:19]
	s_cbranch_execz .LBB6_15
; %bb.10:                               ;   in Loop: Header=BB6_5 Depth=1
	v_cmp_class_f16_sdwa s[20:21], v1, s25 src0_sel:WORD_1 src1_sel:DWORD
	v_mov_b32_e32 v4, 0
	s_and_saveexec_b64 s[18:19], s[20:21]
	s_cbranch_execz .LBB6_14
; %bb.11:                               ;   in Loop: Header=BB6_5 Depth=1
	v_add_u32_e32 v3, s13, v3
	v_ashrrev_i32_e32 v4, 31, v3
	v_lshlrev_b64 v[3:4], 2, v[3:4]
	v_mov_b32_e32 v1, s24
	v_add_co_u32_e32 v3, vcc, s23, v3
	v_addc_co_u32_e32 v4, vcc, v1, v4, vcc
	global_load_dword v1, v[3:4], off
	v_mov_b32_e32 v4, 0
	s_waitcnt vmcnt(0)
	v_cmp_class_f16_e64 s[28:29], v1, s25
	s_and_saveexec_b64 s[20:21], s[28:29]
; %bb.12:                               ;   in Loop: Header=BB6_5 Depth=1
	v_cmp_class_f16_sdwa s[28:29], v1, s25 src0_sel:WORD_1 src1_sel:DWORD
	v_cndmask_b32_e64 v4, 0, 1, s[28:29]
; %bb.13:                               ;   in Loop: Header=BB6_5 Depth=1
	s_or_b64 exec, exec, s[20:21]
.LBB6_14:                               ;   in Loop: Header=BB6_5 Depth=1
	s_or_b64 exec, exec, s[18:19]
.LBB6_15:                               ;   in Loop: Header=BB6_5 Depth=1
	s_or_b64 exec, exec, s[16:17]
.LBB6_16:                               ;   in Loop: Header=BB6_5 Depth=1
	s_or_b64 exec, exec, s[14:15]
.LBB6_17:                               ;   in Loop: Header=BB6_5 Depth=1
	s_or_b64 exec, exec, s[8:9]
.LBB6_18:                               ;   in Loop: Header=BB6_5 Depth=1
	s_or_b64 exec, exec, s[2:3]
	v_and_b32_e32 v1, 0x60, v7
	v_add_u32_e32 v9, 32, v1
	v_xor_b32_e32 v1, 16, v7
	v_cmp_lt_i32_e32 vcc, v1, v9
	v_cndmask_b32_e32 v1, v7, v1, vcc
	v_lshlrev_b32_e32 v1, 2, v1
	ds_bpermute_b32 v3, v1, v4
	v_cmp_ne_u32_e32 vcc, 0, v4
	v_xor_b32_e32 v11, 1, v7
	s_waitcnt lgkmcnt(0)
	v_cmp_ne_u32_e64 s[2:3], 0, v3
	v_xor_b32_e32 v3, 8, v7
	s_and_b64 s[2:3], vcc, s[2:3]
	v_cmp_lt_i32_e32 vcc, v3, v9
	v_cndmask_b32_e32 v3, v7, v3, vcc
	v_cndmask_b32_e64 v4, 0, 1, s[2:3]
	v_lshlrev_b32_e32 v3, 2, v3
	ds_bpermute_b32 v4, v3, v4
	s_waitcnt lgkmcnt(0)
	v_cmp_ne_u32_e32 vcc, 0, v4
	v_xor_b32_e32 v4, 4, v7
	s_and_b64 s[2:3], vcc, s[2:3]
	v_cmp_lt_i32_e32 vcc, v4, v9
	v_cndmask_b32_e32 v4, v7, v4, vcc
	v_cndmask_b32_e64 v8, 0, 1, s[2:3]
	v_lshlrev_b32_e32 v4, 2, v4
	ds_bpermute_b32 v8, v4, v8
	s_waitcnt lgkmcnt(0)
	v_cmp_ne_u32_e32 vcc, 0, v8
	;; [unrolled: 9-line block ×3, first 2 shown]
	s_and_b64 s[2:3], vcc, s[2:3]
	v_cmp_lt_i32_e32 vcc, v11, v9
	v_cndmask_b32_e32 v9, v7, v11, vcc
	v_cndmask_b32_e64 v10, 0, 1, s[2:3]
	v_lshlrev_b32_e32 v9, 2, v9
	ds_bpermute_b32 v10, v9, v10
	s_and_saveexec_b64 s[8:9], s[0:1]
	s_cbranch_execz .LBB6_3
; %bb.19:                               ;   in Loop: Header=BB6_5 Depth=1
	s_waitcnt lgkmcnt(0)
	v_cmp_ne_u32_e32 vcc, 0, v10
	s_and_b64 s[2:3], vcc, s[2:3]
	v_cndmask_b32_e64 v10, 0, 1, s[2:3]
	ds_write_b32 v5, v10
	s_branch .LBB6_3
.LBB6_20:
	s_or_b64 exec, exec, s[4:5]
	v_cmp_eq_u32_e32 vcc, 0, v0
	s_and_saveexec_b64 s[0:1], vcc
	s_cbranch_execz .LBB6_22
; %bb.21:
	s_mul_i32 s0, s22, s7
	s_add_i32 s0, s0, s6
	s_ashr_i32 s1, s0, 31
	s_lshl_b64 s[0:1], s[0:1], 2
	s_add_u32 s0, s10, s0
	s_addc_u32 s1, s11, s1
	v_mov_b32_e32 v0, 0
	global_store_dword v0, v1, s[0:1]
.LBB6_22:
	s_endpgm
	.section	.rodata,"a",@progbits
	.p2align	6, 0x0
	.amdhsa_kernel _ZL25flash_attn_mask_to_KV_maxILi4EEvPK7__half2Piiii
		.amdhsa_group_segment_fixed_size 128
		.amdhsa_private_segment_fixed_size 0
		.amdhsa_kernarg_size 288
		.amdhsa_user_sgpr_count 6
		.amdhsa_user_sgpr_private_segment_buffer 1
		.amdhsa_user_sgpr_dispatch_ptr 0
		.amdhsa_user_sgpr_queue_ptr 0
		.amdhsa_user_sgpr_kernarg_segment_ptr 1
		.amdhsa_user_sgpr_dispatch_id 0
		.amdhsa_user_sgpr_flat_scratch_init 0
		.amdhsa_user_sgpr_private_segment_size 0
		.amdhsa_uses_dynamic_stack 0
		.amdhsa_system_sgpr_private_segment_wavefront_offset 0
		.amdhsa_system_sgpr_workgroup_id_x 1
		.amdhsa_system_sgpr_workgroup_id_y 1
		.amdhsa_system_sgpr_workgroup_id_z 0
		.amdhsa_system_sgpr_workgroup_info 0
		.amdhsa_system_vgpr_workitem_id 0
		.amdhsa_next_free_vgpr 12
		.amdhsa_next_free_sgpr 30
		.amdhsa_reserve_vcc 1
		.amdhsa_reserve_flat_scratch 0
		.amdhsa_float_round_mode_32 0
		.amdhsa_float_round_mode_16_64 0
		.amdhsa_float_denorm_mode_32 3
		.amdhsa_float_denorm_mode_16_64 3
		.amdhsa_dx10_clamp 1
		.amdhsa_ieee_mode 1
		.amdhsa_fp16_overflow 0
		.amdhsa_exception_fp_ieee_invalid_op 0
		.amdhsa_exception_fp_denorm_src 0
		.amdhsa_exception_fp_ieee_div_zero 0
		.amdhsa_exception_fp_ieee_overflow 0
		.amdhsa_exception_fp_ieee_underflow 0
		.amdhsa_exception_fp_ieee_inexact 0
		.amdhsa_exception_int_div_zero 0
	.end_amdhsa_kernel
	.section	.text._ZL25flash_attn_mask_to_KV_maxILi4EEvPK7__half2Piiii,"axG",@progbits,_ZL25flash_attn_mask_to_KV_maxILi4EEvPK7__half2Piiii,comdat
.Lfunc_end6:
	.size	_ZL25flash_attn_mask_to_KV_maxILi4EEvPK7__half2Piiii, .Lfunc_end6-_ZL25flash_attn_mask_to_KV_maxILi4EEvPK7__half2Piiii
                                        ; -- End function
	.set _ZL25flash_attn_mask_to_KV_maxILi4EEvPK7__half2Piiii.num_vgpr, 12
	.set _ZL25flash_attn_mask_to_KV_maxILi4EEvPK7__half2Piiii.num_agpr, 0
	.set _ZL25flash_attn_mask_to_KV_maxILi4EEvPK7__half2Piiii.numbered_sgpr, 30
	.set _ZL25flash_attn_mask_to_KV_maxILi4EEvPK7__half2Piiii.num_named_barrier, 0
	.set _ZL25flash_attn_mask_to_KV_maxILi4EEvPK7__half2Piiii.private_seg_size, 0
	.set _ZL25flash_attn_mask_to_KV_maxILi4EEvPK7__half2Piiii.uses_vcc, 1
	.set _ZL25flash_attn_mask_to_KV_maxILi4EEvPK7__half2Piiii.uses_flat_scratch, 0
	.set _ZL25flash_attn_mask_to_KV_maxILi4EEvPK7__half2Piiii.has_dyn_sized_stack, 0
	.set _ZL25flash_attn_mask_to_KV_maxILi4EEvPK7__half2Piiii.has_recursion, 0
	.set _ZL25flash_attn_mask_to_KV_maxILi4EEvPK7__half2Piiii.has_indirect_call, 0
	.section	.AMDGPU.csdata,"",@progbits
; Kernel info:
; codeLenInByte = 1008
; TotalNumSgprs: 34
; NumVgprs: 12
; ScratchSize: 0
; MemoryBound: 0
; FloatMode: 240
; IeeeMode: 1
; LDSByteSize: 128 bytes/workgroup (compile time only)
; SGPRBlocks: 4
; VGPRBlocks: 2
; NumSGPRsForWavesPerEU: 34
; NumVGPRsForWavesPerEU: 12
; Occupancy: 10
; WaveLimiterHint : 0
; COMPUTE_PGM_RSRC2:SCRATCH_EN: 0
; COMPUTE_PGM_RSRC2:USER_SGPR: 6
; COMPUTE_PGM_RSRC2:TRAP_HANDLER: 0
; COMPUTE_PGM_RSRC2:TGID_X_EN: 1
; COMPUTE_PGM_RSRC2:TGID_Y_EN: 1
; COMPUTE_PGM_RSRC2:TGID_Z_EN: 0
; COMPUTE_PGM_RSRC2:TIDIG_COMP_CNT: 0
	.section	.text._ZL33flash_attn_stream_k_fixup_uniformILi112ELi4ELi8EEvPfPK15HIP_vector_typeIfLj2EEiiiiiiS1_IjLj3EES5_S5_,"axG",@progbits,_ZL33flash_attn_stream_k_fixup_uniformILi112ELi4ELi8EEvPfPK15HIP_vector_typeIfLj2EEiiiiiiS1_IjLj3EES5_S5_,comdat
	.globl	_ZL33flash_attn_stream_k_fixup_uniformILi112ELi4ELi8EEvPfPK15HIP_vector_typeIfLj2EEiiiiiiS1_IjLj3EES5_S5_ ; -- Begin function _ZL33flash_attn_stream_k_fixup_uniformILi112ELi4ELi8EEvPfPK15HIP_vector_typeIfLj2EEiiiiiiS1_IjLj3EES5_S5_
	.p2align	8
	.type	_ZL33flash_attn_stream_k_fixup_uniformILi112ELi4ELi8EEvPfPK15HIP_vector_typeIfLj2EEiiiiiiS1_IjLj3EES5_S5_,@function
_ZL33flash_attn_stream_k_fixup_uniformILi112ELi4ELi8EEvPfPK15HIP_vector_typeIfLj2EEiiiiiiS1_IjLj3EES5_S5_: ; @_ZL33flash_attn_stream_k_fixup_uniformILi112ELi4ELi8EEvPfPK15HIP_vector_typeIfLj2EEiiiiiiS1_IjLj3EES5_S5_
; %bb.0:
	s_load_dwordx8 s[12:19], s[4:5], 0x1c
	s_load_dwordx2 s[10:11], s[4:5], 0x10
	s_load_dwordx4 s[0:3], s[4:5], 0x3c
	s_waitcnt lgkmcnt(0)
	s_mul_hi_u32 s9, s15, s6
	s_add_i32 s9, s6, s9
	s_lshr_b32 s9, s9, s16
	s_mul_i32 s15, s9, s17
	s_sub_i32 s16, s6, s15
	s_mul_hi_u32 s15, s16, s18
	s_add_i32 s15, s16, s15
	s_lshr_b32 s15, s15, s19
	s_mul_i32 s0, s15, s0
	s_sub_i32 s0, s16, s0
	;; [unrolled: 5-line block ×3, first 2 shown]
	s_lshl_b32 s0, s16, 2
	s_lshl_b32 s17, s1, 3
	s_add_i32 s0, s0, s7
	s_cmp_lt_i32 s0, s10
	s_cselect_b64 s[0:1], -1, 0
	s_add_i32 s17, s17, s8
	s_cmp_lt_i32 s17, s13
	s_cselect_b64 s[2:3], -1, 0
	s_and_b64 s[0:1], s[0:1], s[2:3]
	s_andn2_b64 vcc, exec, s[0:1]
	s_cbranch_vccnz .LBB7_6
; %bb.1:
	s_load_dwordx4 s[0:3], s[4:5], 0x0
	s_mul_i32 s4, s9, s10
	s_mul_i32 s15, s15, s13
	s_add_i32 s4, s4, s7
	s_mul_i32 s4, s4, s11
	s_add_i32 s9, s17, s15
	;; [unrolled: 2-line block ×3, first 2 shown]
	s_mulk_i32 s5, 0x1c0
	s_mulk_i32 s4, 0x70
	s_add_i32 s4, s4, s5
	v_add_u32_e32 v1, s4, v0
	v_ashrrev_i32_e32 v2, 31, v1
	v_lshlrev_b64 v[1:2], 2, v[1:2]
	s_waitcnt lgkmcnt(0)
	v_mov_b32_e32 v3, s1
	v_add_co_u32_e32 v1, vcc, s0, v1
	v_addc_co_u32_e32 v2, vcc, v3, v2, vcc
	global_load_dword v8, v[1:2], off
	s_mul_i32 s9, s14, s6
	s_lshl_b32 s4, s7, 3
	s_add_i32 s11, s9, s14
	s_add_i32 s0, s4, s8
	s_lshl_b32 s1, s11, 5
	s_add_i32 s0, s0, s1
	s_sub_i32 s0, s0, 32
	s_ashr_i32 s1, s0, 31
	s_lshl_b64 s[0:1], s[0:1], 3
	s_add_u32 s0, s2, s0
	s_addc_u32 s1, s3, s1
	s_load_dword s5, s[0:1], 0x4
	s_add_i32 s10, s11, -2
	s_cmp_lt_i32 s10, s9
	s_cbranch_scc1 .LBB7_4
; %bb.2:
	s_lshl_b32 s16, s12, 7
	s_ashr_i32 s17, s16, 31
	s_lshl_b64 s[16:17], s[16:17], 2
	s_add_u32 s10, s2, s16
	s_addc_u32 s13, s3, s17
	s_add_i32 s6, s6, 1
	s_load_dword s0, s[0:1], 0x0
	s_mul_i32 s1, s14, s6
	s_lshl_b32 s6, s1, 5
	s_add_i32 s6, s8, s6
	s_lshl_b32 s12, s12, 5
	s_add_i32 s6, s6, s12
	s_add_i32 s6, s6, s4
	s_sub_i32 s4, s6, 64
	s_mulk_i32 s7, 0x380
	s_mul_i32 s6, s8, 0x70
	s_mulk_i32 s1, 0xe00
	s_add_i32 s6, s6, s7
	s_add_i32 s6, s6, s1
	v_add_u32_e32 v0, s6, v0
	s_add_i32 s11, s11, -1
	v_add_u32_e32 v3, 0xffffe400, v0
	s_waitcnt lgkmcnt(0)
	v_mov_b32_e32 v7, s5
	v_mov_b32_e32 v6, s0
	v_mov_b32_e32 v0, s13
	s_mov_b32 s6, 0x3fb8aa3b
	s_mov_b32 s7, 0xc2ce8ed0
	;; [unrolled: 1-line block ×3, first 2 shown]
	v_mov_b32_e32 v5, 0x7f800000
	s_mov_b32 s12, 0xc1a00000
.LBB7_3:                                ; =>This Inner Loop Header: Depth=1
	v_ashrrev_i32_e32 v4, 31, v3
	v_lshlrev_b64 v[9:10], 2, v[3:4]
	s_ashr_i32 s5, s4, 31
	v_add_co_u32_e32 v9, vcc, s10, v9
	v_addc_co_u32_e32 v10, vcc, v0, v10, vcc
	global_load_dword v4, v[9:10], off
	s_lshl_b64 s[0:1], s[4:5], 3
	s_add_u32 s0, s2, s0
	s_addc_u32 s1, s3, s1
	s_load_dwordx2 s[14:15], s[0:1], 0x0
	s_waitcnt vmcnt(1)
	v_mov_b32_e32 v9, v8
	v_max_f32_e32 v8, v6, v6
	v_mov_b32_e32 v10, v7
	s_add_i32 s11, s11, -1
	s_waitcnt lgkmcnt(0)
	v_max_f32_e64 v7, s14, s14
	v_max_f32_e32 v7, v8, v7
	v_sub_f32_e32 v11, s14, v7
	v_sub_f32_e32 v8, v6, v7
	v_mul_f32_e32 v12, 0x3fb8aa3b, v11
	v_mov_b32_e32 v6, v7
	v_mul_f32_e32 v7, 0x3fb8aa3b, v8
	v_fma_f32 v15, v11, s6, -v12
	v_rndne_f32_e32 v16, v12
	v_fma_f32 v13, v8, s6, -v7
	v_rndne_f32_e32 v14, v7
	v_fmac_f32_e32 v15, 0x32a5705f, v11
	v_sub_f32_e32 v12, v12, v16
	v_fmac_f32_e32 v13, 0x32a5705f, v8
	v_sub_f32_e32 v7, v7, v14
	v_add_f32_e32 v12, v12, v15
	v_cvt_i32_f32_e32 v16, v16
	v_add_f32_e32 v7, v7, v13
	v_exp_f32_e32 v12, v12
	v_cvt_i32_f32_e32 v14, v14
	v_exp_f32_e32 v7, v7
	v_cmp_ngt_f32_e32 vcc, s7, v11
	v_ldexp_f32 v12, v12, v16
	v_cmp_ngt_f32_e64 s[0:1], s7, v8
	v_ldexp_f32 v7, v7, v14
	v_cndmask_b32_e32 v12, 0, v12, vcc
	v_cmp_nlt_f32_e32 vcc, s8, v11
	v_cndmask_b32_e64 v7, 0, v7, s[0:1]
	v_cmp_nlt_f32_e64 s[0:1], s8, v8
	v_cndmask_b32_e32 v12, v5, v12, vcc
	v_cmp_le_f32_e32 vcc, s12, v11
	v_cndmask_b32_e64 v7, v5, v7, s[0:1]
	v_cmp_le_f32_e64 s[0:1], s12, v8
	v_cndmask_b32_e32 v8, 0, v12, vcc
	s_sub_i32 s4, s4, 32
	v_cndmask_b32_e64 v11, 0, v7, s[0:1]
	v_mul_f32_e32 v7, s15, v8
	v_add_u32_e32 v3, 0xfffff200, v3
	s_cmp_le_i32 s11, s9
	v_fmac_f32_e32 v7, v10, v11
	s_waitcnt vmcnt(0)
	v_mul_f32_e32 v8, v4, v8
	v_fmac_f32_e32 v8, v9, v11
	s_cbranch_scc0 .LBB7_3
	s_branch .LBB7_5
.LBB7_4:
	s_waitcnt lgkmcnt(0)
	v_mov_b32_e32 v7, s5
.LBB7_5:
	s_waitcnt vmcnt(0)
	v_div_scale_f32 v0, s[0:1], v7, v7, v8
	v_div_scale_f32 v3, vcc, v8, v7, v8
	v_rcp_f32_e32 v4, v0
	v_fma_f32 v5, -v0, v4, 1.0
	v_fmac_f32_e32 v4, v5, v4
	v_mul_f32_e32 v5, v3, v4
	v_fma_f32 v6, -v0, v5, v3
	v_fmac_f32_e32 v5, v6, v4
	v_fma_f32 v0, -v0, v5, v3
	v_div_fmas_f32 v0, v0, v4, v5
	v_div_fixup_f32 v0, v0, v7, v8
	global_store_dword v[1:2], v0, off
.LBB7_6:
	s_endpgm
	.section	.rodata,"a",@progbits
	.p2align	6, 0x0
	.amdhsa_kernel _ZL33flash_attn_stream_k_fixup_uniformILi112ELi4ELi8EEvPfPK15HIP_vector_typeIfLj2EEiiiiiiS1_IjLj3EES5_S5_
		.amdhsa_group_segment_fixed_size 0
		.amdhsa_private_segment_fixed_size 0
		.amdhsa_kernarg_size 76
		.amdhsa_user_sgpr_count 6
		.amdhsa_user_sgpr_private_segment_buffer 1
		.amdhsa_user_sgpr_dispatch_ptr 0
		.amdhsa_user_sgpr_queue_ptr 0
		.amdhsa_user_sgpr_kernarg_segment_ptr 1
		.amdhsa_user_sgpr_dispatch_id 0
		.amdhsa_user_sgpr_flat_scratch_init 0
		.amdhsa_user_sgpr_private_segment_size 0
		.amdhsa_uses_dynamic_stack 0
		.amdhsa_system_sgpr_private_segment_wavefront_offset 0
		.amdhsa_system_sgpr_workgroup_id_x 1
		.amdhsa_system_sgpr_workgroup_id_y 1
		.amdhsa_system_sgpr_workgroup_id_z 1
		.amdhsa_system_sgpr_workgroup_info 0
		.amdhsa_system_vgpr_workitem_id 0
		.amdhsa_next_free_vgpr 17
		.amdhsa_next_free_sgpr 20
		.amdhsa_reserve_vcc 1
		.amdhsa_reserve_flat_scratch 0
		.amdhsa_float_round_mode_32 0
		.amdhsa_float_round_mode_16_64 0
		.amdhsa_float_denorm_mode_32 3
		.amdhsa_float_denorm_mode_16_64 3
		.amdhsa_dx10_clamp 1
		.amdhsa_ieee_mode 1
		.amdhsa_fp16_overflow 0
		.amdhsa_exception_fp_ieee_invalid_op 0
		.amdhsa_exception_fp_denorm_src 0
		.amdhsa_exception_fp_ieee_div_zero 0
		.amdhsa_exception_fp_ieee_overflow 0
		.amdhsa_exception_fp_ieee_underflow 0
		.amdhsa_exception_fp_ieee_inexact 0
		.amdhsa_exception_int_div_zero 0
	.end_amdhsa_kernel
	.section	.text._ZL33flash_attn_stream_k_fixup_uniformILi112ELi4ELi8EEvPfPK15HIP_vector_typeIfLj2EEiiiiiiS1_IjLj3EES5_S5_,"axG",@progbits,_ZL33flash_attn_stream_k_fixup_uniformILi112ELi4ELi8EEvPfPK15HIP_vector_typeIfLj2EEiiiiiiS1_IjLj3EES5_S5_,comdat
.Lfunc_end7:
	.size	_ZL33flash_attn_stream_k_fixup_uniformILi112ELi4ELi8EEvPfPK15HIP_vector_typeIfLj2EEiiiiiiS1_IjLj3EES5_S5_, .Lfunc_end7-_ZL33flash_attn_stream_k_fixup_uniformILi112ELi4ELi8EEvPfPK15HIP_vector_typeIfLj2EEiiiiiiS1_IjLj3EES5_S5_
                                        ; -- End function
	.set _ZL33flash_attn_stream_k_fixup_uniformILi112ELi4ELi8EEvPfPK15HIP_vector_typeIfLj2EEiiiiiiS1_IjLj3EES5_S5_.num_vgpr, 17
	.set _ZL33flash_attn_stream_k_fixup_uniformILi112ELi4ELi8EEvPfPK15HIP_vector_typeIfLj2EEiiiiiiS1_IjLj3EES5_S5_.num_agpr, 0
	.set _ZL33flash_attn_stream_k_fixup_uniformILi112ELi4ELi8EEvPfPK15HIP_vector_typeIfLj2EEiiiiiiS1_IjLj3EES5_S5_.numbered_sgpr, 20
	.set _ZL33flash_attn_stream_k_fixup_uniformILi112ELi4ELi8EEvPfPK15HIP_vector_typeIfLj2EEiiiiiiS1_IjLj3EES5_S5_.num_named_barrier, 0
	.set _ZL33flash_attn_stream_k_fixup_uniformILi112ELi4ELi8EEvPfPK15HIP_vector_typeIfLj2EEiiiiiiS1_IjLj3EES5_S5_.private_seg_size, 0
	.set _ZL33flash_attn_stream_k_fixup_uniformILi112ELi4ELi8EEvPfPK15HIP_vector_typeIfLj2EEiiiiiiS1_IjLj3EES5_S5_.uses_vcc, 1
	.set _ZL33flash_attn_stream_k_fixup_uniformILi112ELi4ELi8EEvPfPK15HIP_vector_typeIfLj2EEiiiiiiS1_IjLj3EES5_S5_.uses_flat_scratch, 0
	.set _ZL33flash_attn_stream_k_fixup_uniformILi112ELi4ELi8EEvPfPK15HIP_vector_typeIfLj2EEiiiiiiS1_IjLj3EES5_S5_.has_dyn_sized_stack, 0
	.set _ZL33flash_attn_stream_k_fixup_uniformILi112ELi4ELi8EEvPfPK15HIP_vector_typeIfLj2EEiiiiiiS1_IjLj3EES5_S5_.has_recursion, 0
	.set _ZL33flash_attn_stream_k_fixup_uniformILi112ELi4ELi8EEvPfPK15HIP_vector_typeIfLj2EEiiiiiiS1_IjLj3EES5_S5_.has_indirect_call, 0
	.section	.AMDGPU.csdata,"",@progbits
; Kernel info:
; codeLenInByte = 856
; TotalNumSgprs: 24
; NumVgprs: 17
; ScratchSize: 0
; MemoryBound: 0
; FloatMode: 240
; IeeeMode: 1
; LDSByteSize: 0 bytes/workgroup (compile time only)
; SGPRBlocks: 2
; VGPRBlocks: 4
; NumSGPRsForWavesPerEU: 24
; NumVGPRsForWavesPerEU: 17
; Occupancy: 10
; WaveLimiterHint : 0
; COMPUTE_PGM_RSRC2:SCRATCH_EN: 0
; COMPUTE_PGM_RSRC2:USER_SGPR: 6
; COMPUTE_PGM_RSRC2:TRAP_HANDLER: 0
; COMPUTE_PGM_RSRC2:TGID_X_EN: 1
; COMPUTE_PGM_RSRC2:TGID_Y_EN: 1
; COMPUTE_PGM_RSRC2:TGID_Z_EN: 1
; COMPUTE_PGM_RSRC2:TIDIG_COMP_CNT: 0
	.section	.text._ZL33flash_attn_stream_k_fixup_generalILi112ELi4ELi8EEvPfPK15HIP_vector_typeIfLj2EEiiiiS1_IjLj3EES5_S5_S5_,"axG",@progbits,_ZL33flash_attn_stream_k_fixup_generalILi112ELi4ELi8EEvPfPK15HIP_vector_typeIfLj2EEiiiiS1_IjLj3EES5_S5_S5_,comdat
	.globl	_ZL33flash_attn_stream_k_fixup_generalILi112ELi4ELi8EEvPfPK15HIP_vector_typeIfLj2EEiiiiS1_IjLj3EES5_S5_S5_ ; -- Begin function _ZL33flash_attn_stream_k_fixup_generalILi112ELi4ELi8EEvPfPK15HIP_vector_typeIfLj2EEiiiiS1_IjLj3EES5_S5_S5_
	.p2align	8
	.type	_ZL33flash_attn_stream_k_fixup_generalILi112ELi4ELi8EEvPfPK15HIP_vector_typeIfLj2EEiiiiS1_IjLj3EES5_S5_S5_,@function
_ZL33flash_attn_stream_k_fixup_generalILi112ELi4ELi8EEvPfPK15HIP_vector_typeIfLj2EEiiiiS1_IjLj3EES5_S5_S5_: ; @_ZL33flash_attn_stream_k_fixup_generalILi112ELi4ELi8EEvPfPK15HIP_vector_typeIfLj2EEiiiiS1_IjLj3EES5_S5_S5_
; %bb.0:
	s_load_dwordx4 s[0:3], s[4:5], 0x10
	s_load_dword s22, s[4:5], 0x50
	s_mov_b32 s12, 0
	s_waitcnt lgkmcnt(0)
	s_mul_hi_i32 s13, s3, s6
	s_cmp_lg_u64 s[12:13], 0
	s_mul_i32 s9, s3, s6
	s_cbranch_scc0 .LBB8_20
; %bb.1:
	s_add_u32 s10, s22, 0
	s_addc_u32 s11, 0, 0
	s_xor_b64 s[10:11], s[10:11], 0
	v_cvt_f32_u32_e32 v1, s10
	v_cvt_f32_u32_e32 v2, s11
	s_sub_u32 s12, 0, s10
	s_subb_u32 s18, 0, s11
	v_madmk_f32 v1, v2, 0x4f800000, v1
	v_rcp_f32_e32 v1, v1
	v_mul_f32_e32 v1, 0x5f7ffffc, v1
	v_mul_f32_e32 v2, 0x2f800000, v1
	v_trunc_f32_e32 v2, v2
	v_madmk_f32 v1, v2, 0xcf800000, v1
	v_cvt_u32_f32_e32 v2, v2
	v_cvt_u32_f32_e32 v1, v1
	v_readfirstlane_b32 s19, v2
	v_readfirstlane_b32 s14, v1
	s_mul_i32 s15, s12, s19
	s_mul_hi_u32 s21, s12, s14
	s_mul_i32 s20, s18, s14
	s_add_i32 s15, s21, s15
	s_add_i32 s15, s15, s20
	s_mul_i32 s23, s12, s14
	s_mul_i32 s21, s14, s15
	s_mul_hi_u32 s24, s14, s23
	s_mul_hi_u32 s20, s14, s15
	s_add_u32 s21, s24, s21
	s_addc_u32 s20, 0, s20
	s_mul_hi_u32 s25, s19, s23
	s_mul_i32 s23, s19, s23
	s_add_u32 s21, s21, s23
	s_mul_hi_u32 s24, s19, s15
	s_addc_u32 s20, s20, s25
	s_addc_u32 s21, s24, 0
	s_mul_i32 s15, s19, s15
	s_add_u32 s15, s20, s15
	s_addc_u32 s20, 0, s21
	s_add_u32 s21, s14, s15
	s_cselect_b64 s[14:15], -1, 0
	s_cmp_lg_u64 s[14:15], 0
	s_addc_u32 s19, s19, s20
	s_mul_i32 s14, s12, s19
	s_mul_hi_u32 s15, s12, s21
	s_add_i32 s14, s15, s14
	s_mul_i32 s18, s18, s21
	s_add_i32 s14, s14, s18
	s_mul_i32 s12, s12, s21
	s_mul_hi_u32 s18, s19, s12
	s_mul_i32 s20, s19, s12
	s_mul_i32 s24, s21, s14
	s_mul_hi_u32 s12, s21, s12
	s_mul_hi_u32 s23, s21, s14
	s_add_u32 s12, s12, s24
	s_addc_u32 s23, 0, s23
	s_add_u32 s12, s12, s20
	s_mul_hi_u32 s15, s19, s14
	s_addc_u32 s12, s23, s18
	s_addc_u32 s15, s15, 0
	s_mul_i32 s14, s19, s14
	s_add_u32 s12, s12, s14
	s_addc_u32 s18, 0, s15
	s_add_u32 s20, s21, s12
	s_cselect_b64 s[14:15], -1, 0
	s_cmp_lg_u64 s[14:15], 0
	s_addc_u32 s18, s19, s18
	s_ashr_i32 s14, s13, 31
	s_add_u32 s12, s9, s14
	s_mov_b32 s15, s14
	s_addc_u32 s13, s13, s14
	s_xor_b64 s[12:13], s[12:13], s[14:15]
	s_mul_i32 s21, s12, s18
	s_mul_hi_u32 s23, s12, s20
	s_mul_hi_u32 s19, s12, s18
	s_add_u32 s21, s23, s21
	s_addc_u32 s19, 0, s19
	s_mul_hi_u32 s24, s13, s20
	s_mul_i32 s20, s13, s20
	s_add_u32 s20, s21, s20
	s_mul_hi_u32 s23, s13, s18
	s_addc_u32 s19, s19, s24
	s_addc_u32 s20, s23, 0
	s_mul_i32 s18, s13, s18
	s_add_u32 s23, s19, s18
	s_addc_u32 s24, 0, s20
	s_mul_i32 s18, s10, s24
	s_mul_hi_u32 s19, s10, s23
	s_add_i32 s18, s19, s18
	s_mul_i32 s19, s11, s23
	s_add_i32 s25, s18, s19
	s_sub_i32 s20, s13, s25
	s_mul_i32 s18, s10, s23
	s_sub_u32 s12, s12, s18
	s_cselect_b64 s[18:19], -1, 0
	s_cmp_lg_u64 s[18:19], 0
	s_subb_u32 s26, s20, s11
	s_sub_u32 s27, s12, s10
	s_cselect_b64 s[20:21], -1, 0
	s_cmp_lg_u64 s[20:21], 0
	s_subb_u32 s20, s26, 0
	s_cmp_ge_u32 s20, s11
	s_cselect_b32 s21, -1, 0
	s_cmp_ge_u32 s27, s10
	s_cselect_b32 s26, -1, 0
	s_cmp_eq_u32 s20, s11
	s_cselect_b32 s20, s26, s21
	s_add_u32 s21, s23, 1
	s_addc_u32 s26, s24, 0
	s_add_u32 s27, s23, 2
	s_addc_u32 s28, s24, 0
	s_cmp_lg_u32 s20, 0
	s_cselect_b32 s20, s27, s21
	s_cselect_b32 s21, s28, s26
	s_cmp_lg_u64 s[18:19], 0
	s_subb_u32 s13, s13, s25
	s_cmp_ge_u32 s13, s11
	s_cselect_b32 s18, -1, 0
	s_cmp_ge_u32 s12, s10
	s_cselect_b32 s10, -1, 0
	s_cmp_eq_u32 s13, s11
	s_cselect_b32 s10, s10, s18
	s_cmp_lg_u32 s10, 0
	s_cselect_b32 s11, s21, s24
	s_cselect_b32 s10, s20, s23
	s_xor_b64 s[12:13], s[14:15], 0
	s_xor_b64 s[10:11], s[10:11], s[12:13]
	s_sub_u32 s10, s10, s12
	s_load_dwordx4 s[12:15], s[4:5], 0x44
	s_cbranch_execnz .LBB8_3
.LBB8_2:
	v_cvt_f32_u32_e32 v1, s22
	s_sub_i32 s10, 0, s22
	v_rcp_iflag_f32_e32 v1, v1
	v_mul_f32_e32 v1, 0x4f7ffffe, v1
	v_cvt_u32_f32_e32 v1, v1
	v_readfirstlane_b32 s11, v1
	s_mul_i32 s10, s10, s11
	s_mul_hi_u32 s10, s11, s10
	s_add_i32 s11, s11, s10
	s_mul_hi_u32 s10, s9, s11
	s_waitcnt lgkmcnt(0)
	s_mul_i32 s15, s10, s22
	s_sub_i32 s9, s9, s15
	s_add_i32 s11, s10, 1
	s_sub_i32 s15, s9, s22
	s_cmp_ge_u32 s9, s22
	s_cselect_b32 s10, s11, s10
	s_cselect_b32 s9, s15, s9
	s_add_i32 s11, s10, 1
	s_cmp_ge_u32 s9, s22
	s_cselect_b32 s10, s11, s10
.LBB8_3:
	s_add_i32 s9, s6, 1
	s_mul_hi_i32 s21, s3, s9
	s_mov_b32 s20, 0
	s_cmp_lg_u64 s[20:21], 0
	s_mul_i32 s9, s3, s9
	s_cbranch_scc0 .LBB8_21
; %bb.4:
	s_add_u32 s16, s22, 0
	s_addc_u32 s17, 0, 0
	s_xor_b64 s[18:19], s[16:17], 0
	v_cvt_f32_u32_e32 v1, s18
	v_cvt_f32_u32_e32 v2, s19
	s_sub_u32 s11, 0, s18
	s_waitcnt lgkmcnt(0)
	s_subb_u32 s15, 0, s19
	v_madmk_f32 v1, v2, 0x4f800000, v1
	v_rcp_f32_e32 v1, v1
	v_mul_f32_e32 v1, 0x5f7ffffc, v1
	v_mul_f32_e32 v2, 0x2f800000, v1
	v_trunc_f32_e32 v2, v2
	v_madmk_f32 v1, v2, 0xcf800000, v1
	v_cvt_u32_f32_e32 v2, v2
	v_cvt_u32_f32_e32 v1, v1
	v_readfirstlane_b32 s20, v2
	v_readfirstlane_b32 s23, v1
	s_mul_i32 s24, s11, s20
	s_mul_hi_u32 s26, s11, s23
	s_mul_i32 s25, s15, s23
	s_add_i32 s24, s26, s24
	s_add_i32 s24, s24, s25
	s_mul_i32 s27, s11, s23
	s_mul_i32 s26, s23, s24
	s_mul_hi_u32 s28, s23, s27
	s_mul_hi_u32 s25, s23, s24
	s_add_u32 s26, s28, s26
	s_addc_u32 s25, 0, s25
	s_mul_hi_u32 s29, s20, s27
	s_mul_i32 s27, s20, s27
	s_add_u32 s26, s26, s27
	s_mul_hi_u32 s28, s20, s24
	s_addc_u32 s25, s25, s29
	s_addc_u32 s26, s28, 0
	s_mul_i32 s24, s20, s24
	s_add_u32 s24, s25, s24
	s_addc_u32 s26, 0, s26
	s_add_u32 s23, s23, s24
	s_cselect_b64 s[24:25], -1, 0
	s_cmp_lg_u64 s[24:25], 0
	s_addc_u32 s20, s20, s26
	s_mul_i32 s24, s11, s20
	s_mul_hi_u32 s25, s11, s23
	s_add_i32 s24, s25, s24
	s_mul_i32 s15, s15, s23
	s_add_i32 s24, s24, s15
	s_mul_i32 s11, s11, s23
	s_mul_hi_u32 s25, s20, s11
	s_mul_i32 s26, s20, s11
	s_mul_i32 s28, s23, s24
	s_mul_hi_u32 s11, s23, s11
	s_mul_hi_u32 s27, s23, s24
	s_add_u32 s11, s11, s28
	s_addc_u32 s27, 0, s27
	s_add_u32 s11, s11, s26
	s_mul_hi_u32 s15, s20, s24
	s_addc_u32 s11, s27, s25
	s_addc_u32 s15, s15, 0
	s_mul_i32 s24, s20, s24
	s_add_u32 s11, s11, s24
	s_addc_u32 s15, 0, s15
	s_add_u32 s11, s23, s11
	s_cselect_b64 s[24:25], -1, 0
	s_cmp_lg_u64 s[24:25], 0
	s_addc_u32 s15, s20, s15
	s_ashr_i32 s24, s21, 31
	s_add_u32 s20, s9, s24
	s_mov_b32 s25, s24
	s_addc_u32 s21, s21, s24
	s_xor_b64 s[20:21], s[20:21], s[24:25]
	s_mul_i32 s26, s20, s15
	s_mul_hi_u32 s27, s20, s11
	s_mul_hi_u32 s23, s20, s15
	s_add_u32 s26, s27, s26
	s_addc_u32 s23, 0, s23
	s_mul_hi_u32 s28, s21, s11
	s_mul_i32 s11, s21, s11
	s_add_u32 s11, s26, s11
	s_mul_hi_u32 s27, s21, s15
	s_addc_u32 s11, s23, s28
	s_addc_u32 s23, s27, 0
	s_mul_i32 s15, s21, s15
	s_add_u32 s11, s11, s15
	s_addc_u32 s15, 0, s23
	s_mul_i32 s23, s18, s15
	s_mul_hi_u32 s26, s18, s11
	s_add_i32 s23, s26, s23
	s_mul_i32 s26, s19, s11
	s_add_i32 s23, s23, s26
	s_sub_i32 s28, s21, s23
	s_mul_i32 s26, s18, s11
	s_sub_u32 s20, s20, s26
	s_cselect_b64 s[26:27], -1, 0
	s_cmp_lg_u64 s[26:27], 0
	s_subb_u32 s30, s28, s19
	s_sub_u32 s31, s20, s18
	s_cselect_b64 s[28:29], -1, 0
	s_cmp_lg_u64 s[28:29], 0
	s_subb_u32 s28, s30, 0
	s_cmp_ge_u32 s28, s19
	s_cselect_b32 s29, -1, 0
	s_cmp_ge_u32 s31, s18
	s_cselect_b32 s30, -1, 0
	s_cmp_eq_u32 s28, s19
	s_cselect_b32 s28, s30, s29
	s_add_u32 s29, s11, 1
	s_addc_u32 s30, s15, 0
	s_add_u32 s31, s11, 2
	s_addc_u32 s33, s15, 0
	s_cmp_lg_u32 s28, 0
	s_cselect_b32 s28, s31, s29
	s_cselect_b32 s29, s33, s30
	s_cmp_lg_u64 s[26:27], 0
	s_subb_u32 s21, s21, s23
	s_cmp_ge_u32 s21, s19
	s_cselect_b32 s23, -1, 0
	s_cmp_ge_u32 s20, s18
	s_cselect_b32 s18, -1, 0
	s_cmp_eq_u32 s21, s19
	s_cselect_b32 s18, s18, s23
	s_cmp_lg_u32 s18, 0
	s_cselect_b32 s19, s29, s15
	s_cselect_b32 s18, s28, s11
	s_xor_b64 s[20:21], s[24:25], 0
	s_xor_b64 s[18:19], s[18:19], s[20:21]
	s_sub_u32 s18, s18, s20
	s_cbranch_execnz .LBB8_6
.LBB8_5:
	v_cvt_f32_u32_e32 v1, s22
	s_sub_i32 s11, 0, s22
	v_rcp_iflag_f32_e32 v1, v1
	v_mul_f32_e32 v1, 0x4f7ffffe, v1
	v_cvt_u32_f32_e32 v1, v1
	s_waitcnt lgkmcnt(0)
	v_readfirstlane_b32 s15, v1
	s_mul_i32 s11, s11, s15
	s_mul_hi_u32 s11, s15, s11
	s_add_i32 s15, s15, s11
	s_mul_hi_u32 s11, s9, s15
	s_mul_i32 s16, s11, s22
	s_sub_i32 s9, s9, s16
	s_add_i32 s15, s11, 1
	s_sub_i32 s16, s9, s22
	s_cmp_ge_u32 s9, s22
	s_cselect_b32 s11, s15, s11
	s_cselect_b32 s9, s16, s9
	s_add_i32 s15, s11, 1
	s_cmp_ge_u32 s9, s22
	s_cselect_b32 s18, s15, s11
.LBB8_6:
	s_cmp_eq_u32 s10, s18
	s_waitcnt lgkmcnt(0)
	s_mul_hi_u32 s9, s10, s12
	s_cselect_b64 s[16:17], -1, 0
	s_add_i32 s9, s9, s10
	s_lshr_b32 s11, s9, s13
	s_mul_i32 s9, s11, s14
	s_cmp_eq_u32 s9, s10
	s_mul_hi_u32 s9, s18, s12
	s_cselect_b64 s[20:21], -1, 0
	s_add_i32 s9, s9, s18
	s_lshr_b32 s9, s9, s13
	s_cmp_eq_u32 s11, s9
	s_mul_i32 s9, s9, s14
	s_cselect_b64 s[24:25], -1, 0
	s_cmp_lg_u32 s9, s18
	s_cselect_b64 s[18:19], -1, 0
	s_and_b64 s[18:19], s[24:25], s[18:19]
	s_or_b64 s[16:17], s[16:17], s[20:21]
	s_or_b64 s[16:17], s[16:17], s[18:19]
	s_and_b64 vcc, exec, s[16:17]
	s_cbranch_vccnz .LBB8_23
; %bb.7:
	s_load_dwordx8 s[24:31], s[4:5], 0x20
	s_load_dword s15, s[4:5], 0x40
	s_waitcnt lgkmcnt(0)
	s_mul_hi_u32 s9, s10, s24
	s_add_i32 s9, s9, s10
	s_lshr_b32 s9, s9, s25
	s_mul_i32 s16, s9, s26
	s_sub_i32 s16, s10, s16
	s_mul_hi_u32 s17, s16, s27
	s_add_i32 s17, s16, s17
	s_lshr_b32 s23, s17, s28
	s_mul_i32 s17, s23, s29
	s_sub_i32 s16, s16, s17
	;; [unrolled: 5-line block ×3, first 2 shown]
	s_mul_hi_u32 s16, s15, s12
	s_add_i32 s15, s15, s16
	s_lshr_b32 s24, s15, s13
	s_lshl_b32 s15, s24, 2
	s_lshl_b32 s25, s17, 3
	s_add_i32 s15, s15, s7
	s_cmp_lt_i32 s15, s0
	s_cselect_b64 s[16:17], -1, 0
	s_add_i32 s25, s25, s8
	s_cmp_lt_i32 s25, s2
	s_cselect_b64 s[18:19], -1, 0
	s_and_b64 s[16:17], s[16:17], s[18:19]
	s_andn2_b64 vcc, exec, s[16:17]
	s_cbranch_vccnz .LBB8_23
; %bb.8:
	s_load_dwordx4 s[16:19], s[4:5], 0x0
	s_mov_b32 s4, 0
	s_lshl_b32 s15, s7, 3
	s_lshl_b32 s20, s22, 7
	s_mov_b32 s21, s4
	s_add_i32 s15, s15, s8
	s_lshl_b64 s[20:21], s[20:21], 2
	s_waitcnt lgkmcnt(0)
	s_add_u32 s20, s18, s20
	s_mul_i32 s0, s9, s0
	s_addc_u32 s21, s19, s21
	s_mul_i32 s23, s23, s2
	s_add_i32 s0, s0, s7
	s_mul_i32 s2, s1, s24
	s_mul_i32 s0, s0, s1
	s_add_i32 s1, s25, s23
	s_add_i32 s0, s1, s0
	s_mulk_i32 s2, 0x1c0
	s_mulk_i32 s0, 0x70
	s_add_i32 s2, s2, s0
	v_add_u32_e32 v1, s2, v0
	v_ashrrev_i32_e32 v2, 31, v1
	v_lshlrev_b64 v[1:2], 2, v[1:2]
	v_mov_b32_e32 v3, s17
	v_add_co_u32_e32 v1, vcc, s16, v1
	v_addc_co_u32_e32 v2, vcc, v3, v2, vcc
	global_load_dword v3, v[1:2], off
	v_cvt_f32_u32_e32 v4, s22
	s_lshl_b32 s0, s6, 5
	s_add_i32 s0, s15, s0
	s_ashr_i32 s1, s0, 31
	s_lshl_b64 s[0:1], s[0:1], 3
	v_rcp_iflag_f32_e32 v4, v4
	s_add_u32 s0, s18, s0
	s_addc_u32 s1, s19, s1
	s_load_dwordx2 s[0:1], s[0:1], 0x0
	v_mul_f32_e32 v4, 0x4f7ffffe, v4
	v_cvt_u32_f32_e32 v4, v4
	s_mul_i32 s2, s15, 0x70
	s_add_i32 s24, s6, -1
	v_add_u32_e32 v0, s2, v0
	s_waitcnt lgkmcnt(0)
	v_mov_b32_e32 v6, s1
	v_mov_b32_e32 v7, s0
	s_mov_b32 s2, 0x3fb8aa3b
	s_mov_b32 s16, 0xc2ce8ed0
	;; [unrolled: 1-line block ×4, first 2 shown]
	v_mov_b32_e32 v5, 0x7f800000
	s_mul_hi_i32 s5, s24, s3
	s_cmp_lg_u64 s[4:5], 0
	s_mul_i32 s8, s24, s3
	s_cbranch_scc0 .LBB8_19
.LBB8_9:
	s_add_u32 s0, s22, 0
	s_addc_u32 s1, 0, 0
	s_xor_b64 s[0:1], s[0:1], 0
	v_cvt_f32_u32_e32 v8, s0
	v_cvt_f32_u32_e32 v9, s1
	s_sub_u32 s9, 0, s0
	s_subb_u32 s25, 0, s1
	v_mac_f32_e32 v8, 0x4f800000, v9
	v_rcp_f32_e32 v8, v8
	v_mul_f32_e32 v8, 0x5f7ffffc, v8
	v_mul_f32_e32 v9, 0x2f800000, v8
	v_trunc_f32_e32 v9, v9
	v_mac_f32_e32 v8, 0xcf800000, v9
	v_cvt_u32_f32_e32 v9, v9
	v_cvt_u32_f32_e32 v8, v8
	v_readfirstlane_b32 s26, v9
	v_readfirstlane_b32 s6, v8
	s_mul_i32 s7, s9, s26
	s_mul_hi_u32 s28, s9, s6
	s_mul_i32 s27, s25, s6
	s_add_i32 s7, s28, s7
	s_mul_i32 s29, s9, s6
	s_add_i32 s7, s7, s27
	s_mul_i32 s28, s6, s7
	s_mul_hi_u32 s30, s6, s29
	s_mul_hi_u32 s27, s6, s7
	s_add_u32 s28, s30, s28
	s_addc_u32 s27, 0, s27
	s_mul_hi_u32 s31, s26, s29
	s_mul_i32 s29, s26, s29
	s_add_u32 s28, s28, s29
	s_mul_hi_u32 s30, s26, s7
	s_addc_u32 s27, s27, s31
	s_addc_u32 s28, s30, 0
	s_mul_i32 s7, s26, s7
	s_add_u32 s7, s27, s7
	s_addc_u32 s27, 0, s28
	s_add_u32 s28, s6, s7
	s_cselect_b64 s[6:7], -1, 0
	s_cmp_lg_u64 s[6:7], 0
	s_addc_u32 s26, s26, s27
	s_mul_i32 s6, s9, s26
	s_mul_hi_u32 s7, s9, s28
	s_add_i32 s6, s7, s6
	s_mul_i32 s25, s25, s28
	s_add_i32 s6, s6, s25
	s_mul_i32 s9, s9, s28
	s_mul_hi_u32 s25, s26, s9
	s_mul_i32 s27, s26, s9
	s_mul_i32 s30, s28, s6
	s_mul_hi_u32 s9, s28, s9
	s_mul_hi_u32 s29, s28, s6
	s_add_u32 s9, s9, s30
	s_addc_u32 s29, 0, s29
	s_add_u32 s9, s9, s27
	s_mul_hi_u32 s7, s26, s6
	s_addc_u32 s9, s29, s25
	s_addc_u32 s7, s7, 0
	s_mul_i32 s6, s26, s6
	s_add_u32 s6, s9, s6
	s_addc_u32 s9, 0, s7
	s_add_u32 s25, s28, s6
	s_cselect_b64 s[6:7], -1, 0
	s_cmp_lg_u64 s[6:7], 0
	s_addc_u32 s9, s26, s9
	s_ashr_i32 s6, s5, 31
	s_add_u32 s26, s8, s6
	s_mov_b32 s7, s6
	s_addc_u32 s27, s5, s6
	s_xor_b64 s[26:27], s[26:27], s[6:7]
	s_mul_i32 s28, s26, s9
	s_mul_hi_u32 s29, s26, s25
	s_mul_hi_u32 s5, s26, s9
	s_add_u32 s28, s29, s28
	s_addc_u32 s5, 0, s5
	s_mul_hi_u32 s30, s27, s25
	s_mul_i32 s25, s27, s25
	s_add_u32 s25, s28, s25
	s_mul_hi_u32 s29, s27, s9
	s_addc_u32 s5, s5, s30
	s_addc_u32 s25, s29, 0
	s_mul_i32 s9, s27, s9
	s_add_u32 s5, s5, s9
	s_addc_u32 s9, 0, s25
	s_mul_i32 s25, s0, s9
	s_mul_hi_u32 s28, s0, s5
	s_add_i32 s25, s28, s25
	s_mul_i32 s28, s1, s5
	s_add_i32 s25, s25, s28
	s_sub_i32 s30, s27, s25
	s_mul_i32 s28, s0, s5
	s_sub_u32 s26, s26, s28
	s_cselect_b64 s[28:29], -1, 0
	s_cmp_lg_u64 s[28:29], 0
	s_subb_u32 s33, s30, s1
	s_sub_u32 s34, s26, s0
	s_cselect_b64 s[30:31], -1, 0
	s_cmp_lg_u64 s[30:31], 0
	s_subb_u32 s30, s33, 0
	s_cmp_ge_u32 s30, s1
	s_cselect_b32 s31, -1, 0
	s_cmp_ge_u32 s34, s0
	s_cselect_b32 s33, -1, 0
	s_cmp_eq_u32 s30, s1
	s_cselect_b32 s30, s33, s31
	s_add_u32 s31, s5, 1
	s_addc_u32 s33, s9, 0
	s_add_u32 s34, s5, 2
	s_addc_u32 s35, s9, 0
	s_cmp_lg_u32 s30, 0
	s_cselect_b32 s30, s34, s31
	s_cselect_b32 s31, s35, s33
	s_cmp_lg_u64 s[28:29], 0
	s_subb_u32 s25, s27, s25
	s_cmp_ge_u32 s25, s1
	s_cselect_b32 s27, -1, 0
	s_cmp_ge_u32 s26, s0
	s_cselect_b32 s0, -1, 0
	s_cmp_eq_u32 s25, s1
	s_cselect_b32 s0, s0, s27
	s_cmp_lg_u32 s0, 0
	s_cselect_b32 s1, s31, s9
	s_cselect_b32 s0, s30, s5
	s_xor_b64 s[6:7], s[6:7], 0
	s_xor_b64 s[0:1], s[0:1], s[6:7]
	s_sub_u32 s6, s0, s6
	s_cbranch_execnz .LBB8_11
.LBB8_10:
	s_sub_i32 s0, 0, s22
	v_readfirstlane_b32 s1, v4
	s_mul_i32 s0, s0, s1
	s_mul_hi_u32 s0, s1, s0
	s_add_i32 s1, s1, s0
	s_mul_hi_u32 s0, s8, s1
	s_mul_i32 s5, s0, s22
	s_sub_i32 s5, s8, s5
	s_add_i32 s1, s0, 1
	s_sub_i32 s6, s5, s22
	s_cmp_ge_u32 s5, s22
	s_cselect_b32 s0, s1, s0
	s_cselect_b32 s5, s6, s5
	s_add_i32 s1, s0, 1
	s_cmp_ge_u32 s5, s22
	s_cselect_b32 s6, s1, s0
.LBB8_11:
	s_cmp_lg_u32 s10, s6
	s_mov_b64 s[8:9], -1
                                        ; implicit-def: $sgpr0_sgpr1
                                        ; implicit-def: $vgpr10
                                        ; implicit-def: $vgpr8
                                        ; implicit-def: $vgpr9
                                        ; implicit-def: $sgpr5
                                        ; implicit-def: $sgpr7
	s_cbranch_scc1 .LBB8_14
; %bb.12:
	s_andn2_b64 vcc, exec, s[8:9]
	s_cbranch_vccz .LBB8_17
.LBB8_13:
	s_andn2_b64 vcc, exec, s[0:1]
	s_cbranch_vccnz .LBB8_18
	s_branch .LBB8_22
.LBB8_14:
	s_add_i32 s0, s24, s22
	s_lshl_b32 s0, s0, 5
	s_add_i32 s0, s0, s15
	s_mov_b32 s1, s4
	s_lshl_b64 s[0:1], s[0:1], 3
	s_add_u32 s8, s18, s0
	s_mul_hi_u32 s0, s6, s12
	s_addc_u32 s9, s19, s1
	s_add_i32 s0, s0, s6
	s_lshr_b32 s5, s0, s13
	s_mul_i32 s0, s5, s14
	s_cmp_eq_u32 s0, s6
	s_cselect_b64 s[0:1], -1, 0
	s_cmp_lt_u32 s5, s11
	s_cselect_b64 s[26:27], -1, 0
	s_or_b64 s[26:27], s[26:27], s[0:1]
	s_mov_b64 s[0:1], -1
	s_and_b64 vcc, exec, s[26:27]
	s_mov_b32 s5, s24
	s_mov_b32 s7, s10
	s_cbranch_vccnz .LBB8_16
; %bb.15:
	s_add_i32 s5, s24, -1
	s_mov_b64 s[0:1], 0
	s_mov_b32 s7, s6
.LBB8_16:
	s_mul_i32 s6, s24, 0xe00
	v_add_u32_e32 v8, s6, v0
	v_ashrrev_i32_e32 v9, 31, v8
	v_lshlrev_b64 v[8:9], 2, v[8:9]
	v_mov_b32_e32 v10, s21
	v_add_co_u32_e32 v8, vcc, s20, v8
	v_addc_co_u32_e32 v9, vcc, v10, v9, vcc
	global_load_dword v10, v[8:9], off
	s_load_dwordx2 s[8:9], s[8:9], 0x0
	v_max_f32_e32 v8, v7, v7
	s_waitcnt lgkmcnt(0)
	v_max_f32_e64 v9, s8, s8
	v_max_f32_e32 v8, v8, v9
	v_sub_f32_e32 v9, v7, v8
	v_sub_f32_e32 v11, s8, v8
	v_mul_f32_e32 v12, 0x3fb8aa3b, v9
	v_mul_f32_e32 v13, 0x3fb8aa3b, v11
	v_fma_f32 v14, v9, s2, -v12
	v_rndne_f32_e32 v15, v12
	v_fma_f32 v16, v11, s2, -v13
	v_rndne_f32_e32 v17, v13
	v_fmac_f32_e32 v14, 0x32a5705f, v9
	v_sub_f32_e32 v12, v12, v15
	v_fmac_f32_e32 v16, 0x32a5705f, v11
	v_sub_f32_e32 v13, v13, v17
	v_add_f32_e32 v12, v12, v14
	v_cvt_i32_f32_e32 v15, v15
	v_add_f32_e32 v13, v13, v16
	v_exp_f32_e32 v12, v12
	v_cvt_i32_f32_e32 v17, v17
	v_exp_f32_e32 v13, v13
	v_cmp_ngt_f32_e32 vcc, s16, v9
	v_ldexp_f32 v12, v12, v15
	v_cndmask_b32_e32 v12, 0, v12, vcc
	v_ldexp_f32 v13, v13, v17
	v_cmp_ngt_f32_e32 vcc, s16, v11
	v_cndmask_b32_e32 v13, 0, v13, vcc
	v_cmp_nlt_f32_e32 vcc, s17, v9
	v_cndmask_b32_e32 v12, v5, v12, vcc
	v_cmp_nlt_f32_e32 vcc, s17, v11
	v_cndmask_b32_e32 v13, v5, v13, vcc
	v_cmp_le_f32_e32 vcc, s23, v9
	v_cndmask_b32_e32 v12, 0, v12, vcc
	v_cmp_le_f32_e32 vcc, s23, v11
	v_cndmask_b32_e32 v11, 0, v13, vcc
	v_mul_f32_e32 v9, s9, v11
	v_fmac_f32_e32 v9, v6, v12
	s_waitcnt vmcnt(0)
	v_mul_f32_e32 v10, v10, v11
	v_fmac_f32_e32 v10, v3, v12
	s_cbranch_execnz .LBB8_13
.LBB8_17:
	s_add_i32 s5, s24, -1
	s_mov_b32 s7, s10
	v_mov_b32_e32 v9, v6
	v_mov_b32_e32 v8, v7
	s_waitcnt vmcnt(0)
	v_mov_b32_e32 v10, v3
	s_cbranch_execz .LBB8_22
.LBB8_18:
	s_mov_b32 s10, s7
	s_mov_b32 s24, s5
	v_mov_b32_e32 v6, v9
	v_mov_b32_e32 v7, v8
	s_waitcnt vmcnt(0)
	v_mov_b32_e32 v3, v10
	s_mul_hi_i32 s5, s24, s3
	s_cmp_lg_u64 s[4:5], 0
	s_mul_i32 s8, s24, s3
	s_cbranch_scc1 .LBB8_9
.LBB8_19:
                                        ; implicit-def: $sgpr6_sgpr7
	s_branch .LBB8_10
.LBB8_20:
                                        ; implicit-def: $sgpr10_sgpr11
	s_load_dwordx4 s[12:15], s[4:5], 0x44
	s_branch .LBB8_2
.LBB8_21:
                                        ; implicit-def: $sgpr18_sgpr19
	s_branch .LBB8_5
.LBB8_22:
	v_div_scale_f32 v0, s[0:1], v9, v9, v10
	s_waitcnt vmcnt(0)
	v_div_scale_f32 v3, vcc, v10, v9, v10
	v_rcp_f32_e32 v4, v0
	v_fma_f32 v5, -v0, v4, 1.0
	v_fmac_f32_e32 v4, v5, v4
	v_mul_f32_e32 v5, v3, v4
	v_fma_f32 v6, -v0, v5, v3
	v_fmac_f32_e32 v5, v6, v4
	v_fma_f32 v0, -v0, v5, v3
	v_div_fmas_f32 v0, v0, v4, v5
	v_div_fixup_f32 v0, v0, v9, v10
	global_store_dword v[1:2], v0, off
.LBB8_23:
	s_endpgm
	.section	.rodata,"a",@progbits
	.p2align	6, 0x0
	.amdhsa_kernel _ZL33flash_attn_stream_k_fixup_generalILi112ELi4ELi8EEvPfPK15HIP_vector_typeIfLj2EEiiiiS1_IjLj3EES5_S5_S5_
		.amdhsa_group_segment_fixed_size 0
		.amdhsa_private_segment_fixed_size 0
		.amdhsa_kernarg_size 336
		.amdhsa_user_sgpr_count 6
		.amdhsa_user_sgpr_private_segment_buffer 1
		.amdhsa_user_sgpr_dispatch_ptr 0
		.amdhsa_user_sgpr_queue_ptr 0
		.amdhsa_user_sgpr_kernarg_segment_ptr 1
		.amdhsa_user_sgpr_dispatch_id 0
		.amdhsa_user_sgpr_flat_scratch_init 0
		.amdhsa_user_sgpr_private_segment_size 0
		.amdhsa_uses_dynamic_stack 0
		.amdhsa_system_sgpr_private_segment_wavefront_offset 0
		.amdhsa_system_sgpr_workgroup_id_x 1
		.amdhsa_system_sgpr_workgroup_id_y 1
		.amdhsa_system_sgpr_workgroup_id_z 1
		.amdhsa_system_sgpr_workgroup_info 0
		.amdhsa_system_vgpr_workitem_id 0
		.amdhsa_next_free_vgpr 18
		.amdhsa_next_free_sgpr 36
		.amdhsa_reserve_vcc 1
		.amdhsa_reserve_flat_scratch 0
		.amdhsa_float_round_mode_32 0
		.amdhsa_float_round_mode_16_64 0
		.amdhsa_float_denorm_mode_32 3
		.amdhsa_float_denorm_mode_16_64 3
		.amdhsa_dx10_clamp 1
		.amdhsa_ieee_mode 1
		.amdhsa_fp16_overflow 0
		.amdhsa_exception_fp_ieee_invalid_op 0
		.amdhsa_exception_fp_denorm_src 0
		.amdhsa_exception_fp_ieee_div_zero 0
		.amdhsa_exception_fp_ieee_overflow 0
		.amdhsa_exception_fp_ieee_underflow 0
		.amdhsa_exception_fp_ieee_inexact 0
		.amdhsa_exception_int_div_zero 0
	.end_amdhsa_kernel
	.section	.text._ZL33flash_attn_stream_k_fixup_generalILi112ELi4ELi8EEvPfPK15HIP_vector_typeIfLj2EEiiiiS1_IjLj3EES5_S5_S5_,"axG",@progbits,_ZL33flash_attn_stream_k_fixup_generalILi112ELi4ELi8EEvPfPK15HIP_vector_typeIfLj2EEiiiiS1_IjLj3EES5_S5_S5_,comdat
.Lfunc_end8:
	.size	_ZL33flash_attn_stream_k_fixup_generalILi112ELi4ELi8EEvPfPK15HIP_vector_typeIfLj2EEiiiiS1_IjLj3EES5_S5_S5_, .Lfunc_end8-_ZL33flash_attn_stream_k_fixup_generalILi112ELi4ELi8EEvPfPK15HIP_vector_typeIfLj2EEiiiiS1_IjLj3EES5_S5_S5_
                                        ; -- End function
	.set _ZL33flash_attn_stream_k_fixup_generalILi112ELi4ELi8EEvPfPK15HIP_vector_typeIfLj2EEiiiiS1_IjLj3EES5_S5_S5_.num_vgpr, 18
	.set _ZL33flash_attn_stream_k_fixup_generalILi112ELi4ELi8EEvPfPK15HIP_vector_typeIfLj2EEiiiiS1_IjLj3EES5_S5_S5_.num_agpr, 0
	.set _ZL33flash_attn_stream_k_fixup_generalILi112ELi4ELi8EEvPfPK15HIP_vector_typeIfLj2EEiiiiS1_IjLj3EES5_S5_S5_.numbered_sgpr, 36
	.set _ZL33flash_attn_stream_k_fixup_generalILi112ELi4ELi8EEvPfPK15HIP_vector_typeIfLj2EEiiiiS1_IjLj3EES5_S5_S5_.num_named_barrier, 0
	.set _ZL33flash_attn_stream_k_fixup_generalILi112ELi4ELi8EEvPfPK15HIP_vector_typeIfLj2EEiiiiS1_IjLj3EES5_S5_S5_.private_seg_size, 0
	.set _ZL33flash_attn_stream_k_fixup_generalILi112ELi4ELi8EEvPfPK15HIP_vector_typeIfLj2EEiiiiS1_IjLj3EES5_S5_S5_.uses_vcc, 1
	.set _ZL33flash_attn_stream_k_fixup_generalILi112ELi4ELi8EEvPfPK15HIP_vector_typeIfLj2EEiiiiS1_IjLj3EES5_S5_S5_.uses_flat_scratch, 0
	.set _ZL33flash_attn_stream_k_fixup_generalILi112ELi4ELi8EEvPfPK15HIP_vector_typeIfLj2EEiiiiS1_IjLj3EES5_S5_S5_.has_dyn_sized_stack, 0
	.set _ZL33flash_attn_stream_k_fixup_generalILi112ELi4ELi8EEvPfPK15HIP_vector_typeIfLj2EEiiiiS1_IjLj3EES5_S5_S5_.has_recursion, 0
	.set _ZL33flash_attn_stream_k_fixup_generalILi112ELi4ELi8EEvPfPK15HIP_vector_typeIfLj2EEiiiiS1_IjLj3EES5_S5_S5_.has_indirect_call, 0
	.section	.AMDGPU.csdata,"",@progbits
; Kernel info:
; codeLenInByte = 2944
; TotalNumSgprs: 40
; NumVgprs: 18
; ScratchSize: 0
; MemoryBound: 0
; FloatMode: 240
; IeeeMode: 1
; LDSByteSize: 0 bytes/workgroup (compile time only)
; SGPRBlocks: 4
; VGPRBlocks: 4
; NumSGPRsForWavesPerEU: 40
; NumVGPRsForWavesPerEU: 18
; Occupancy: 10
; WaveLimiterHint : 0
; COMPUTE_PGM_RSRC2:SCRATCH_EN: 0
; COMPUTE_PGM_RSRC2:USER_SGPR: 6
; COMPUTE_PGM_RSRC2:TRAP_HANDLER: 0
; COMPUTE_PGM_RSRC2:TGID_X_EN: 1
; COMPUTE_PGM_RSRC2:TGID_Y_EN: 1
; COMPUTE_PGM_RSRC2:TGID_Z_EN: 1
; COMPUTE_PGM_RSRC2:TIDIG_COMP_CNT: 0
	.section	.text._ZL15flash_attn_tileILi112ELi112ELi2ELi8ELb0EEvPKcS1_S1_S1_S1_PKiPfP15HIP_vector_typeIfLj2EEffffjfiS5_IjLj3EEiiiiiiiiiiiliiliiiiil,"axG",@progbits,_ZL15flash_attn_tileILi112ELi112ELi2ELi8ELb0EEvPKcS1_S1_S1_S1_PKiPfP15HIP_vector_typeIfLj2EEffffjfiS5_IjLj3EEiiiiiiiiiiiliiliiiiil,comdat
	.globl	_ZL15flash_attn_tileILi112ELi112ELi2ELi8ELb0EEvPKcS1_S1_S1_S1_PKiPfP15HIP_vector_typeIfLj2EEffffjfiS5_IjLj3EEiiiiiiiiiiiliiliiiiil ; -- Begin function _ZL15flash_attn_tileILi112ELi112ELi2ELi8ELb0EEvPKcS1_S1_S1_S1_PKiPfP15HIP_vector_typeIfLj2EEffffjfiS5_IjLj3EEiiiiiiiiiiiliiliiiiil
	.p2align	8
	.type	_ZL15flash_attn_tileILi112ELi112ELi2ELi8ELb0EEvPKcS1_S1_S1_S1_PKiPfP15HIP_vector_typeIfLj2EEffffjfiS5_IjLj3EEiiiiiiiiiiiliiliiiiil,@function
_ZL15flash_attn_tileILi112ELi112ELi2ELi8ELb0EEvPKcS1_S1_S1_S1_PKiPfP15HIP_vector_typeIfLj2EEffffjfiS5_IjLj3EEiiiiiiiiiiiliiliiiiil: ; @_ZL15flash_attn_tileILi112ELi112ELi2ELi8ELb0EEvPKcS1_S1_S1_S1_PKiPfP15HIP_vector_typeIfLj2EEffffjfiS5_IjLj3EEiiiiiiiiiiiliiliiiiil
; %bb.0:
	s_load_dwordx4 s[24:27], s[4:5], 0x5c
	s_load_dwordx2 s[28:29], s[4:5], 0x80
	s_load_dwordx16 s[36:51], s[4:5], 0x0
	s_mov_b64 s[30:31], 0
	s_waitcnt lgkmcnt(0)
	s_ashr_i32 s0, s27, 31
	s_lshr_b32 s0, s0, 29
	s_add_i32 s0, s27, s0
	s_ashr_i32 s0, s0, 3
	v_cvt_f32_u32_e32 v2, s0
	s_sub_i32 s1, 0, s0
	v_rcp_iflag_f32_e32 v2, v2
	v_mul_f32_e32 v2, 0x4f7ffffe, v2
	v_cvt_u32_f32_e32 v2, v2
	v_readfirstlane_b32 s2, v2
	s_mul_i32 s1, s1, s2
	s_mul_hi_u32 s1, s2, s1
	s_add_i32 s2, s2, s1
	s_mul_hi_u32 s1, s8, s2
	s_mul_i32 s2, s1, s0
	s_sub_i32 s2, s8, s2
	s_add_i32 s3, s1, 1
	s_sub_i32 s9, s2, s0
	s_cmp_ge_u32 s2, s0
	s_cselect_b32 s1, s3, s1
	s_cselect_b32 s2, s9, s2
	s_add_i32 s3, s1, 1
	s_cmp_ge_u32 s2, s0
	s_cselect_b32 s33, s3, s1
	s_abs_i32 s1, s29
	v_cvt_f32_u32_e32 v2, s1
	s_lshl_b32 s0, s8, 3
	s_sub_i32 s8, 0, s1
	s_abs_i32 s3, s27
	v_rcp_iflag_f32_e32 v2, v2
	s_xor_b32 s2, s27, s29
	s_ashr_i32 s2, s2, 31
	v_mul_f32_e32 v2, 0x4f7ffffe, v2
	v_cvt_u32_f32_e32 v2, v2
	v_readfirstlane_b32 s9, v2
	s_mul_i32 s8, s8, s9
	s_mul_hi_u32 s8, s9, s8
	s_add_i32 s9, s9, s8
	s_mul_hi_u32 s8, s3, s9
	s_mul_i32 s9, s8, s1
	s_sub_i32 s3, s3, s9
	s_add_i32 s10, s8, 1
	s_sub_i32 s9, s3, s1
	s_cmp_ge_u32 s3, s1
	s_cselect_b32 s8, s10, s8
	s_cselect_b32 s3, s9, s3
	s_add_i32 s9, s8, 1
	s_cmp_ge_u32 s3, s1
	s_cselect_b32 s1, s9, s8
	s_xor_b32 s1, s1, s2
	s_sub_i32 s11, s1, s2
	s_abs_i32 s10, s11
	v_cvt_f32_u32_e32 v2, s10
	s_load_dwordx2 s[2:3], s[4:5], 0xb8
	s_mul_i32 s1, s33, s27
	s_cmp_eq_u64 s[42:43], 0
	v_rcp_iflag_f32_e32 v2, v2
	v_mul_f32_e32 v2, 0x4f7ffffe, v2
	v_cvt_u32_f32_e32 v2, v2
	v_readfirstlane_b32 s12, v2
	s_cbranch_scc1 .LBB9_2
; %bb.1:
	s_waitcnt lgkmcnt(0)
	s_abs_i32 s2, s2
	v_cvt_f32_u32_e32 v2, s2
	s_sub_i32 s15, 0, s2
	s_abs_i32 s14, s33
	s_ashr_i32 s13, s33, 31
	v_rcp_iflag_f32_e32 v2, v2
	s_load_dwordx2 s[8:9], s[4:5], 0xc8
	v_mul_f32_e32 v2, 0x4f7ffffe, v2
	v_cvt_u32_f32_e32 v2, v2
	v_readfirstlane_b32 s16, v2
	s_mul_i32 s15, s15, s16
	s_mul_hi_u32 s15, s16, s15
	s_add_i32 s16, s16, s15
	s_mul_hi_u32 s15, s14, s16
	s_mul_i32 s15, s15, s2
	s_sub_i32 s14, s14, s15
	s_sub_i32 s15, s14, s2
	s_cmp_ge_u32 s14, s2
	s_cselect_b32 s14, s15, s14
	s_sub_i32 s15, s14, s2
	s_cmp_ge_u32 s14, s2
	s_cselect_b32 s2, s15, s14
	s_xor_b32 s2, s2, s13
	s_sub_i32 s2, s2, s13
	s_ashr_i32 s13, s2, 31
	s_waitcnt lgkmcnt(0)
	s_mul_hi_u32 s14, s8, s2
	s_mul_i32 s13, s8, s13
	s_mul_i32 s9, s9, s2
	s_add_i32 s13, s14, s13
	s_add_i32 s13, s13, s9
	s_mul_i32 s2, s8, s2
	s_add_u32 s30, s42, s2
	s_addc_u32 s31, s43, s13
.LBB9_2:
	v_lshrrev_b32_e32 v2, 2, v1
	v_lshl_add_u32 v65, s6, 1, v2
	v_mul_hi_u32 v2, s24, v65
	v_lshlrev_b32_e32 v3, 1, v1
	s_sub_i32 s29, s0, s1
	v_cmp_gt_u32_e64 s[0:1], 28, v0
	v_add_u32_e32 v2, v65, v2
	v_lshrrev_b32_e32 v2, s25, v2
	v_mul_lo_u32 v2, v2, s26
	v_lshlrev_b32_e32 v49, 2, v0
	v_lshlrev_b32_e32 v67, 3, v0
	v_and_b32_e32 v66, 6, v3
	v_sub_u32_e32 v2, v65, v2
	s_and_saveexec_b64 s[8:9], s[0:1]
	s_cbranch_execz .LBB9_4
; %bb.3:
	s_load_dwordx4 s[16:19], s[4:5], 0x70
	v_or_b32_e32 v13, 1, v3
	v_and_b32_e32 v14, 7, v13
	v_lshlrev_b32_e32 v12, 2, v49
	s_waitcnt lgkmcnt(0)
	s_mul_i32 s2, s33, s18
	s_ashr_i32 s15, s2, 31
	s_mul_i32 s13, s29, s17
	s_add_u32 s2, s36, s2
	s_addc_u32 s15, s37, s15
	s_ashr_i32 s18, s13, 31
	s_add_u32 s2, s2, s13
	s_mov_b32 s14, s16
	s_addc_u32 s13, s15, s18
	s_ashr_i32 s15, s16, 31
	s_lshr_b64 s[18:19], s[14:15], 2
	v_mad_u64_u32 v[4:5], s[18:19], s18, v2, 0
	s_lshr_b32 s14, s15, 2
	v_mov_b32_e32 v8, s13
	v_mad_u64_u32 v[5:6], s[14:15], s14, v2, v[5:6]
	s_mov_b32 s14, s17
	s_ashr_i32 s15, s17, 31
	s_lshr_b64 s[16:17], s[14:15], 2
	v_lshlrev_b64 v[4:5], 2, v[4:5]
	v_mad_u64_u32 v[6:7], s[18:19], s16, v66, 0
	v_add_co_u32_e32 v10, vcc, s2, v4
	v_addc_co_u32_e32 v11, vcc, v8, v5, vcc
	s_lshr_b32 s2, s15, 2
	v_mad_u64_u32 v[8:9], s[14:15], s16, v14, 0
	v_mov_b32_e32 v4, v7
	v_mad_u64_u32 v[4:5], s[14:15], s2, v66, v[4:5]
	v_mov_b32_e32 v5, v9
	v_add_co_u32_e32 v12, vcc, v10, v12
	v_mad_u64_u32 v[9:10], s[14:15], s2, v14, v[5:6]
	v_mov_b32_e32 v7, v4
	v_lshlrev_b64 v[3:4], 2, v[6:7]
	v_addc_co_u32_e32 v11, vcc, 0, v11, vcc
	v_add_co_u32_e32 v3, vcc, v12, v3
	v_lshlrev_b64 v[7:8], 2, v[8:9]
	v_addc_co_u32_e32 v4, vcc, v11, v4, vcc
	v_add_co_u32_e32 v7, vcc, v12, v7
	global_load_dwordx4 v[3:6], v[3:4], off
	v_addc_co_u32_e32 v8, vcc, v11, v8, vcc
	global_load_dwordx4 v[7:10], v[7:8], off
	s_load_dword s2, s[4:5], 0x40
	v_add_u32_e32 v11, 0x1040, v67
	s_movk_i32 s13, 0x1c0
	s_movk_i32 s14, 0xe0
	v_mad_u32_u24 v12, v1, s13, v11
	v_mad_u32_u24 v11, v13, s14, v11
	s_waitcnt vmcnt(1) lgkmcnt(0)
	v_fma_mixlo_f16 v3, s2, v3, 0
	v_fma_mixlo_f16 v4, s2, v4, 0
	v_fma_mixlo_f16 v5, s2, v5, 0
	v_fma_mixlo_f16 v6, s2, v6, 0
	s_waitcnt vmcnt(0)
	v_fma_mixlo_f16 v7, s2, v7, 0
	v_fma_mixlo_f16 v8, s2, v8, 0
	v_lshlrev_b32_e32 v4, 16, v4
	v_and_b32_e32 v3, 0xffff, v3
	v_fma_mixlo_f16 v9, s2, v9, 0
	v_fma_mixlo_f16 v10, s2, v10, 0
	v_lshlrev_b32_e32 v6, 16, v6
	v_and_b32_e32 v5, 0xffff, v5
	v_lshlrev_b32_e32 v8, 16, v8
	v_and_b32_e32 v7, 0xffff, v7
	v_or_b32_e32 v3, v4, v3
	v_lshlrev_b32_e32 v10, 16, v10
	v_and_b32_e32 v9, 0xffff, v9
	v_or3_b32 v4, v6, v5, 0
	v_or_b32_e32 v5, v8, v7
	v_or3_b32 v3, 0, 0, v3
	v_or3_b32 v6, v10, v9, 0
	;; [unrolled: 1-line block ×3, first 2 shown]
	ds_write_b64 v12, v[3:4]
	ds_write_b64 v11, v[5:6]
.LBB9_4:
	s_or_b64 exec, exec, s[8:9]
	s_cmp_eq_u64 s[46:47], 0
	s_waitcnt lgkmcnt(0)
	s_barrier
	s_cbranch_scc1 .LBB9_6
; %bb.5:
	s_load_dword s2, s[4:5], 0xd0
	s_mov_b32 s9, 0
	s_waitcnt lgkmcnt(0)
	s_mul_i32 s2, s2, s33
	s_add_i32 s8, s2, s6
	s_lshl_b64 s[8:9], s[8:9], 2
	s_add_u32 s8, s46, s8
	s_addc_u32 s9, s47, s9
	s_load_dword s28, s[8:9], 0x0
.LBB9_6:
	s_lshl_b32 s6, s7, 5
	s_waitcnt lgkmcnt(0)
	s_cmp_lt_i32 s6, s28
	v_mbcnt_lo_u32_b32 v3, -1, 0
	s_cbranch_scc1 .LBB9_12
; %bb.7:
	v_mbcnt_hi_u32_b32 v72, -1, v3
	v_and_b32_e32 v4, 0x60, v72
	v_add_u32_e32 v93, 32, v4
	v_xor_b32_e32 v92, 16, v72
	v_xor_b32_e32 v91, 8, v72
	;; [unrolled: 1-line block ×5, first 2 shown]
	s_cbranch_execz .LBB9_13
; %bb.8:
	v_mov_b32_e32 v70, 0
	v_mov_b32_e32 v94, 0
	;; [unrolled: 1-line block ×8, first 2 shown]
.LBB9_9:
	v_cmp_lt_i32_e32 vcc, v92, v93
	v_cndmask_b32_e32 v1, v72, v92, vcc
	v_lshlrev_b32_e32 v1, 2, v1
	ds_bpermute_b32 v2, v1, v95
	ds_bpermute_b32 v1, v1, v94
	v_cmp_lt_i32_e32 vcc, v91, v93
	v_cndmask_b32_e32 v3, v72, v91, vcc
	v_lshlrev_b32_e32 v3, 2, v3
	s_waitcnt lgkmcnt(1)
	v_add_f32_e32 v2, v95, v2
	s_waitcnt lgkmcnt(0)
	v_add_f32_e32 v1, v94, v1
	ds_bpermute_b32 v4, v3, v2
	ds_bpermute_b32 v3, v3, v1
	v_cmp_lt_i32_e32 vcc, v90, v93
	v_cndmask_b32_e32 v5, v72, v90, vcc
	v_lshlrev_b32_e32 v5, 2, v5
	s_waitcnt lgkmcnt(1)
	v_add_f32_e32 v2, v2, v4
	s_waitcnt lgkmcnt(0)
	v_add_f32_e32 v1, v1, v3
	;; [unrolled: 9-line block ×4, first 2 shown]
	ds_bpermute_b32 v4, v5, v2
	ds_bpermute_b32 v5, v5, v3
	s_cmp_lg_u64 s[44:45], 0
	s_cselect_b64 s[2:3], -1, 0
	s_cmp_eq_u32 s7, 0
	s_cselect_b64 s[8:9], -1, 0
	s_and_b64 s[2:3], s[8:9], s[2:3]
	s_waitcnt lgkmcnt(1)
	v_add_f32_e32 v1, v2, v4
	s_waitcnt lgkmcnt(0)
	v_add_f32_e32 v2, v3, v5
	s_and_b64 vcc, exec, s[2:3]
	s_cbranch_vccz .LBB9_40
; %bb.10:
	v_add_u32_e32 v3, s29, v66
	v_ashrrev_i32_e32 v4, 31, v3
	v_lshlrev_b64 v[3:4], 2, v[3:4]
	v_mov_b32_e32 v5, s45
	v_add_co_u32_e32 v3, vcc, s44, v3
	v_addc_co_u32_e32 v4, vcc, v5, v4, vcc
	global_load_dwordx2 v[3:4], v[3:4], off
	v_max_f32_e32 v5, v63, v63
	v_max_f32_e32 v6, v64, v64
	s_mov_b32 s2, 0x3fb8aa3b
	s_mov_b32 s3, 0xc2ce8ed0
	;; [unrolled: 1-line block ×3, first 2 shown]
	v_mov_b32_e32 v7, 0x7f800000
	s_waitcnt vmcnt(0)
	v_max_f32_e32 v8, v3, v3
	v_max_f32_e32 v9, v4, v4
	;; [unrolled: 1-line block ×4, first 2 shown]
	v_sub_f32_e32 v8, v63, v5
	v_sub_f32_e32 v9, v64, v6
	v_mov_b32_e32 v64, v6
	v_sub_f32_e32 v3, v3, v5
	v_mov_b32_e32 v63, v5
	v_mul_f32_e32 v5, 0x3fb8aa3b, v8
	v_sub_f32_e32 v4, v4, v6
	v_mul_f32_e32 v6, 0x3fb8aa3b, v3
	v_fma_f32 v12, v8, s2, -v5
	v_rndne_f32_e32 v13, v5
	v_mul_f32_e32 v10, 0x3fb8aa3b, v9
	v_fma_f32 v14, v3, s2, -v6
	v_rndne_f32_e32 v15, v6
	v_fmac_f32_e32 v12, 0x32a5705f, v8
	v_sub_f32_e32 v5, v5, v13
	v_mul_f32_e32 v11, 0x3fb8aa3b, v4
	v_fma_f32 v16, v9, s2, -v10
	v_rndne_f32_e32 v17, v10
	v_fmac_f32_e32 v14, 0x32a5705f, v3
	v_sub_f32_e32 v6, v6, v15
	v_add_f32_e32 v5, v5, v12
	v_fma_f32 v18, v4, s2, -v11
	v_rndne_f32_e32 v19, v11
	v_cvt_i32_f32_e32 v13, v13
	v_fmac_f32_e32 v16, 0x32a5705f, v9
	v_sub_f32_e32 v10, v10, v17
	v_add_f32_e32 v6, v6, v14
	v_exp_f32_e32 v5, v5
	v_cvt_i32_f32_e32 v15, v15
	v_fmac_f32_e32 v18, 0x32a5705f, v4
	v_sub_f32_e32 v11, v11, v19
	v_add_f32_e32 v10, v10, v16
	v_exp_f32_e32 v6, v6
	v_cvt_i32_f32_e32 v17, v17
	v_add_f32_e32 v11, v11, v18
	v_exp_f32_e32 v10, v10
	v_cvt_i32_f32_e32 v19, v19
	v_exp_f32_e32 v11, v11
	v_ldexp_f32 v5, v5, v13
	v_cmp_ngt_f32_e32 vcc, s3, v8
	v_ldexp_f32 v6, v6, v15
	v_cndmask_b32_e32 v5, 0, v5, vcc
	v_cmp_ngt_f32_e32 vcc, s3, v3
	v_ldexp_f32 v10, v10, v17
	v_cndmask_b32_e32 v6, 0, v6, vcc
	;; [unrolled: 3-line block ×3, first 2 shown]
	v_cmp_ngt_f32_e32 vcc, s3, v4
	v_cndmask_b32_e32 v11, 0, v11, vcc
	v_cmp_nlt_f32_e32 vcc, s6, v8
	v_cndmask_b32_e32 v5, v7, v5, vcc
	v_cmp_nlt_f32_e32 vcc, s6, v3
	;; [unrolled: 2-line block ×4, first 2 shown]
	v_cndmask_b32_e32 v4, v7, v11, vcc
	v_fmac_f32_e32 v3, v1, v5
	v_cvt_f16_f32_e32 v5, v5
	v_cvt_f16_f32_e32 v7, v6
	v_fmac_f32_e32 v4, v2, v6
	v_mov_b32_e32 v1, v3
	v_mul_u32_u24_e32 v2, 0x10001, v5
	v_mul_u32_u24_e32 v5, 0x10001, v7
	v_pk_mul_f16 v70, v70, v2
	v_pk_mul_f16 v71, v71, v2
	;; [unrolled: 1-line block ×4, first 2 shown]
	v_mov_b32_e32 v2, v4
	v_cmp_gt_i32_e32 vcc, s26, v65
	s_and_saveexec_b64 s[2:3], vcc
	s_cbranch_execnz .LBB9_41
.LBB9_11:
	s_endpgm
.LBB9_12:
                                        ; implicit-def: $vgpr72
                                        ; implicit-def: $vgpr93
                                        ; implicit-def: $vgpr92
                                        ; implicit-def: $vgpr91
                                        ; implicit-def: $vgpr90
                                        ; implicit-def: $vgpr89
                                        ; implicit-def: $vgpr88
.LBB9_13:
	s_sub_i32 s2, 0, s10
	s_mul_i32 s2, s2, s12
	s_mul_hi_u32 s2, s12, s2
	s_add_i32 s2, s12, s2
	s_load_dwordx2 s[8:9], s[4:5], 0x8c
	s_load_dwordx4 s[12:15], s[4:5], 0x98
	s_abs_i32 s18, s29
	s_mul_hi_u32 s2, s18, s2
	s_ashr_i32 s19, s29, 31
	s_waitcnt lgkmcnt(0)
	s_ashr_i32 s43, s8, 2
	s_ashr_i32 s42, s14, 2
	;; [unrolled: 1-line block ×4, first 2 shown]
	s_mul_hi_u32 s8, s12, s33
	s_mul_i32 s20, s12, s3
	s_add_i32 s8, s8, s20
	s_mul_i32 s13, s13, s33
	s_ashr_i32 s11, s11, 31
	s_add_i32 s8, s8, s13
	s_mul_i32 s12, s12, s33
	s_add_u32 s12, s38, s12
	s_mul_i32 s13, s2, s10
	s_addc_u32 s8, s39, s8
	s_sub_i32 s13, s18, s13
	s_xor_b32 s11, s19, s11
	s_add_i32 s18, s2, 1
	s_sub_i32 s19, s13, s10
	s_cmp_ge_u32 s13, s10
	s_cselect_b32 s2, s18, s2
	s_cselect_b32 s13, s19, s13
	s_add_i32 s18, s2, 1
	s_cmp_ge_u32 s13, s10
	s_cselect_b32 s2, s18, s2
	s_load_dwordx2 s[16:17], s[4:5], 0xa8
	s_xor_b32 s2, s2, s11
	s_sub_i32 s2, s2, s11
	s_mul_i32 s9, s2, s9
	s_ashr_i32 s10, s9, 31
	s_add_u32 s38, s12, s9
	s_addc_u32 s39, s8, s10
	s_waitcnt lgkmcnt(0)
	s_mul_hi_u32 s8, s16, s33
	s_mul_i32 s3, s16, s3
	s_add_i32 s3, s8, s3
	s_mul_i32 s8, s17, s33
	s_add_i32 s3, s3, s8
	s_mul_i32 s8, s16, s33
	s_add_u32 s8, s40, s8
	s_mul_i32 s2, s2, s15
	s_addc_u32 s3, s41, s3
	s_ashr_i32 s9, s2, 31
	s_add_u32 s40, s8, s2
	s_movk_i32 s8, 0x1c0
	v_mov_b32_e32 v16, 0x1040
	s_addc_u32 s41, s3, s9
	v_lshrrev_b32_e32 v5, 1, v0
	v_mad_u32_u24 v77, v1, s8, v16
	v_mad_u64_u32 v[50:51], s[8:9], v2, s14, v[0:1]
	v_mov_b32_e32 v2, 0x1e40
	v_lshl_add_u32 v10, v1, 4, v5
	v_lshrrev_b32_e32 v5, 2, v0
	v_and_b32_e32 v14, 4, v49
	v_lshl_add_u32 v78, v1, 7, v2
	v_lshrrev_b32_e32 v2, 3, v0
	v_lshl_add_u32 v4, v1, 5, v0
	v_lshl_add_u32 v11, v1, 3, v5
	v_lshlrev_b32_e32 v12, 2, v14
	v_and_b32_e32 v15, 12, v49
	v_lshl_add_u32 v2, v1, 2, v2
	v_mul_u32_u24_e32 v1, 0xe0, v10
	v_cmp_gt_u32_e64 s[2:3], 32, v10
	v_mul_lo_u32 v6, s43, v10
	v_lshlrev_b32_e32 v7, 7, v10
	v_lshlrev_b32_e32 v13, 2, v15
	v_cmp_gt_u32_e64 s[8:9], 16, v10
	v_or_b32_e32 v16, v1, v12
	v_mul_lo_u32 v1, s42, v10
	v_mul_u32_u24_e32 v10, 0xe0, v11
	s_movk_i32 s15, 0x80
	v_cmp_gt_u32_e32 vcc, 32, v4
	v_mul_lo_u32 v4, s43, v4
	v_or3_b32 v75, v7, v12, 64
	v_mul_lo_u32 v8, s43, v11
	v_add3_u32 v79, v10, v13, s15
	v_mul_lo_u32 v10, s42, v11
	v_mul_lo_u32 v12, s42, v2
	v_and_b32_e32 v80, 28, v49
	v_cmp_gt_u32_e64 s[22:23], 32, v11
	v_lshl_or_b32 v76, v11, 7, v13
	v_cmp_gt_u32_e64 s[10:11], 16, v11
	s_movk_i32 s14, 0xe0
	v_lshlrev_b32_e32 v11, 2, v80
	v_ashrrev_i32_e32 v5, 31, v4
	v_ashrrev_i32_e32 v7, 31, v6
	;; [unrolled: 1-line block ×3, first 2 shown]
	v_cmp_gt_u32_e64 s[12:13], 16, v2
	v_mad_u32_u24 v81, v2, s14, v11
	v_ashrrev_i32_e32 v2, 31, v1
	v_ashrrev_i32_e32 v11, 31, v10
	;; [unrolled: 1-line block ×3, first 2 shown]
	v_lshlrev_b32_e32 v73, 7, v0
	s_add_u32 s34, s4, 0xd0
	v_lshlrev_b64 v[51:52], 2, v[4:5]
	v_lshlrev_b64 v[53:54], 2, v[6:7]
	;; [unrolled: 1-line block ×6, first 2 shown]
	v_or_b32_e32 v74, 0x60, v73
	v_mov_b32_e32 v68, 0
	v_add_u32_e32 v82, 0xc0, v16
	s_addc_u32 s35, s5, 0
	s_mov_b32 s46, 0x3fb8aa3b
	s_mov_b32 s47, 0xc2ce8ed0
	;; [unrolled: 1-line block ×4, first 2 shown]
	v_lshlrev_b32_e32 v83, 2, v14
	v_lshlrev_b32_e32 v84, 2, v15
	v_mbcnt_hi_u32_b32 v72, -1, v3
	v_mov_b32_e32 v2, 0xfeffffff
	v_mov_b32_e32 v85, 0x7f800000
	;; [unrolled: 1-line block ×8, first 2 shown]
.LBB9_14:                               ; =>This Inner Loop Header: Depth=1
	s_mul_hi_i32 s15, s6, s43
	s_mul_i32 s14, s6, s43
	s_lshl_b64 s[14:15], s[14:15], 2
	s_add_u32 s18, s38, s14
	s_addc_u32 s19, s39, s15
	s_and_saveexec_b64 s[16:17], vcc
	s_cbranch_execnz .LBB9_32
; %bb.15:                               ;   in Loop: Header=BB9_14 Depth=1
	s_or_b64 exec, exec, s[16:17]
	s_and_saveexec_b64 s[16:17], s[2:3]
	s_cbranch_execnz .LBB9_33
.LBB9_16:                               ;   in Loop: Header=BB9_14 Depth=1
	s_or_b64 exec, exec, s[16:17]
	s_and_saveexec_b64 s[16:17], s[22:23]
	s_cbranch_execz .LBB9_18
.LBB9_17:                               ;   in Loop: Header=BB9_14 Depth=1
	v_mov_b32_e32 v3, s19
	v_add_co_u32_e64 v4, s[14:15], s18, v55
	v_addc_co_u32_e64 v5, s[14:15], v3, v56, s[14:15]
	v_add_co_u32_e64 v3, s[14:15], v4, v84
	v_addc_co_u32_e64 v4, s[14:15], 0, v5, s[14:15]
	global_load_dwordx4 v[3:6], v[3:4], off
	s_waitcnt vmcnt(0)
	ds_write_b128 v76, v[3:6]
.LBB9_18:                               ;   in Loop: Header=BB9_14 Depth=1
	s_or_b64 exec, exec, s[16:17]
	s_waitcnt lgkmcnt(0)
	s_barrier
	ds_read_b128 v[5:8], v73
	ds_read_b128 v[9:12], v77
	ds_read_b128 v[13:16], v77 offset:224
	v_mov_b32_e32 v3, 0
	s_waitcnt lgkmcnt(1)
	;;#ASMSTART
	v_dot2_f32_f16 v3, v5, v9, v3
	;;#ASMEND
	;;#ASMSTART
	v_dot2_f32_f16 v3, v6, v10, v3
	;;#ASMEND
	;; [unrolled: 3-line block ×3, first 2 shown]
	v_mov_b32_e32 v4, 0
	;;#ASMSTART
	v_dot2_f32_f16 v3, v8, v12, v3
	;;#ASMEND
	s_waitcnt lgkmcnt(0)
	;;#ASMSTART
	v_dot2_f32_f16 v4, v5, v13, v4
	;;#ASMEND
	;;#ASMSTART
	v_dot2_f32_f16 v4, v6, v14, v4
	;;#ASMEND
	;;#ASMSTART
	v_dot2_f32_f16 v4, v7, v15, v4
	;;#ASMEND
	;;#ASMSTART
	v_dot2_f32_f16 v4, v8, v16, v4
	;;#ASMEND
	ds_read_b128 v[5:8], v73 offset:16
	ds_read_b128 v[9:12], v77 offset:16
	ds_read_b128 v[13:16], v77 offset:240
	s_waitcnt lgkmcnt(1)
	;;#ASMSTART
	v_dot2_f32_f16 v3, v5, v9, v3
	;;#ASMEND
	;;#ASMSTART
	v_dot2_f32_f16 v3, v6, v10, v3
	;;#ASMEND
	;;#ASMSTART
	v_dot2_f32_f16 v3, v7, v11, v3
	;;#ASMEND
	;;#ASMSTART
	v_dot2_f32_f16 v3, v8, v12, v3
	;;#ASMEND
	s_waitcnt lgkmcnt(0)
	;;#ASMSTART
	v_dot2_f32_f16 v4, v5, v13, v4
	;;#ASMEND
	;;#ASMSTART
	v_dot2_f32_f16 v4, v6, v14, v4
	;;#ASMEND
	;;#ASMSTART
	v_dot2_f32_f16 v4, v7, v15, v4
	;;#ASMEND
	;;#ASMSTART
	v_dot2_f32_f16 v4, v8, v16, v4
	;;#ASMEND
	ds_read_b128 v[5:8], v73 offset:32
	ds_read_b128 v[9:12], v77 offset:32
	ds_read_b128 v[13:16], v77 offset:256
	s_waitcnt lgkmcnt(1)
	;;#ASMSTART
	v_dot2_f32_f16 v3, v5, v9, v3
	;;#ASMEND
	;;#ASMSTART
	v_dot2_f32_f16 v3, v6, v10, v3
	;;#ASMEND
	;;#ASMSTART
	v_dot2_f32_f16 v3, v7, v11, v3
	;;#ASMEND
	;; [unrolled: 29-line block ×6, first 2 shown]
	;;#ASMSTART
	v_dot2_f32_f16 v3, v8, v12, v3
	;;#ASMEND
	s_waitcnt lgkmcnt(0)
	;;#ASMSTART
	v_dot2_f32_f16 v4, v5, v13, v4
	;;#ASMEND
	;;#ASMSTART
	v_dot2_f32_f16 v4, v6, v14, v4
	;;#ASMEND
	;; [unrolled: 3-line block ×4, first 2 shown]
	s_barrier
	s_and_saveexec_b64 s[16:17], vcc
	s_cbranch_execnz .LBB9_34
; %bb.19:                               ;   in Loop: Header=BB9_14 Depth=1
	s_or_b64 exec, exec, s[16:17]
	s_and_saveexec_b64 s[16:17], s[2:3]
	s_cbranch_execnz .LBB9_35
.LBB9_20:                               ;   in Loop: Header=BB9_14 Depth=1
	s_or_b64 exec, exec, s[16:17]
	s_and_saveexec_b64 s[16:17], s[22:23]
	s_cbranch_execz .LBB9_22
.LBB9_21:                               ;   in Loop: Header=BB9_14 Depth=1
	v_mov_b32_e32 v5, s19
	v_add_co_u32_e64 v6, s[14:15], s18, v55
	v_addc_co_u32_e64 v7, s[14:15], v5, v56, s[14:15]
	v_add_co_u32_e64 v5, s[14:15], v6, v84
	v_addc_co_u32_e64 v6, s[14:15], 0, v7, s[14:15]
	global_load_dwordx4 v[5:8], v[5:6], off offset:112
	s_waitcnt vmcnt(0)
	ds_write_b128 v76, v[5:8]
.LBB9_22:                               ;   in Loop: Header=BB9_14 Depth=1
	s_or_b64 exec, exec, s[16:17]
	s_waitcnt lgkmcnt(0)
	s_barrier
	ds_read_b128 v[5:8], v73
	ds_read_b128 v[9:12], v77 offset:112
	ds_read_b128 v[13:16], v77 offset:336
	s_waitcnt lgkmcnt(1)
	;;#ASMSTART
	v_dot2_f32_f16 v3, v5, v9, v3
	;;#ASMEND
	;;#ASMSTART
	v_dot2_f32_f16 v3, v6, v10, v3
	;;#ASMEND
	;;#ASMSTART
	v_dot2_f32_f16 v3, v7, v11, v3
	;;#ASMEND
	;;#ASMSTART
	v_dot2_f32_f16 v3, v8, v12, v3
	;;#ASMEND
	s_waitcnt lgkmcnt(0)
	;;#ASMSTART
	v_dot2_f32_f16 v4, v5, v13, v4
	;;#ASMEND
	;;#ASMSTART
	v_dot2_f32_f16 v4, v6, v14, v4
	;;#ASMEND
	;;#ASMSTART
	v_dot2_f32_f16 v4, v7, v15, v4
	;;#ASMEND
	;;#ASMSTART
	v_dot2_f32_f16 v4, v8, v16, v4
	;;#ASMEND
	ds_read_b128 v[5:8], v73 offset:16
	ds_read_b128 v[9:12], v77 offset:128
	ds_read_b128 v[13:16], v77 offset:352
	s_waitcnt lgkmcnt(1)
	;;#ASMSTART
	v_dot2_f32_f16 v3, v5, v9, v3
	;;#ASMEND
	;;#ASMSTART
	v_dot2_f32_f16 v3, v6, v10, v3
	;;#ASMEND
	;;#ASMSTART
	v_dot2_f32_f16 v3, v7, v11, v3
	;;#ASMEND
	;;#ASMSTART
	v_dot2_f32_f16 v3, v8, v12, v3
	;;#ASMEND
	s_waitcnt lgkmcnt(0)
	;;#ASMSTART
	v_dot2_f32_f16 v4, v5, v13, v4
	;;#ASMEND
	;;#ASMSTART
	v_dot2_f32_f16 v4, v6, v14, v4
	;;#ASMEND
	;;#ASMSTART
	v_dot2_f32_f16 v4, v7, v15, v4
	;;#ASMEND
	;;#ASMSTART
	v_dot2_f32_f16 v4, v8, v16, v4
	;;#ASMEND
	ds_read_b128 v[5:8], v73 offset:32
	ds_read_b128 v[9:12], v77 offset:144
	ds_read_b128 v[13:16], v77 offset:368
	s_waitcnt lgkmcnt(1)
	;;#ASMSTART
	v_dot2_f32_f16 v3, v5, v9, v3
	;;#ASMEND
	;;#ASMSTART
	v_dot2_f32_f16 v3, v6, v10, v3
	;;#ASMEND
	;;#ASMSTART
	v_dot2_f32_f16 v3, v7, v11, v3
	;;#ASMEND
	;;#ASMSTART
	v_dot2_f32_f16 v3, v8, v12, v3
	;;#ASMEND
	s_waitcnt lgkmcnt(0)
	;;#ASMSTART
	v_dot2_f32_f16 v4, v5, v13, v4
	;;#ASMEND
	;;#ASMSTART
	v_dot2_f32_f16 v4, v6, v14, v4
	;;#ASMEND
	;;#ASMSTART
	v_dot2_f32_f16 v4, v7, v15, v4
	;;#ASMEND
	;;#ASMSTART
	v_dot2_f32_f16 v4, v8, v16, v4
	;;#ASMEND
	ds_read_b128 v[5:8], v73 offset:48
	ds_read_b128 v[9:12], v77 offset:160
	ds_read_b128 v[13:16], v77 offset:384
	s_waitcnt lgkmcnt(1)
	;;#ASMSTART
	v_dot2_f32_f16 v3, v5, v9, v3
	;;#ASMEND
	;;#ASMSTART
	v_dot2_f32_f16 v3, v6, v10, v3
	;;#ASMEND
	;;#ASMSTART
	v_dot2_f32_f16 v3, v7, v11, v3
	;;#ASMEND
	;;#ASMSTART
	v_dot2_f32_f16 v3, v8, v12, v3
	;;#ASMEND
	s_waitcnt lgkmcnt(0)
	;;#ASMSTART
	v_dot2_f32_f16 v4, v5, v13, v4
	;;#ASMEND
	;;#ASMSTART
	v_dot2_f32_f16 v4, v6, v14, v4
	;;#ASMEND
	;;#ASMSTART
	v_dot2_f32_f16 v4, v7, v15, v4
	;;#ASMEND
	;;#ASMSTART
	v_dot2_f32_f16 v4, v8, v16, v4
	;;#ASMEND
	ds_read_b128 v[5:8], v73 offset:64
	ds_read_b128 v[9:12], v77 offset:176
	ds_read_b128 v[13:16], v77 offset:400
	s_waitcnt lgkmcnt(1)
	;;#ASMSTART
	v_dot2_f32_f16 v3, v5, v9, v3
	;;#ASMEND
	;;#ASMSTART
	v_dot2_f32_f16 v3, v6, v10, v3
	;;#ASMEND
	;;#ASMSTART
	v_dot2_f32_f16 v3, v7, v11, v3
	;;#ASMEND
	;;#ASMSTART
	v_dot2_f32_f16 v3, v8, v12, v3
	;;#ASMEND
	s_waitcnt lgkmcnt(0)
	;;#ASMSTART
	v_dot2_f32_f16 v4, v5, v13, v4
	;;#ASMEND
	;;#ASMSTART
	v_dot2_f32_f16 v4, v6, v14, v4
	;;#ASMEND
	;;#ASMSTART
	v_dot2_f32_f16 v4, v7, v15, v4
	;;#ASMEND
	;;#ASMSTART
	v_dot2_f32_f16 v4, v8, v16, v4
	;;#ASMEND
	ds_read_b128 v[5:8], v73 offset:80
	ds_read_b128 v[9:12], v77 offset:192
	ds_read_b128 v[13:16], v77 offset:416
	s_waitcnt lgkmcnt(1)
	;;#ASMSTART
	v_dot2_f32_f16 v3, v5, v9, v3
	;;#ASMEND
	;;#ASMSTART
	v_dot2_f32_f16 v3, v6, v10, v3
	;;#ASMEND
	;;#ASMSTART
	v_dot2_f32_f16 v3, v7, v11, v3
	;;#ASMEND
	;;#ASMSTART
	v_dot2_f32_f16 v3, v8, v12, v3
	;;#ASMEND
	s_waitcnt lgkmcnt(0)
	;;#ASMSTART
	v_dot2_f32_f16 v4, v5, v13, v4
	;;#ASMEND
	;;#ASMSTART
	v_dot2_f32_f16 v4, v6, v14, v4
	;;#ASMEND
	;;#ASMSTART
	v_dot2_f32_f16 v4, v7, v15, v4
	;;#ASMEND
	;;#ASMSTART
	v_dot2_f32_f16 v4, v8, v16, v4
	;;#ASMEND
	ds_read_b128 v[5:8], v73 offset:96
	ds_read_b128 v[9:12], v77 offset:208
	ds_read_b128 v[13:16], v77 offset:432
	s_waitcnt lgkmcnt(1)
	;;#ASMSTART
	v_dot2_f32_f16 v3, v5, v9, v3
	;;#ASMEND
	;;#ASMSTART
	v_dot2_f32_f16 v3, v6, v10, v3
	;;#ASMEND
	;; [unrolled: 3-line block ×4, first 2 shown]
	s_waitcnt lgkmcnt(0)
	;;#ASMSTART
	v_dot2_f32_f16 v4, v5, v13, v4
	;;#ASMEND
	v_add_u32_e32 v5, s6, v50
	;;#ASMSTART
	v_dot2_f32_f16 v4, v6, v14, v4
	;;#ASMEND
	v_ashrrev_i32_e32 v6, 31, v5
	v_lshlrev_b64 v[5:6], 1, v[5:6]
	;;#ASMSTART
	v_dot2_f32_f16 v4, v7, v15, v4
	;;#ASMEND
	v_mov_b32_e32 v7, s31
	v_add_co_u32_e64 v5, s[14:15], s30, v5
	v_addc_co_u32_e64 v6, s[14:15], v7, v6, s[14:15]
	;;#ASMSTART
	v_dot2_f32_f16 v4, v8, v16, v4
	;;#ASMEND
	global_load_ushort v5, v[5:6], off
	v_and_b32_e32 v6, 0x60, v72
	v_xor_b32_e32 v92, 16, v72
	s_mul_hi_i32 s15, s6, s42
	s_mul_i32 s14, s6, s42
	v_add_u32_e32 v93, 32, v6
	s_lshl_b64 s[24:25], s[14:15], 2
	v_cmp_lt_i32_e64 s[14:15], v92, v93
	v_max_f32_e32 v7, v2, v2
	v_cndmask_b32_e64 v6, v72, v92, s[14:15]
	v_max_f32_e32 v8, v1, v1
	v_lshlrev_b32_e32 v6, 2, v6
	v_xor_b32_e32 v91, 8, v72
	v_cmp_lt_i32_e64 s[14:15], v91, v93
	v_xor_b32_e32 v90, 4, v72
	v_xor_b32_e32 v89, 2, v72
	;; [unrolled: 1-line block ×3, first 2 shown]
	s_add_u32 s54, s40, s24
	v_add_u32_e32 v9, v78, v49
	s_addc_u32 s55, s41, s25
	s_waitcnt vmcnt(0)
	s_barrier
	v_cvt_f32_f16_e32 v5, v5
	v_add_f32_e32 v3, v3, v5
	v_add_f32_e32 v4, v4, v5
	;; [unrolled: 1-line block ×4, first 2 shown]
	v_max_f32_e32 v5, v7, v5
	v_max_f32_e32 v7, v8, v10
	ds_bpermute_b32 v8, v6, v5
	ds_bpermute_b32 v6, v6, v7
	v_cndmask_b32_e64 v10, v72, v91, s[14:15]
	v_lshlrev_b32_e32 v10, 2, v10
	v_cmp_lt_i32_e64 s[14:15], v90, v93
	s_waitcnt lgkmcnt(1)
	v_max_f32_e32 v8, v8, v8
	s_waitcnt lgkmcnt(0)
	v_max_f32_e32 v6, v6, v6
	v_max_f32_e32 v5, v5, v8
	v_max_f32_e32 v6, v7, v6
	ds_bpermute_b32 v7, v10, v5
	ds_bpermute_b32 v8, v10, v6
	v_cndmask_b32_e64 v10, v72, v90, s[14:15]
	v_lshlrev_b32_e32 v10, 2, v10
	v_cmp_lt_i32_e64 s[14:15], v89, v93
	s_waitcnt lgkmcnt(1)
	v_max_f32_e32 v7, v7, v7
	s_waitcnt lgkmcnt(0)
	v_max_f32_e32 v8, v8, v8
	;; [unrolled: 11-line block ×3, first 2 shown]
	v_max_f32_e32 v5, v5, v7
	v_max_f32_e32 v6, v6, v8
	ds_bpermute_b32 v7, v10, v5
	ds_bpermute_b32 v8, v10, v6
	v_cndmask_b32_e64 v10, v72, v88, s[14:15]
	v_lshlrev_b32_e32 v10, 2, v10
	s_waitcnt lgkmcnt(1)
	v_max_f32_e32 v7, v7, v7
	s_waitcnt lgkmcnt(0)
	v_max_f32_e32 v8, v8, v8
	v_max_f32_e32 v5, v5, v7
	;; [unrolled: 1-line block ×3, first 2 shown]
	ds_bpermute_b32 v7, v10, v5
	ds_bpermute_b32 v8, v10, v6
	s_waitcnt lgkmcnt(1)
	v_max_f32_e32 v7, v7, v7
	s_waitcnt lgkmcnt(0)
	v_max_f32_e32 v8, v8, v8
	v_max_f32_e32 v63, v5, v7
	v_max_f32_e32 v64, v6, v8
	v_sub_f32_e32 v97, v2, v63
	v_sub_f32_e32 v2, v3, v63
	;; [unrolled: 1-line block ×3, first 2 shown]
	v_mul_f32_e32 v4, 0x3fb8aa3b, v2
	v_mul_f32_e32 v5, 0x3fb8aa3b, v3
	v_fma_f32 v6, v2, s46, -v4
	v_rndne_f32_e32 v7, v4
	v_fma_f32 v8, v3, s46, -v5
	v_rndne_f32_e32 v10, v5
	v_fmac_f32_e32 v6, 0x32a5705f, v2
	v_sub_f32_e32 v4, v4, v7
	v_fmac_f32_e32 v8, 0x32a5705f, v3
	v_sub_f32_e32 v5, v5, v10
	v_add_f32_e32 v4, v4, v6
	v_cvt_i32_f32_e32 v7, v7
	v_add_f32_e32 v5, v5, v8
	v_exp_f32_e32 v4, v4
	v_cvt_i32_f32_e32 v10, v10
	v_exp_f32_e32 v5, v5
	v_sub_f32_e32 v98, v1, v64
	v_ldexp_f32 v1, v4, v7
	v_cmp_ngt_f32_e64 s[16:17], s47, v2
	v_ldexp_f32 v4, v5, v10
	v_cndmask_b32_e64 v1, 0, v1, s[16:17]
	v_cmp_ngt_f32_e64 s[16:17], s47, v3
	v_cndmask_b32_e64 v4, 0, v4, s[16:17]
	v_cmp_nlt_f32_e64 s[16:17], s52, v2
	v_cndmask_b32_e64 v95, v85, v1, s[16:17]
	v_cmp_nlt_f32_e64 s[16:17], s52, v3
	v_cndmask_b32_e64 v94, v85, v4, s[16:17]
	v_cvt_f16_f32_e32 v1, v95
	v_cvt_f16_f32_e32 v2, v94
	v_cmp_ngt_f32_e64 s[14:15], s47, v97
	v_cmp_nlt_f32_e64 s[20:21], s52, v97
	v_cmp_ngt_f32_e64 s[16:17], s47, v98
	v_cmp_nlt_f32_e64 s[18:19], s52, v98
	v_pack_b32_f16 v1, v1, v2
	ds_write_b32 v9, v1
	s_and_saveexec_b64 s[36:37], s[8:9]
	s_cbranch_execnz .LBB9_36
; %bb.23:                               ;   in Loop: Header=BB9_14 Depth=1
	s_or_b64 exec, exec, s[36:37]
	s_and_saveexec_b64 s[36:37], s[10:11]
	s_cbranch_execnz .LBB9_37
.LBB9_24:                               ;   in Loop: Header=BB9_14 Depth=1
	s_or_b64 exec, exec, s[36:37]
	v_lshlrev_b32_e32 v99, 2, v80
	s_and_saveexec_b64 s[36:37], s[12:13]
	s_cbranch_execz .LBB9_26
.LBB9_25:                               ;   in Loop: Header=BB9_14 Depth=1
	v_mov_b32_e32 v1, s55
	v_add_co_u32_e64 v2, s[24:25], s54, v61
	v_addc_co_u32_e64 v3, s[24:25], v1, v62, s[24:25]
	v_add_co_u32_e64 v1, s[24:25], v2, v99
	v_addc_co_u32_e64 v2, s[24:25], 0, v3, s[24:25]
	global_load_dwordx4 v[1:4], v[1:2], off
	s_waitcnt vmcnt(0)
	ds_write_b128 v81, v[1:4]
.LBB9_26:                               ;   in Loop: Header=BB9_14 Depth=1
	s_or_b64 exec, exec, s[36:37]
	s_waitcnt lgkmcnt(0)
	s_barrier
	ds_read2_b64 v[29:32], v67 offset1:28
	ds_read_b128 v[45:48], v78
	ds_read_b128 v[41:44], v78 offset:16
	ds_read_b128 v[37:40], v78 offset:32
	;; [unrolled: 1-line block ×3, first 2 shown]
	ds_read2_b64 v[25:28], v67 offset0:56 offset1:84
	ds_read2_b64 v[21:24], v67 offset0:112 offset1:140
	;; [unrolled: 1-line block ×4, first 2 shown]
	v_add_u32_e32 v96, 0x800, v67
	ds_read2_b64 v[9:12], v96 offset0:24 offset1:52
	ds_read2_b64 v[5:8], v96 offset0:80 offset1:108
	;; [unrolled: 1-line block ×3, first 2 shown]
	s_or_b32 s24, s6, 16
	s_mul_hi_i32 s25, s24, s42
	s_mul_i32 s24, s24, s42
	s_lshl_b64 s[24:25], s[24:25], 2
	s_add_u32 s54, s40, s24
	s_addc_u32 s55, s41, s25
	s_waitcnt lgkmcnt(0)
	s_barrier
	s_and_saveexec_b64 s[36:37], s[8:9]
	s_cbranch_execnz .LBB9_38
; %bb.27:                               ;   in Loop: Header=BB9_14 Depth=1
	s_or_b64 exec, exec, s[36:37]
	s_and_saveexec_b64 s[36:37], s[10:11]
	s_cbranch_execnz .LBB9_39
.LBB9_28:                               ;   in Loop: Header=BB9_14 Depth=1
	s_or_b64 exec, exec, s[36:37]
	s_and_saveexec_b64 s[36:37], s[12:13]
	s_cbranch_execz .LBB9_30
.LBB9_29:                               ;   in Loop: Header=BB9_14 Depth=1
	v_mov_b32_e32 v100, s55
	v_add_co_u32_e64 v101, s[24:25], s54, v61
	v_addc_co_u32_e64 v100, s[24:25], v100, v62, s[24:25]
	v_add_co_u32_e64 v99, s[24:25], v101, v99
	v_addc_co_u32_e64 v100, s[24:25], 0, v100, s[24:25]
	global_load_dwordx4 v[99:102], v[99:100], off
	s_waitcnt vmcnt(0)
	ds_write_b128 v81, v[99:102]
.LBB9_30:                               ;   in Loop: Header=BB9_14 Depth=1
	s_or_b64 exec, exec, s[36:37]
	v_mul_f32_e32 v99, 0x3fb8aa3b, v97
	v_fma_f32 v100, v97, s46, -v99
	v_fmac_f32_e32 v100, 0x32a5705f, v97
	v_rndne_f32_e32 v97, v99
	v_sub_f32_e32 v99, v99, v97
	v_add_f32_e32 v99, v99, v100
	v_mul_f32_e32 v100, 0x3fb8aa3b, v98
	v_fma_f32 v101, v98, s46, -v100
	v_fmac_f32_e32 v101, 0x32a5705f, v98
	v_rndne_f32_e32 v98, v100
	v_sub_f32_e32 v100, v100, v98
	v_add_f32_e32 v100, v100, v101
	v_exp_f32_e32 v99, v99
	v_cvt_i32_f32_e32 v97, v97
	v_exp_f32_e32 v100, v100
	v_cvt_i32_f32_e32 v98, v98
	v_mul_u32_u24_sdwa v101, v41, s53 dst_sel:DWORD dst_unused:UNUSED_PAD src0_sel:WORD_0 src1_sel:DWORD
	v_ldexp_f32 v97, v99, v97
	v_cndmask_b32_e64 v97, 0, v97, s[14:15]
	v_ldexp_f32 v98, v100, v98
	v_cndmask_b32_e64 v98, 0, v98, s[16:17]
	v_cndmask_b32_e64 v97, v85, v97, s[20:21]
	;; [unrolled: 1-line block ×3, first 2 shown]
	v_cvt_f16_f32_e32 v99, v97
	v_cvt_f16_f32_e32 v100, v98
	v_fmac_f32_e32 v95, v86, v97
	v_fmac_f32_e32 v94, v87, v98
	v_mul_u32_u24_e32 v86, 0x10001, v99
	v_mul_u32_u24_e32 v87, 0x10001, v100
	v_mul_u32_u24_sdwa v97, v45, s53 dst_sel:DWORD dst_unused:UNUSED_PAD src0_sel:WORD_0 src1_sel:DWORD
	v_mul_u32_u24_sdwa v45, v45, s53 dst_sel:DWORD dst_unused:UNUSED_PAD src0_sel:WORD_1 src1_sel:DWORD
	v_pk_mul_f16 v71, v71, v86
	v_pk_mul_f16 v68, v68, v87
	v_pk_mul_f16 v113, v29, v97
	v_pk_mul_f16 v29, v29, v45
	v_mul_u32_u24_sdwa v98, v46, s53 dst_sel:DWORD dst_unused:UNUSED_PAD src0_sel:WORD_0 src1_sel:DWORD
	v_mul_u32_u24_sdwa v46, v46, s53 dst_sel:DWORD dst_unused:UNUSED_PAD src0_sel:WORD_1 src1_sel:DWORD
	v_pk_fma_f16 v70, v70, v86, v113
	v_pk_fma_f16 v29, v69, v87, v29
	v_pk_fma_f16 v69, v30, v97, v71
	v_pk_fma_f16 v30, v30, v45, v68
	v_mul_u32_u24_sdwa v99, v47, s53 dst_sel:DWORD dst_unused:UNUSED_PAD src0_sel:WORD_0 src1_sel:DWORD
	v_mul_u32_u24_sdwa v47, v47, s53 dst_sel:DWORD dst_unused:UNUSED_PAD src0_sel:WORD_1 src1_sel:DWORD
	v_pk_fma_f16 v45, v31, v98, v70
	v_pk_fma_f16 v29, v31, v46, v29
	v_pk_fma_f16 v31, v32, v98, v69
	v_pk_fma_f16 v30, v32, v46, v30
	;; [unrolled: 6-line block ×3, first 2 shown]
	v_mul_u32_u24_sdwa v41, v41, s53 dst_sel:DWORD dst_unused:UNUSED_PAD src0_sel:WORD_1 src1_sel:DWORD
	v_pk_fma_f16 v30, v27, v100, v32
	v_pk_fma_f16 v25, v27, v48, v25
	v_pk_fma_f16 v27, v28, v100, v29
	v_pk_fma_f16 v26, v28, v48, v26
	v_mul_u32_u24_sdwa v102, v42, s53 dst_sel:DWORD dst_unused:UNUSED_PAD src0_sel:WORD_0 src1_sel:DWORD
	v_mul_u32_u24_sdwa v42, v42, s53 dst_sel:DWORD dst_unused:UNUSED_PAD src0_sel:WORD_1 src1_sel:DWORD
	v_pk_fma_f16 v28, v21, v101, v30
	v_pk_fma_f16 v21, v21, v41, v25
	v_pk_fma_f16 v25, v22, v101, v27
	v_pk_fma_f16 v22, v22, v41, v26
	v_mul_u32_u24_sdwa v103, v43, s53 dst_sel:DWORD dst_unused:UNUSED_PAD src0_sel:WORD_0 src1_sel:DWORD
	;; [unrolled: 6-line block ×11, first 2 shown]
	v_mul_u32_u24_sdwa v36, v36, s53 dst_sel:DWORD dst_unused:UNUSED_PAD src0_sel:WORD_1 src1_sel:DWORD
	v_pk_fma_f16 v8, v1, v111, v10
	v_pk_fma_f16 v1, v1, v35, v5
	;; [unrolled: 1-line block ×8, first 2 shown]
	s_waitcnt lgkmcnt(0)
	s_barrier
	ds_read_b128 v[1:4], v78 offset:64
	ds_read2_b64 v[5:8], v67 offset1:28
	ds_read_b128 v[9:12], v78 offset:80
	ds_read_b128 v[13:16], v78 offset:96
	;; [unrolled: 1-line block ×3, first 2 shown]
	s_waitcnt lgkmcnt(4)
	v_mul_u32_u24_sdwa v25, v1, s53 dst_sel:DWORD dst_unused:UNUSED_PAD src0_sel:WORD_0 src1_sel:DWORD
	v_mul_u32_u24_sdwa v1, v1, s53 dst_sel:DWORD dst_unused:UNUSED_PAD src0_sel:WORD_1 src1_sel:DWORD
	s_waitcnt lgkmcnt(3)
	v_pk_fma_f16 v21, v5, v25, v21
	v_pk_fma_f16 v5, v5, v1, v22
	;; [unrolled: 1-line block ×4, first 2 shown]
	v_mul_u32_u24_sdwa v6, v2, s53 dst_sel:DWORD dst_unused:UNUSED_PAD src0_sel:WORD_0 src1_sel:DWORD
	v_pk_fma_f16 v26, v7, v6, v21
	ds_read2_b64 v[21:24], v67 offset0:56 offset1:84
	v_mul_u32_u24_sdwa v2, v2, s53 dst_sel:DWORD dst_unused:UNUSED_PAD src0_sel:WORD_1 src1_sel:DWORD
	v_pk_fma_f16 v5, v7, v2, v5
	v_pk_fma_f16 v6, v8, v6, v25
	;; [unrolled: 1-line block ×3, first 2 shown]
	v_mul_u32_u24_sdwa v2, v3, s53 dst_sel:DWORD dst_unused:UNUSED_PAD src0_sel:WORD_0 src1_sel:DWORD
	v_mul_u32_u24_sdwa v3, v3, s53 dst_sel:DWORD dst_unused:UNUSED_PAD src0_sel:WORD_1 src1_sel:DWORD
	s_waitcnt lgkmcnt(0)
	v_pk_fma_f16 v7, v21, v2, v26
	v_pk_fma_f16 v5, v21, v3, v5
	;; [unrolled: 1-line block ×4, first 2 shown]
	v_mul_u32_u24_sdwa v21, v4, s53 dst_sel:DWORD dst_unused:UNUSED_PAD src0_sel:WORD_0 src1_sel:DWORD
	v_mul_u32_u24_sdwa v22, v4, s53 dst_sel:DWORD dst_unused:UNUSED_PAD src0_sel:WORD_1 src1_sel:DWORD
	ds_read2_b64 v[1:4], v67 offset0:112 offset1:140
	v_pk_fma_f16 v7, v23, v21, v7
	v_pk_fma_f16 v5, v23, v22, v5
	;; [unrolled: 1-line block ×4, first 2 shown]
	v_mul_u32_u24_sdwa v21, v9, s53 dst_sel:DWORD dst_unused:UNUSED_PAD src0_sel:WORD_0 src1_sel:DWORD
	v_mul_u32_u24_sdwa v9, v9, s53 dst_sel:DWORD dst_unused:UNUSED_PAD src0_sel:WORD_1 src1_sel:DWORD
	s_waitcnt lgkmcnt(0)
	v_pk_fma_f16 v7, v1, v21, v7
	v_pk_fma_f16 v1, v1, v9, v5
	;; [unrolled: 1-line block ×4, first 2 shown]
	v_mul_u32_u24_sdwa v9, v10, s53 dst_sel:DWORD dst_unused:UNUSED_PAD src0_sel:WORD_0 src1_sel:DWORD
	v_pk_fma_f16 v22, v3, v9, v7
	ds_read2_b64 v[5:8], v67 offset0:168 offset1:196
	v_mul_u32_u24_sdwa v10, v10, s53 dst_sel:DWORD dst_unused:UNUSED_PAD src0_sel:WORD_1 src1_sel:DWORD
	v_pk_fma_f16 v1, v3, v10, v1
	v_pk_fma_f16 v3, v4, v9, v21
	;; [unrolled: 1-line block ×3, first 2 shown]
	v_mul_u32_u24_sdwa v4, v11, s53 dst_sel:DWORD dst_unused:UNUSED_PAD src0_sel:WORD_0 src1_sel:DWORD
	v_mul_u32_u24_sdwa v9, v11, s53 dst_sel:DWORD dst_unused:UNUSED_PAD src0_sel:WORD_1 src1_sel:DWORD
	s_waitcnt lgkmcnt(0)
	v_pk_fma_f16 v10, v5, v4, v22
	v_pk_fma_f16 v1, v5, v9, v1
	;; [unrolled: 1-line block ×4, first 2 shown]
	v_mul_u32_u24_sdwa v9, v12, s53 dst_sel:DWORD dst_unused:UNUSED_PAD src0_sel:WORD_0 src1_sel:DWORD
	v_mul_u32_u24_sdwa v11, v12, s53 dst_sel:DWORD dst_unused:UNUSED_PAD src0_sel:WORD_1 src1_sel:DWORD
	v_pk_fma_f16 v10, v7, v9, v10
	v_pk_fma_f16 v7, v7, v11, v1
	ds_read2_b64 v[1:4], v67 offset0:224 offset1:252
	v_pk_fma_f16 v5, v8, v9, v5
	v_pk_fma_f16 v6, v8, v11, v6
	v_mul_u32_u24_sdwa v8, v13, s53 dst_sel:DWORD dst_unused:UNUSED_PAD src0_sel:WORD_0 src1_sel:DWORD
	v_mul_u32_u24_sdwa v9, v13, s53 dst_sel:DWORD dst_unused:UNUSED_PAD src0_sel:WORD_1 src1_sel:DWORD
	s_waitcnt lgkmcnt(0)
	v_pk_fma_f16 v10, v1, v8, v10
	v_pk_fma_f16 v1, v1, v9, v7
	;; [unrolled: 1-line block ×4, first 2 shown]
	ds_read2_b64 v[5:8], v96 offset0:24 offset1:52
	v_mul_u32_u24_sdwa v9, v14, s53 dst_sel:DWORD dst_unused:UNUSED_PAD src0_sel:WORD_0 src1_sel:DWORD
	v_mul_u32_u24_sdwa v12, v14, s53 dst_sel:DWORD dst_unused:UNUSED_PAD src0_sel:WORD_1 src1_sel:DWORD
	v_pk_fma_f16 v10, v3, v9, v10
	v_pk_fma_f16 v1, v3, v12, v1
	;; [unrolled: 1-line block ×4, first 2 shown]
	v_mul_u32_u24_sdwa v4, v15, s53 dst_sel:DWORD dst_unused:UNUSED_PAD src0_sel:WORD_0 src1_sel:DWORD
	v_mul_u32_u24_sdwa v9, v15, s53 dst_sel:DWORD dst_unused:UNUSED_PAD src0_sel:WORD_1 src1_sel:DWORD
	s_waitcnt lgkmcnt(0)
	v_pk_fma_f16 v10, v5, v4, v10
	v_pk_fma_f16 v1, v5, v9, v1
	;; [unrolled: 1-line block ×4, first 2 shown]
	v_mul_u32_u24_sdwa v9, v16, s53 dst_sel:DWORD dst_unused:UNUSED_PAD src0_sel:WORD_0 src1_sel:DWORD
	v_mul_u32_u24_sdwa v11, v16, s53 dst_sel:DWORD dst_unused:UNUSED_PAD src0_sel:WORD_1 src1_sel:DWORD
	v_pk_fma_f16 v10, v7, v9, v10
	v_pk_fma_f16 v7, v7, v11, v1
	ds_read2_b64 v[1:4], v96 offset0:80 offset1:108
	v_pk_fma_f16 v5, v8, v9, v5
	v_pk_fma_f16 v6, v8, v11, v6
	v_mul_u32_u24_sdwa v8, v17, s53 dst_sel:DWORD dst_unused:UNUSED_PAD src0_sel:WORD_0 src1_sel:DWORD
	v_mul_u32_u24_sdwa v9, v17, s53 dst_sel:DWORD dst_unused:UNUSED_PAD src0_sel:WORD_1 src1_sel:DWORD
	s_waitcnt lgkmcnt(0)
	v_pk_fma_f16 v10, v1, v8, v10
	v_pk_fma_f16 v1, v1, v9, v7
	;; [unrolled: 1-line block ×4, first 2 shown]
	ds_read2_b64 v[5:8], v96 offset0:136 offset1:164
	s_waitcnt lgkmcnt(0)
	s_barrier
	s_load_dword s14, s[34:35], 0x4
	v_mul_u32_u24_sdwa v9, v18, s53 dst_sel:DWORD dst_unused:UNUSED_PAD src0_sel:WORD_0 src1_sel:DWORD
	v_mul_u32_u24_sdwa v12, v18, s53 dst_sel:DWORD dst_unused:UNUSED_PAD src0_sel:WORD_1 src1_sel:DWORD
	v_pk_fma_f16 v10, v3, v9, v10
	v_pk_fma_f16 v1, v3, v12, v1
	;; [unrolled: 1-line block ×4, first 2 shown]
	v_mul_u32_u24_sdwa v4, v19, s53 dst_sel:DWORD dst_unused:UNUSED_PAD src0_sel:WORD_0 src1_sel:DWORD
	v_mul_u32_u24_sdwa v9, v19, s53 dst_sel:DWORD dst_unused:UNUSED_PAD src0_sel:WORD_1 src1_sel:DWORD
	s_waitcnt lgkmcnt(0)
	s_lshl_b32 s14, s14, 5
	v_pk_fma_f16 v10, v5, v4, v10
	v_pk_fma_f16 v1, v5, v9, v1
	v_pk_fma_f16 v3, v6, v4, v3
	v_pk_fma_f16 v2, v6, v9, v2
	v_mul_u32_u24_sdwa v4, v20, s53 dst_sel:DWORD dst_unused:UNUSED_PAD src0_sel:WORD_0 src1_sel:DWORD
	v_mul_u32_u24_sdwa v5, v20, s53 dst_sel:DWORD dst_unused:UNUSED_PAD src0_sel:WORD_1 src1_sel:DWORD
	s_add_i32 s6, s14, s6
	v_pk_fma_f16 v70, v7, v4, v10
	v_pk_fma_f16 v69, v7, v5, v1
	;; [unrolled: 1-line block ×3, first 2 shown]
	s_cmp_ge_i32 s6, s28
	v_pk_fma_f16 v68, v8, v5, v2
	s_cbranch_scc1 .LBB9_9
; %bb.31:                               ;   in Loop: Header=BB9_14 Depth=1
	v_mov_b32_e32 v2, v63
	v_mov_b32_e32 v1, v64
	;; [unrolled: 1-line block ×4, first 2 shown]
	s_branch .LBB9_14
.LBB9_32:                               ;   in Loop: Header=BB9_14 Depth=1
	v_mov_b32_e32 v4, s19
	v_add_co_u32_e64 v3, s[14:15], s18, v51
	v_addc_co_u32_e64 v4, s[14:15], v4, v52, s[14:15]
	global_load_dwordx4 v[3:6], v[3:4], off offset:96
	s_waitcnt vmcnt(0)
	ds_write_b128 v74, v[3:6]
	s_or_b64 exec, exec, s[16:17]
	s_and_saveexec_b64 s[16:17], s[2:3]
	s_cbranch_execz .LBB9_16
.LBB9_33:                               ;   in Loop: Header=BB9_14 Depth=1
	v_mov_b32_e32 v3, s19
	v_add_co_u32_e64 v4, s[14:15], s18, v53
	v_addc_co_u32_e64 v5, s[14:15], v3, v54, s[14:15]
	v_add_co_u32_e64 v3, s[14:15], v4, v83
	v_addc_co_u32_e64 v4, s[14:15], 0, v5, s[14:15]
	global_load_dwordx4 v[3:6], v[3:4], off offset:64
	s_waitcnt vmcnt(0)
	ds_write_b128 v75, v[3:6]
	s_or_b64 exec, exec, s[16:17]
	s_and_saveexec_b64 s[16:17], s[22:23]
	s_cbranch_execnz .LBB9_17
	s_branch .LBB9_18
.LBB9_34:                               ;   in Loop: Header=BB9_14 Depth=1
	v_mov_b32_e32 v6, s19
	v_add_co_u32_e64 v5, s[14:15], s18, v51
	v_addc_co_u32_e64 v6, s[14:15], v6, v52, s[14:15]
	global_load_dwordx4 v[5:8], v[5:6], off offset:208
	s_waitcnt vmcnt(0)
	ds_write_b128 v74, v[5:8]
	s_or_b64 exec, exec, s[16:17]
	s_and_saveexec_b64 s[16:17], s[2:3]
	s_cbranch_execz .LBB9_20
.LBB9_35:                               ;   in Loop: Header=BB9_14 Depth=1
	v_mov_b32_e32 v5, s19
	v_add_co_u32_e64 v6, s[14:15], s18, v53
	v_addc_co_u32_e64 v7, s[14:15], v5, v54, s[14:15]
	v_add_co_u32_e64 v5, s[14:15], v6, v83
	v_addc_co_u32_e64 v6, s[14:15], 0, v7, s[14:15]
	global_load_dwordx4 v[5:8], v[5:6], off offset:176
	s_waitcnt vmcnt(0)
	ds_write_b128 v75, v[5:8]
	s_or_b64 exec, exec, s[16:17]
	s_and_saveexec_b64 s[16:17], s[22:23]
	s_cbranch_execnz .LBB9_21
	s_branch .LBB9_22
.LBB9_36:                               ;   in Loop: Header=BB9_14 Depth=1
	v_mov_b32_e32 v1, s55
	v_add_co_u32_e64 v2, s[24:25], s54, v57
	v_addc_co_u32_e64 v3, s[24:25], v1, v58, s[24:25]
	v_add_co_u32_e64 v1, s[24:25], v2, v83
	v_addc_co_u32_e64 v2, s[24:25], 0, v3, s[24:25]
	global_load_dwordx4 v[1:4], v[1:2], off offset:192
	s_waitcnt vmcnt(0)
	ds_write_b128 v82, v[1:4]
	s_or_b64 exec, exec, s[36:37]
	s_and_saveexec_b64 s[36:37], s[10:11]
	s_cbranch_execz .LBB9_24
.LBB9_37:                               ;   in Loop: Header=BB9_14 Depth=1
	v_mov_b32_e32 v1, s55
	v_add_co_u32_e64 v2, s[24:25], s54, v59
	v_addc_co_u32_e64 v3, s[24:25], v1, v60, s[24:25]
	v_add_co_u32_e64 v1, s[24:25], v2, v84
	v_addc_co_u32_e64 v2, s[24:25], 0, v3, s[24:25]
	global_load_dwordx4 v[1:4], v[1:2], off offset:128
	s_waitcnt vmcnt(0)
	ds_write_b128 v79, v[1:4]
	s_or_b64 exec, exec, s[36:37]
	v_lshlrev_b32_e32 v99, 2, v80
	s_and_saveexec_b64 s[36:37], s[12:13]
	s_cbranch_execnz .LBB9_25
	s_branch .LBB9_26
.LBB9_38:                               ;   in Loop: Header=BB9_14 Depth=1
	v_mov_b32_e32 v100, s55
	v_add_co_u32_e64 v101, s[24:25], s54, v57
	v_addc_co_u32_e64 v102, s[24:25], v100, v58, s[24:25]
	v_add_co_u32_e64 v100, s[24:25], v101, v83
	v_addc_co_u32_e64 v101, s[24:25], 0, v102, s[24:25]
	global_load_dwordx4 v[100:103], v[100:101], off offset:192
	s_waitcnt vmcnt(0)
	ds_write_b128 v82, v[100:103]
	s_or_b64 exec, exec, s[36:37]
	s_and_saveexec_b64 s[36:37], s[10:11]
	s_cbranch_execz .LBB9_28
.LBB9_39:                               ;   in Loop: Header=BB9_14 Depth=1
	v_mov_b32_e32 v100, s55
	v_add_co_u32_e64 v101, s[24:25], s54, v59
	v_addc_co_u32_e64 v102, s[24:25], v100, v60, s[24:25]
	v_add_co_u32_e64 v100, s[24:25], v101, v84
	v_addc_co_u32_e64 v101, s[24:25], 0, v102, s[24:25]
	global_load_dwordx4 v[100:103], v[100:101], off offset:128
	s_waitcnt vmcnt(0)
	ds_write_b128 v79, v[100:103]
	s_or_b64 exec, exec, s[36:37]
	s_and_saveexec_b64 s[36:37], s[12:13]
	s_cbranch_execnz .LBB9_29
	s_branch .LBB9_30
.LBB9_40:
	v_mov_b32_e32 v4, v2
	v_mov_b32_e32 v3, v1
	v_cmp_gt_i32_e32 vcc, s26, v65
	s_and_saveexec_b64 s[2:3], vcc
	s_cbranch_execz .LBB9_11
.LBB9_41:
	s_load_dword s6, s[4:5], 0xd4
	v_mov_b32_e32 v6, 1.0
	s_waitcnt lgkmcnt(0)
	s_cmp_lg_u32 s6, 1
	s_cselect_b64 s[4:5], -1, 0
	s_cmp_eq_u32 s6, 1
	s_cselect_b64 s[2:3], -1, 0
	s_and_b64 vcc, exec, s[4:5]
	s_cbranch_vccnz .LBB9_43
; %bb.42:
	v_div_scale_f32 v5, s[8:9], v1, v1, 1.0
	v_div_scale_f32 v6, vcc, 1.0, v1, 1.0
	v_rcp_f32_e32 v7, v5
	v_fma_f32 v8, -v5, v7, 1.0
	v_fmac_f32_e32 v7, v8, v7
	v_mul_f32_e32 v8, v6, v7
	v_fma_f32 v9, -v5, v8, v6
	v_fmac_f32_e32 v8, v9, v7
	v_fma_f32 v5, -v5, v8, v6
	v_div_fmas_f32 v5, v5, v7, v8
	v_div_fixup_f32 v6, v5, v1, 1.0
.LBB9_43:
	s_mul_i32 s33, s33, s26
	v_add_u32_e32 v1, s33, v65
	v_mul_lo_u32 v1, v1, s27
	v_add3_u32 v1, s29, v66, v1
	v_mul_lo_u32 v1, s6, v1
	v_add_u32_e32 v5, s7, v1
	s_and_saveexec_b64 s[8:9], s[0:1]
	s_cbranch_execz .LBB9_45
; %bb.44:
	s_movk_i32 s10, 0x70
	v_mad_u64_u32 v[7:8], s[10:11], v5, s10, v[49:50]
	v_mov_b32_e32 v8, 0
	v_mov_b32_e32 v9, s49
	v_lshlrev_b64 v[7:8], 2, v[7:8]
	v_cvt_f32_f16_sdwa v12, v70 dst_sel:DWORD dst_unused:UNUSED_PAD src0_sel:WORD_1
	v_add_co_u32_e32 v10, vcc, s48, v7
	v_addc_co_u32_e32 v11, vcc, v9, v8, vcc
	v_cvt_f32_f16_sdwa v7, v71 dst_sel:DWORD dst_unused:UNUSED_PAD src0_sel:WORD_1
	v_cvt_f32_f16_e32 v8, v71
	v_cvt_f32_f16_e32 v13, v70
	v_mul_f32_e32 v9, v6, v7
	v_mul_f32_e32 v8, v6, v8
	;; [unrolled: 1-line block ×4, first 2 shown]
	global_store_dwordx4 v[10:11], v[6:9], off
.LBB9_45:
	s_or_b64 exec, exec, s[8:9]
	v_cmp_eq_u32_e32 vcc, 0, v0
	s_and_b64 s[4:5], vcc, s[4:5]
	s_and_saveexec_b64 s[8:9], s[4:5]
	s_cbranch_execnz .LBB9_49
; %bb.46:
	s_or_b64 exec, exec, s[8:9]
	s_andn2_b64 vcc, exec, s[2:3]
	v_mov_b32_e32 v3, 1.0
	s_cbranch_vccz .LBB9_50
.LBB9_47:
	s_add_i32 s7, s7, s6
	v_add_u32_e32 v0, s7, v1
	s_and_saveexec_b64 s[2:3], s[0:1]
	s_cbranch_execnz .LBB9_51
.LBB9_48:
	s_or_b64 exec, exec, s[2:3]
	s_and_b64 exec, exec, s[4:5]
	s_cbranch_execz .LBB9_11
	s_branch .LBB9_52
.LBB9_49:
	v_ashrrev_i32_e32 v6, 31, v5
	v_lshlrev_b64 v[5:6], 3, v[5:6]
	v_mov_b32_e32 v0, s51
	v_add_co_u32_e32 v5, vcc, s50, v5
	v_addc_co_u32_e32 v6, vcc, v0, v6, vcc
	v_mov_b32_e32 v7, v63
	v_mov_b32_e32 v8, v3
	global_store_dwordx2 v[5:6], v[7:8], off
	s_or_b64 exec, exec, s[8:9]
	s_andn2_b64 vcc, exec, s[2:3]
	v_mov_b32_e32 v3, 1.0
	s_cbranch_vccnz .LBB9_47
.LBB9_50:
	v_div_scale_f32 v0, s[2:3], v2, v2, 1.0
	v_div_scale_f32 v3, vcc, 1.0, v2, 1.0
	v_rcp_f32_e32 v5, v0
	v_fma_f32 v6, -v0, v5, 1.0
	v_fmac_f32_e32 v5, v6, v5
	v_mul_f32_e32 v6, v3, v5
	v_fma_f32 v7, -v0, v6, v3
	v_fmac_f32_e32 v6, v7, v5
	v_fma_f32 v0, -v0, v6, v3
	v_div_fmas_f32 v0, v0, v5, v6
	v_div_fixup_f32 v3, v0, v2, 1.0
	s_add_i32 s7, s7, s6
	v_add_u32_e32 v0, s7, v1
	s_and_saveexec_b64 s[2:3], s[0:1]
	s_cbranch_execz .LBB9_48
.LBB9_51:
	s_movk_i32 s0, 0x70
	v_mad_u64_u32 v[1:2], s[0:1], v0, s0, v[49:50]
	v_mov_b32_e32 v2, 0
	v_mov_b32_e32 v5, s49
	v_lshlrev_b64 v[1:2], 2, v[1:2]
	v_cvt_f32_f16_e32 v6, v68
	v_add_co_u32_e32 v1, vcc, s48, v1
	v_addc_co_u32_e32 v2, vcc, v5, v2, vcc
	v_cvt_f32_f16_sdwa v5, v68 dst_sel:DWORD dst_unused:UNUSED_PAD src0_sel:WORD_1
	v_cvt_f32_f16_sdwa v9, v69 dst_sel:DWORD dst_unused:UNUSED_PAD src0_sel:WORD_1
	v_cvt_f32_f16_e32 v10, v69
	v_mul_f32_e32 v7, v3, v6
	v_mul_f32_e32 v8, v3, v5
	;; [unrolled: 1-line block ×4, first 2 shown]
	global_store_dwordx4 v[1:2], v[5:8], off
	s_or_b64 exec, exec, s[2:3]
	s_and_b64 exec, exec, s[4:5]
	s_cbranch_execz .LBB9_11
.LBB9_52:
	v_ashrrev_i32_e32 v1, 31, v0
	v_lshlrev_b64 v[0:1], 3, v[0:1]
	v_mov_b32_e32 v2, s51
	v_add_co_u32_e32 v0, vcc, s50, v0
	v_addc_co_u32_e32 v1, vcc, v2, v1, vcc
	v_mov_b32_e32 v3, v64
	global_store_dwordx2 v[0:1], v[3:4], off
	s_endpgm
	.section	.rodata,"a",@progbits
	.p2align	6, 0x0
	.amdhsa_kernel _ZL15flash_attn_tileILi112ELi112ELi2ELi8ELb0EEvPKcS1_S1_S1_S1_PKiPfP15HIP_vector_typeIfLj2EEffffjfiS5_IjLj3EEiiiiiiiiiiiliiliiiiil
		.amdhsa_group_segment_fixed_size 8768
		.amdhsa_private_segment_fixed_size 0
		.amdhsa_kernarg_size 464
		.amdhsa_user_sgpr_count 6
		.amdhsa_user_sgpr_private_segment_buffer 1
		.amdhsa_user_sgpr_dispatch_ptr 0
		.amdhsa_user_sgpr_queue_ptr 0
		.amdhsa_user_sgpr_kernarg_segment_ptr 1
		.amdhsa_user_sgpr_dispatch_id 0
		.amdhsa_user_sgpr_flat_scratch_init 0
		.amdhsa_user_sgpr_private_segment_size 0
		.amdhsa_uses_dynamic_stack 0
		.amdhsa_system_sgpr_private_segment_wavefront_offset 0
		.amdhsa_system_sgpr_workgroup_id_x 1
		.amdhsa_system_sgpr_workgroup_id_y 1
		.amdhsa_system_sgpr_workgroup_id_z 1
		.amdhsa_system_sgpr_workgroup_info 0
		.amdhsa_system_vgpr_workitem_id 1
		.amdhsa_next_free_vgpr 114
		.amdhsa_next_free_sgpr 77
		.amdhsa_reserve_vcc 1
		.amdhsa_reserve_flat_scratch 0
		.amdhsa_float_round_mode_32 0
		.amdhsa_float_round_mode_16_64 0
		.amdhsa_float_denorm_mode_32 3
		.amdhsa_float_denorm_mode_16_64 3
		.amdhsa_dx10_clamp 1
		.amdhsa_ieee_mode 1
		.amdhsa_fp16_overflow 0
		.amdhsa_exception_fp_ieee_invalid_op 0
		.amdhsa_exception_fp_denorm_src 0
		.amdhsa_exception_fp_ieee_div_zero 0
		.amdhsa_exception_fp_ieee_overflow 0
		.amdhsa_exception_fp_ieee_underflow 0
		.amdhsa_exception_fp_ieee_inexact 0
		.amdhsa_exception_int_div_zero 0
	.end_amdhsa_kernel
	.section	.text._ZL15flash_attn_tileILi112ELi112ELi2ELi8ELb0EEvPKcS1_S1_S1_S1_PKiPfP15HIP_vector_typeIfLj2EEffffjfiS5_IjLj3EEiiiiiiiiiiiliiliiiiil,"axG",@progbits,_ZL15flash_attn_tileILi112ELi112ELi2ELi8ELb0EEvPKcS1_S1_S1_S1_PKiPfP15HIP_vector_typeIfLj2EEffffjfiS5_IjLj3EEiiiiiiiiiiiliiliiiiil,comdat
.Lfunc_end9:
	.size	_ZL15flash_attn_tileILi112ELi112ELi2ELi8ELb0EEvPKcS1_S1_S1_S1_PKiPfP15HIP_vector_typeIfLj2EEffffjfiS5_IjLj3EEiiiiiiiiiiiliiliiiiil, .Lfunc_end9-_ZL15flash_attn_tileILi112ELi112ELi2ELi8ELb0EEvPKcS1_S1_S1_S1_PKiPfP15HIP_vector_typeIfLj2EEffffjfiS5_IjLj3EEiiiiiiiiiiiliiliiiiil
                                        ; -- End function
	.set _ZL15flash_attn_tileILi112ELi112ELi2ELi8ELb0EEvPKcS1_S1_S1_S1_PKiPfP15HIP_vector_typeIfLj2EEffffjfiS5_IjLj3EEiiiiiiiiiiiliiliiiiil.num_vgpr, 114
	.set _ZL15flash_attn_tileILi112ELi112ELi2ELi8ELb0EEvPKcS1_S1_S1_S1_PKiPfP15HIP_vector_typeIfLj2EEffffjfiS5_IjLj3EEiiiiiiiiiiiliiliiiiil.num_agpr, 0
	.set _ZL15flash_attn_tileILi112ELi112ELi2ELi8ELb0EEvPKcS1_S1_S1_S1_PKiPfP15HIP_vector_typeIfLj2EEffffjfiS5_IjLj3EEiiiiiiiiiiiliiliiiiil.numbered_sgpr, 56
	.set _ZL15flash_attn_tileILi112ELi112ELi2ELi8ELb0EEvPKcS1_S1_S1_S1_PKiPfP15HIP_vector_typeIfLj2EEffffjfiS5_IjLj3EEiiiiiiiiiiiliiliiiiil.num_named_barrier, 0
	.set _ZL15flash_attn_tileILi112ELi112ELi2ELi8ELb0EEvPKcS1_S1_S1_S1_PKiPfP15HIP_vector_typeIfLj2EEffffjfiS5_IjLj3EEiiiiiiiiiiiliiliiiiil.private_seg_size, 0
	.set _ZL15flash_attn_tileILi112ELi112ELi2ELi8ELb0EEvPKcS1_S1_S1_S1_PKiPfP15HIP_vector_typeIfLj2EEffffjfiS5_IjLj3EEiiiiiiiiiiiliiliiiiil.uses_vcc, 1
	.set _ZL15flash_attn_tileILi112ELi112ELi2ELi8ELb0EEvPKcS1_S1_S1_S1_PKiPfP15HIP_vector_typeIfLj2EEffffjfiS5_IjLj3EEiiiiiiiiiiiliiliiiiil.uses_flat_scratch, 0
	.set _ZL15flash_attn_tileILi112ELi112ELi2ELi8ELb0EEvPKcS1_S1_S1_S1_PKiPfP15HIP_vector_typeIfLj2EEffffjfiS5_IjLj3EEiiiiiiiiiiiliiliiiiil.has_dyn_sized_stack, 0
	.set _ZL15flash_attn_tileILi112ELi112ELi2ELi8ELb0EEvPKcS1_S1_S1_S1_PKiPfP15HIP_vector_typeIfLj2EEffffjfiS5_IjLj3EEiiiiiiiiiiiliiliiiiil.has_recursion, 0
	.set _ZL15flash_attn_tileILi112ELi112ELi2ELi8ELb0EEvPKcS1_S1_S1_S1_PKiPfP15HIP_vector_typeIfLj2EEffffjfiS5_IjLj3EEiiiiiiiiiiiliiliiiiil.has_indirect_call, 0
	.section	.AMDGPU.csdata,"",@progbits
; Kernel info:
; codeLenInByte = 8220
; TotalNumSgprs: 60
; NumVgprs: 114
; ScratchSize: 0
; MemoryBound: 0
; FloatMode: 240
; IeeeMode: 1
; LDSByteSize: 8768 bytes/workgroup (compile time only)
; SGPRBlocks: 10
; VGPRBlocks: 28
; NumSGPRsForWavesPerEU: 81
; NumVGPRsForWavesPerEU: 114
; Occupancy: 2
; WaveLimiterHint : 1
; COMPUTE_PGM_RSRC2:SCRATCH_EN: 0
; COMPUTE_PGM_RSRC2:USER_SGPR: 6
; COMPUTE_PGM_RSRC2:TRAP_HANDLER: 0
; COMPUTE_PGM_RSRC2:TGID_X_EN: 1
; COMPUTE_PGM_RSRC2:TGID_Y_EN: 1
; COMPUTE_PGM_RSRC2:TGID_Z_EN: 1
; COMPUTE_PGM_RSRC2:TIDIG_COMP_CNT: 1
	.section	.text._ZL25flash_attn_mask_to_KV_maxILi2EEvPK7__half2Piiii,"axG",@progbits,_ZL25flash_attn_mask_to_KV_maxILi2EEvPK7__half2Piiii,comdat
	.globl	_ZL25flash_attn_mask_to_KV_maxILi2EEvPK7__half2Piiii ; -- Begin function _ZL25flash_attn_mask_to_KV_maxILi2EEvPK7__half2Piiii
	.p2align	8
	.type	_ZL25flash_attn_mask_to_KV_maxILi2EEvPK7__half2Piiii,@function
_ZL25flash_attn_mask_to_KV_maxILi2EEvPK7__half2Piiii: ; @_ZL25flash_attn_mask_to_KV_maxILi2EEvPK7__half2Piiii
; %bb.0:
	s_load_dwordx4 s[8:11], s[4:5], 0x0
	v_cmp_gt_u32_e32 vcc, 32, v0
	s_and_saveexec_b64 s[0:1], vcc
; %bb.1:
	v_lshlrev_b32_e32 v1, 2, v0
	v_mov_b32_e32 v2, 1
	ds_write_b32 v1, v2
; %bb.2:
	s_or_b64 exec, exec, s[0:1]
	s_load_dwordx4 s[12:15], s[4:5], 0x10
	s_waitcnt lgkmcnt(0)
	s_load_dword s15, s[4:5], 0x20
	v_and_b32_e32 v1, 31, v0
	v_lshlrev_b32_e32 v4, 2, v1
                                        ; kill: killed $sgpr4_sgpr5
	v_lshrrev_b32_e32 v3, 3, v0
	s_mul_i32 s1, s6, s13
	s_mul_i32 s0, s14, s7
	s_lshl_b32 s1, s1, 1
	s_add_i32 s0, s0, s1
	s_ashr_i32 s1, s0, 31
	s_lshl_b64 s[0:1], s[0:1], 2
	s_add_u32 s14, s8, s0
	s_addc_u32 s16, s9, s1
	v_cmp_eq_u32_e64 s[0:1], 0, v1
	v_mbcnt_lo_u32_b32 v1, -1, 0
	v_mbcnt_hi_u32_b32 v5, -1, v1
	v_and_b32_e32 v1, 0x60, v5
	s_lshl_b32 s12, s12, 8
	s_mov_b64 s[4:5], 0
	v_mov_b32_e32 v2, 0
	s_movk_i32 s17, 0x204
	v_add_u32_e32 v6, 32, v1
	v_xor_b32_e32 v7, 16, v5
	v_xor_b32_e32 v8, 8, v5
	;; [unrolled: 1-line block ×5, first 2 shown]
	s_waitcnt lgkmcnt(0)
	s_barrier
                                        ; implicit-def: $sgpr2_sgpr3
	s_branch .LBB10_5
.LBB10_3:                               ;   in Loop: Header=BB10_5 Depth=1
	s_or_b64 exec, exec, s[8:9]
	s_waitcnt lgkmcnt(0)
	s_barrier
	ds_read_b32 v16, v4
	s_waitcnt lgkmcnt(0)
	s_barrier
	ds_bpermute_b32 v1, v1, v16
	v_cmp_ne_u32_e32 vcc, 0, v16
	s_waitcnt lgkmcnt(0)
	v_cmp_ne_u32_e64 s[2:3], 0, v1
	s_and_b64 s[2:3], vcc, s[2:3]
	v_cndmask_b32_e64 v1, 0, 1, s[2:3]
	ds_bpermute_b32 v1, v12, v1
	s_waitcnt lgkmcnt(0)
	v_cmp_ne_u32_e32 vcc, 0, v1
	s_and_b64 s[2:3], vcc, s[2:3]
	v_cndmask_b32_e64 v1, 0, 1, s[2:3]
	ds_bpermute_b32 v1, v13, v1
	s_waitcnt lgkmcnt(0)
	v_cmp_ne_u32_e32 vcc, 0, v1
	s_and_b64 s[2:3], vcc, s[2:3]
	v_cndmask_b32_e64 v1, 0, 1, s[2:3]
	ds_bpermute_b32 v1, v14, v1
	s_waitcnt lgkmcnt(0)
	v_cmp_ne_u32_e32 vcc, 0, v1
	s_and_b64 s[2:3], vcc, s[2:3]
	v_cndmask_b32_e64 v1, 0, 1, s[2:3]
	ds_bpermute_b32 v1, v15, v1
	s_xor_b64 s[2:3], s[2:3], -1
	s_waitcnt lgkmcnt(0)
	v_cmp_eq_u32_e32 vcc, 0, v1
	s_or_b64 s[2:3], vcc, s[2:3]
.LBB10_4:                               ;   in Loop: Header=BB10_5 Depth=1
	s_and_b64 s[8:9], exec, s[2:3]
	s_or_b64 s[4:5], s[8:9], s[4:5]
	v_mov_b32_e32 v1, s12
	s_mov_b32 s12, s18
	s_andn2_b64 exec, exec, s[4:5]
	s_cbranch_execz .LBB10_12
.LBB10_5:                               ; =>This Inner Loop Header: Depth=1
	s_add_i32 s18, s12, 0xffffff00
	s_or_b64 s[2:3], s[2:3], exec
	s_cmp_lt_i32 s18, 0
	s_cbranch_scc1 .LBB10_4
; %bb.6:                                ;   in Loop: Header=BB10_5 Depth=1
	s_lshr_b32 s2, s18, 1
	v_add_u32_e32 v1, s2, v0
	v_lshlrev_b64 v[12:13], 2, v[1:2]
	v_mov_b32_e32 v14, s16
	v_add_co_u32_e32 v12, vcc, s14, v12
	v_addc_co_u32_e32 v13, vcc, v14, v13, vcc
	global_load_dword v12, v[12:13], off
	s_waitcnt vmcnt(0)
	v_cmp_class_f16_e64 s[2:3], v12, s17
	v_cmp_class_f16_sdwa s[8:9], v12, s17 src0_sel:WORD_1 src1_sel:DWORD
	s_and_b64 s[8:9], s[2:3], s[8:9]
	v_mov_b32_e32 v12, 0
	s_and_saveexec_b64 s[2:3], s[8:9]
	s_cbranch_execz .LBB10_10
; %bb.7:                                ;   in Loop: Header=BB10_5 Depth=1
	v_add_u32_e32 v12, s13, v1
	v_ashrrev_i32_e32 v13, 31, v12
	v_lshlrev_b64 v[12:13], 2, v[12:13]
	v_mov_b32_e32 v1, s16
	v_add_co_u32_e32 v12, vcc, s14, v12
	v_addc_co_u32_e32 v13, vcc, v1, v13, vcc
	global_load_dword v1, v[12:13], off
	v_mov_b32_e32 v12, 0
	s_waitcnt vmcnt(0)
	v_cmp_class_f16_e64 s[20:21], v1, s17
	s_and_saveexec_b64 s[8:9], s[20:21]
; %bb.8:                                ;   in Loop: Header=BB10_5 Depth=1
	v_cmp_class_f16_sdwa s[20:21], v1, s17 src0_sel:WORD_1 src1_sel:DWORD
	v_cndmask_b32_e64 v12, 0, 1, s[20:21]
; %bb.9:                                ;   in Loop: Header=BB10_5 Depth=1
	s_or_b64 exec, exec, s[8:9]
.LBB10_10:                              ;   in Loop: Header=BB10_5 Depth=1
	s_or_b64 exec, exec, s[2:3]
	v_cmp_lt_i32_e32 vcc, v7, v6
	v_cndmask_b32_e32 v1, v5, v7, vcc
	v_lshlrev_b32_e32 v1, 2, v1
	ds_bpermute_b32 v13, v1, v12
	v_cmp_ne_u32_e32 vcc, 0, v12
	s_waitcnt lgkmcnt(0)
	v_cmp_ne_u32_e64 s[2:3], 0, v13
	s_and_b64 s[2:3], vcc, s[2:3]
	v_cmp_lt_i32_e32 vcc, v8, v6
	v_cndmask_b32_e32 v12, v5, v8, vcc
	v_cndmask_b32_e64 v13, 0, 1, s[2:3]
	v_lshlrev_b32_e32 v12, 2, v12
	ds_bpermute_b32 v13, v12, v13
	s_waitcnt lgkmcnt(0)
	v_cmp_ne_u32_e32 vcc, 0, v13
	s_and_b64 s[2:3], vcc, s[2:3]
	v_cmp_lt_i32_e32 vcc, v9, v6
	v_cndmask_b32_e32 v13, v5, v9, vcc
	v_cndmask_b32_e64 v14, 0, 1, s[2:3]
	v_lshlrev_b32_e32 v13, 2, v13
	ds_bpermute_b32 v14, v13, v14
	s_waitcnt lgkmcnt(0)
	v_cmp_ne_u32_e32 vcc, 0, v14
	;; [unrolled: 8-line block ×3, first 2 shown]
	s_and_b64 s[2:3], vcc, s[2:3]
	v_cmp_lt_i32_e32 vcc, v11, v6
	v_cndmask_b32_e32 v15, v5, v11, vcc
	v_cndmask_b32_e64 v16, 0, 1, s[2:3]
	v_lshlrev_b32_e32 v15, 2, v15
	ds_bpermute_b32 v16, v15, v16
	s_and_saveexec_b64 s[8:9], s[0:1]
	s_cbranch_execz .LBB10_3
; %bb.11:                               ;   in Loop: Header=BB10_5 Depth=1
	s_waitcnt lgkmcnt(0)
	v_cmp_ne_u32_e32 vcc, 0, v16
	s_and_b64 s[2:3], vcc, s[2:3]
	v_cndmask_b32_e64 v16, 0, 1, s[2:3]
	ds_write_b32 v3, v16
	s_branch .LBB10_3
.LBB10_12:
	s_or_b64 exec, exec, s[4:5]
	v_cmp_eq_u32_e32 vcc, 0, v0
	s_and_saveexec_b64 s[0:1], vcc
	s_cbranch_execz .LBB10_14
; %bb.13:
	s_mul_i32 s0, s15, s7
	s_add_i32 s0, s0, s6
	s_ashr_i32 s1, s0, 31
	s_lshl_b64 s[0:1], s[0:1], 2
	s_add_u32 s0, s10, s0
	s_addc_u32 s1, s11, s1
	v_mov_b32_e32 v0, 0
	global_store_dword v0, v1, s[0:1]
.LBB10_14:
	s_endpgm
	.section	.rodata,"a",@progbits
	.p2align	6, 0x0
	.amdhsa_kernel _ZL25flash_attn_mask_to_KV_maxILi2EEvPK7__half2Piiii
		.amdhsa_group_segment_fixed_size 128
		.amdhsa_private_segment_fixed_size 0
		.amdhsa_kernarg_size 288
		.amdhsa_user_sgpr_count 6
		.amdhsa_user_sgpr_private_segment_buffer 1
		.amdhsa_user_sgpr_dispatch_ptr 0
		.amdhsa_user_sgpr_queue_ptr 0
		.amdhsa_user_sgpr_kernarg_segment_ptr 1
		.amdhsa_user_sgpr_dispatch_id 0
		.amdhsa_user_sgpr_flat_scratch_init 0
		.amdhsa_user_sgpr_private_segment_size 0
		.amdhsa_uses_dynamic_stack 0
		.amdhsa_system_sgpr_private_segment_wavefront_offset 0
		.amdhsa_system_sgpr_workgroup_id_x 1
		.amdhsa_system_sgpr_workgroup_id_y 1
		.amdhsa_system_sgpr_workgroup_id_z 0
		.amdhsa_system_sgpr_workgroup_info 0
		.amdhsa_system_vgpr_workitem_id 0
		.amdhsa_next_free_vgpr 17
		.amdhsa_next_free_sgpr 22
		.amdhsa_reserve_vcc 1
		.amdhsa_reserve_flat_scratch 0
		.amdhsa_float_round_mode_32 0
		.amdhsa_float_round_mode_16_64 0
		.amdhsa_float_denorm_mode_32 3
		.amdhsa_float_denorm_mode_16_64 3
		.amdhsa_dx10_clamp 1
		.amdhsa_ieee_mode 1
		.amdhsa_fp16_overflow 0
		.amdhsa_exception_fp_ieee_invalid_op 0
		.amdhsa_exception_fp_denorm_src 0
		.amdhsa_exception_fp_ieee_div_zero 0
		.amdhsa_exception_fp_ieee_overflow 0
		.amdhsa_exception_fp_ieee_underflow 0
		.amdhsa_exception_fp_ieee_inexact 0
		.amdhsa_exception_int_div_zero 0
	.end_amdhsa_kernel
	.section	.text._ZL25flash_attn_mask_to_KV_maxILi2EEvPK7__half2Piiii,"axG",@progbits,_ZL25flash_attn_mask_to_KV_maxILi2EEvPK7__half2Piiii,comdat
.Lfunc_end10:
	.size	_ZL25flash_attn_mask_to_KV_maxILi2EEvPK7__half2Piiii, .Lfunc_end10-_ZL25flash_attn_mask_to_KV_maxILi2EEvPK7__half2Piiii
                                        ; -- End function
	.set _ZL25flash_attn_mask_to_KV_maxILi2EEvPK7__half2Piiii.num_vgpr, 17
	.set _ZL25flash_attn_mask_to_KV_maxILi2EEvPK7__half2Piiii.num_agpr, 0
	.set _ZL25flash_attn_mask_to_KV_maxILi2EEvPK7__half2Piiii.numbered_sgpr, 22
	.set _ZL25flash_attn_mask_to_KV_maxILi2EEvPK7__half2Piiii.num_named_barrier, 0
	.set _ZL25flash_attn_mask_to_KV_maxILi2EEvPK7__half2Piiii.private_seg_size, 0
	.set _ZL25flash_attn_mask_to_KV_maxILi2EEvPK7__half2Piiii.uses_vcc, 1
	.set _ZL25flash_attn_mask_to_KV_maxILi2EEvPK7__half2Piiii.uses_flat_scratch, 0
	.set _ZL25flash_attn_mask_to_KV_maxILi2EEvPK7__half2Piiii.has_dyn_sized_stack, 0
	.set _ZL25flash_attn_mask_to_KV_maxILi2EEvPK7__half2Piiii.has_recursion, 0
	.set _ZL25flash_attn_mask_to_KV_maxILi2EEvPK7__half2Piiii.has_indirect_call, 0
	.section	.AMDGPU.csdata,"",@progbits
; Kernel info:
; codeLenInByte = 836
; TotalNumSgprs: 26
; NumVgprs: 17
; ScratchSize: 0
; MemoryBound: 0
; FloatMode: 240
; IeeeMode: 1
; LDSByteSize: 128 bytes/workgroup (compile time only)
; SGPRBlocks: 3
; VGPRBlocks: 4
; NumSGPRsForWavesPerEU: 26
; NumVGPRsForWavesPerEU: 17
; Occupancy: 10
; WaveLimiterHint : 0
; COMPUTE_PGM_RSRC2:SCRATCH_EN: 0
; COMPUTE_PGM_RSRC2:USER_SGPR: 6
; COMPUTE_PGM_RSRC2:TRAP_HANDLER: 0
; COMPUTE_PGM_RSRC2:TGID_X_EN: 1
; COMPUTE_PGM_RSRC2:TGID_Y_EN: 1
; COMPUTE_PGM_RSRC2:TGID_Z_EN: 0
; COMPUTE_PGM_RSRC2:TIDIG_COMP_CNT: 0
	.section	.text._ZL33flash_attn_stream_k_fixup_uniformILi112ELi2ELi8EEvPfPK15HIP_vector_typeIfLj2EEiiiiiiS1_IjLj3EES5_S5_,"axG",@progbits,_ZL33flash_attn_stream_k_fixup_uniformILi112ELi2ELi8EEvPfPK15HIP_vector_typeIfLj2EEiiiiiiS1_IjLj3EES5_S5_,comdat
	.globl	_ZL33flash_attn_stream_k_fixup_uniformILi112ELi2ELi8EEvPfPK15HIP_vector_typeIfLj2EEiiiiiiS1_IjLj3EES5_S5_ ; -- Begin function _ZL33flash_attn_stream_k_fixup_uniformILi112ELi2ELi8EEvPfPK15HIP_vector_typeIfLj2EEiiiiiiS1_IjLj3EES5_S5_
	.p2align	8
	.type	_ZL33flash_attn_stream_k_fixup_uniformILi112ELi2ELi8EEvPfPK15HIP_vector_typeIfLj2EEiiiiiiS1_IjLj3EES5_S5_,@function
_ZL33flash_attn_stream_k_fixup_uniformILi112ELi2ELi8EEvPfPK15HIP_vector_typeIfLj2EEiiiiiiS1_IjLj3EES5_S5_: ; @_ZL33flash_attn_stream_k_fixup_uniformILi112ELi2ELi8EEvPfPK15HIP_vector_typeIfLj2EEiiiiiiS1_IjLj3EES5_S5_
; %bb.0:
	s_load_dwordx8 s[12:19], s[4:5], 0x1c
	s_load_dwordx2 s[10:11], s[4:5], 0x10
	s_load_dwordx4 s[0:3], s[4:5], 0x3c
	s_waitcnt lgkmcnt(0)
	s_mul_hi_u32 s9, s15, s6
	s_add_i32 s9, s6, s9
	s_lshr_b32 s9, s9, s16
	s_mul_i32 s15, s9, s17
	s_sub_i32 s16, s6, s15
	s_mul_hi_u32 s15, s16, s18
	s_add_i32 s15, s16, s15
	s_lshr_b32 s15, s15, s19
	s_mul_i32 s0, s15, s0
	s_sub_i32 s0, s16, s0
	;; [unrolled: 5-line block ×3, first 2 shown]
	s_lshl_b32 s0, s16, 1
	s_lshl_b32 s17, s1, 3
	s_add_i32 s0, s0, s7
	s_cmp_lt_i32 s0, s10
	s_cselect_b64 s[0:1], -1, 0
	s_add_i32 s17, s17, s8
	s_cmp_lt_i32 s17, s13
	s_cselect_b64 s[2:3], -1, 0
	s_and_b64 s[0:1], s[0:1], s[2:3]
	s_andn2_b64 vcc, exec, s[0:1]
	s_cbranch_vccnz .LBB11_6
; %bb.1:
	s_load_dwordx4 s[0:3], s[4:5], 0x0
	s_mul_i32 s4, s9, s10
	s_mul_i32 s15, s15, s13
	s_add_i32 s4, s4, s7
	s_mul_i32 s4, s4, s11
	s_add_i32 s9, s17, s15
	;; [unrolled: 2-line block ×3, first 2 shown]
	s_mulk_i32 s5, 0xe0
	s_mulk_i32 s4, 0x70
	s_add_i32 s4, s4, s5
	v_add_u32_e32 v1, s4, v0
	v_ashrrev_i32_e32 v2, 31, v1
	v_lshlrev_b64 v[1:2], 2, v[1:2]
	s_waitcnt lgkmcnt(0)
	v_mov_b32_e32 v3, s1
	v_add_co_u32_e32 v1, vcc, s0, v1
	v_addc_co_u32_e32 v2, vcc, v3, v2, vcc
	global_load_dword v8, v[1:2], off
	s_mul_i32 s9, s14, s6
	s_lshl_b32 s4, s7, 3
	s_add_i32 s11, s9, s14
	s_add_i32 s0, s4, s8
	s_lshl_b32 s1, s11, 4
	s_add_i32 s0, s0, s1
	s_add_i32 s0, s0, -16
	s_ashr_i32 s1, s0, 31
	s_lshl_b64 s[0:1], s[0:1], 3
	s_add_u32 s0, s2, s0
	s_addc_u32 s1, s3, s1
	s_load_dword s5, s[0:1], 0x4
	s_add_i32 s10, s11, -2
	s_cmp_lt_i32 s10, s9
	s_cbranch_scc1 .LBB11_4
; %bb.2:
	s_lshl_b32 s16, s12, 6
	s_ashr_i32 s17, s16, 31
	s_lshl_b64 s[16:17], s[16:17], 2
	s_add_u32 s10, s2, s16
	s_addc_u32 s13, s3, s17
	s_add_i32 s6, s6, 1
	s_load_dword s0, s[0:1], 0x0
	s_mul_i32 s1, s14, s6
	s_lshl_b32 s6, s1, 4
	s_add_i32 s6, s8, s6
	s_lshl_b32 s12, s12, 4
	s_add_i32 s6, s6, s12
	s_add_i32 s6, s6, s4
	s_sub_i32 s4, s6, 32
	s_mulk_i32 s7, 0x380
	s_mul_i32 s6, s8, 0x70
	s_mulk_i32 s1, 0x700
	s_add_i32 s6, s6, s7
	s_add_i32 s6, s6, s1
	v_add_u32_e32 v0, s6, v0
	s_add_i32 s11, s11, -1
	v_add_u32_e32 v3, 0xfffff200, v0
	s_waitcnt lgkmcnt(0)
	v_mov_b32_e32 v7, s5
	v_mov_b32_e32 v6, s0
	v_mov_b32_e32 v0, s13
	s_mov_b32 s6, 0x3fb8aa3b
	s_mov_b32 s7, 0xc2ce8ed0
	;; [unrolled: 1-line block ×3, first 2 shown]
	v_mov_b32_e32 v5, 0x7f800000
	s_mov_b32 s12, 0xc1a00000
.LBB11_3:                               ; =>This Inner Loop Header: Depth=1
	v_ashrrev_i32_e32 v4, 31, v3
	v_lshlrev_b64 v[9:10], 2, v[3:4]
	s_ashr_i32 s5, s4, 31
	v_add_co_u32_e32 v9, vcc, s10, v9
	v_addc_co_u32_e32 v10, vcc, v0, v10, vcc
	global_load_dword v4, v[9:10], off
	s_lshl_b64 s[0:1], s[4:5], 3
	s_add_u32 s0, s2, s0
	s_addc_u32 s1, s3, s1
	s_load_dwordx2 s[14:15], s[0:1], 0x0
	s_waitcnt vmcnt(1)
	v_mov_b32_e32 v9, v8
	v_max_f32_e32 v8, v6, v6
	v_mov_b32_e32 v10, v7
	s_add_i32 s11, s11, -1
	s_waitcnt lgkmcnt(0)
	v_max_f32_e64 v7, s14, s14
	v_max_f32_e32 v7, v8, v7
	v_sub_f32_e32 v11, s14, v7
	v_sub_f32_e32 v8, v6, v7
	v_mul_f32_e32 v12, 0x3fb8aa3b, v11
	v_mov_b32_e32 v6, v7
	v_mul_f32_e32 v7, 0x3fb8aa3b, v8
	v_fma_f32 v15, v11, s6, -v12
	v_rndne_f32_e32 v16, v12
	v_fma_f32 v13, v8, s6, -v7
	v_rndne_f32_e32 v14, v7
	v_fmac_f32_e32 v15, 0x32a5705f, v11
	v_sub_f32_e32 v12, v12, v16
	v_fmac_f32_e32 v13, 0x32a5705f, v8
	v_sub_f32_e32 v7, v7, v14
	v_add_f32_e32 v12, v12, v15
	v_cvt_i32_f32_e32 v16, v16
	v_add_f32_e32 v7, v7, v13
	v_exp_f32_e32 v12, v12
	v_cvt_i32_f32_e32 v14, v14
	v_exp_f32_e32 v7, v7
	v_cmp_ngt_f32_e32 vcc, s7, v11
	v_ldexp_f32 v12, v12, v16
	v_cmp_ngt_f32_e64 s[0:1], s7, v8
	v_ldexp_f32 v7, v7, v14
	v_cndmask_b32_e32 v12, 0, v12, vcc
	v_cmp_nlt_f32_e32 vcc, s8, v11
	v_cndmask_b32_e64 v7, 0, v7, s[0:1]
	v_cmp_nlt_f32_e64 s[0:1], s8, v8
	v_cndmask_b32_e32 v12, v5, v12, vcc
	v_cmp_le_f32_e32 vcc, s12, v11
	v_cndmask_b32_e64 v7, v5, v7, s[0:1]
	v_cmp_le_f32_e64 s[0:1], s12, v8
	v_cndmask_b32_e32 v8, 0, v12, vcc
	s_add_i32 s4, s4, -16
	v_cndmask_b32_e64 v11, 0, v7, s[0:1]
	v_mul_f32_e32 v7, s15, v8
	v_add_u32_e32 v3, 0xfffff900, v3
	s_cmp_le_i32 s11, s9
	v_fmac_f32_e32 v7, v10, v11
	s_waitcnt vmcnt(0)
	v_mul_f32_e32 v8, v4, v8
	v_fmac_f32_e32 v8, v9, v11
	s_cbranch_scc0 .LBB11_3
	s_branch .LBB11_5
.LBB11_4:
	s_waitcnt lgkmcnt(0)
	v_mov_b32_e32 v7, s5
.LBB11_5:
	s_waitcnt vmcnt(0)
	v_div_scale_f32 v0, s[0:1], v7, v7, v8
	v_div_scale_f32 v3, vcc, v8, v7, v8
	v_rcp_f32_e32 v4, v0
	v_fma_f32 v5, -v0, v4, 1.0
	v_fmac_f32_e32 v4, v5, v4
	v_mul_f32_e32 v5, v3, v4
	v_fma_f32 v6, -v0, v5, v3
	v_fmac_f32_e32 v5, v6, v4
	v_fma_f32 v0, -v0, v5, v3
	v_div_fmas_f32 v0, v0, v4, v5
	v_div_fixup_f32 v0, v0, v7, v8
	global_store_dword v[1:2], v0, off
.LBB11_6:
	s_endpgm
	.section	.rodata,"a",@progbits
	.p2align	6, 0x0
	.amdhsa_kernel _ZL33flash_attn_stream_k_fixup_uniformILi112ELi2ELi8EEvPfPK15HIP_vector_typeIfLj2EEiiiiiiS1_IjLj3EES5_S5_
		.amdhsa_group_segment_fixed_size 0
		.amdhsa_private_segment_fixed_size 0
		.amdhsa_kernarg_size 76
		.amdhsa_user_sgpr_count 6
		.amdhsa_user_sgpr_private_segment_buffer 1
		.amdhsa_user_sgpr_dispatch_ptr 0
		.amdhsa_user_sgpr_queue_ptr 0
		.amdhsa_user_sgpr_kernarg_segment_ptr 1
		.amdhsa_user_sgpr_dispatch_id 0
		.amdhsa_user_sgpr_flat_scratch_init 0
		.amdhsa_user_sgpr_private_segment_size 0
		.amdhsa_uses_dynamic_stack 0
		.amdhsa_system_sgpr_private_segment_wavefront_offset 0
		.amdhsa_system_sgpr_workgroup_id_x 1
		.amdhsa_system_sgpr_workgroup_id_y 1
		.amdhsa_system_sgpr_workgroup_id_z 1
		.amdhsa_system_sgpr_workgroup_info 0
		.amdhsa_system_vgpr_workitem_id 0
		.amdhsa_next_free_vgpr 17
		.amdhsa_next_free_sgpr 20
		.amdhsa_reserve_vcc 1
		.amdhsa_reserve_flat_scratch 0
		.amdhsa_float_round_mode_32 0
		.amdhsa_float_round_mode_16_64 0
		.amdhsa_float_denorm_mode_32 3
		.amdhsa_float_denorm_mode_16_64 3
		.amdhsa_dx10_clamp 1
		.amdhsa_ieee_mode 1
		.amdhsa_fp16_overflow 0
		.amdhsa_exception_fp_ieee_invalid_op 0
		.amdhsa_exception_fp_denorm_src 0
		.amdhsa_exception_fp_ieee_div_zero 0
		.amdhsa_exception_fp_ieee_overflow 0
		.amdhsa_exception_fp_ieee_underflow 0
		.amdhsa_exception_fp_ieee_inexact 0
		.amdhsa_exception_int_div_zero 0
	.end_amdhsa_kernel
	.section	.text._ZL33flash_attn_stream_k_fixup_uniformILi112ELi2ELi8EEvPfPK15HIP_vector_typeIfLj2EEiiiiiiS1_IjLj3EES5_S5_,"axG",@progbits,_ZL33flash_attn_stream_k_fixup_uniformILi112ELi2ELi8EEvPfPK15HIP_vector_typeIfLj2EEiiiiiiS1_IjLj3EES5_S5_,comdat
.Lfunc_end11:
	.size	_ZL33flash_attn_stream_k_fixup_uniformILi112ELi2ELi8EEvPfPK15HIP_vector_typeIfLj2EEiiiiiiS1_IjLj3EES5_S5_, .Lfunc_end11-_ZL33flash_attn_stream_k_fixup_uniformILi112ELi2ELi8EEvPfPK15HIP_vector_typeIfLj2EEiiiiiiS1_IjLj3EES5_S5_
                                        ; -- End function
	.set _ZL33flash_attn_stream_k_fixup_uniformILi112ELi2ELi8EEvPfPK15HIP_vector_typeIfLj2EEiiiiiiS1_IjLj3EES5_S5_.num_vgpr, 17
	.set _ZL33flash_attn_stream_k_fixup_uniformILi112ELi2ELi8EEvPfPK15HIP_vector_typeIfLj2EEiiiiiiS1_IjLj3EES5_S5_.num_agpr, 0
	.set _ZL33flash_attn_stream_k_fixup_uniformILi112ELi2ELi8EEvPfPK15HIP_vector_typeIfLj2EEiiiiiiS1_IjLj3EES5_S5_.numbered_sgpr, 20
	.set _ZL33flash_attn_stream_k_fixup_uniformILi112ELi2ELi8EEvPfPK15HIP_vector_typeIfLj2EEiiiiiiS1_IjLj3EES5_S5_.num_named_barrier, 0
	.set _ZL33flash_attn_stream_k_fixup_uniformILi112ELi2ELi8EEvPfPK15HIP_vector_typeIfLj2EEiiiiiiS1_IjLj3EES5_S5_.private_seg_size, 0
	.set _ZL33flash_attn_stream_k_fixup_uniformILi112ELi2ELi8EEvPfPK15HIP_vector_typeIfLj2EEiiiiiiS1_IjLj3EES5_S5_.uses_vcc, 1
	.set _ZL33flash_attn_stream_k_fixup_uniformILi112ELi2ELi8EEvPfPK15HIP_vector_typeIfLj2EEiiiiiiS1_IjLj3EES5_S5_.uses_flat_scratch, 0
	.set _ZL33flash_attn_stream_k_fixup_uniformILi112ELi2ELi8EEvPfPK15HIP_vector_typeIfLj2EEiiiiiiS1_IjLj3EES5_S5_.has_dyn_sized_stack, 0
	.set _ZL33flash_attn_stream_k_fixup_uniformILi112ELi2ELi8EEvPfPK15HIP_vector_typeIfLj2EEiiiiiiS1_IjLj3EES5_S5_.has_recursion, 0
	.set _ZL33flash_attn_stream_k_fixup_uniformILi112ELi2ELi8EEvPfPK15HIP_vector_typeIfLj2EEiiiiiiS1_IjLj3EES5_S5_.has_indirect_call, 0
	.section	.AMDGPU.csdata,"",@progbits
; Kernel info:
; codeLenInByte = 856
; TotalNumSgprs: 24
; NumVgprs: 17
; ScratchSize: 0
; MemoryBound: 0
; FloatMode: 240
; IeeeMode: 1
; LDSByteSize: 0 bytes/workgroup (compile time only)
; SGPRBlocks: 2
; VGPRBlocks: 4
; NumSGPRsForWavesPerEU: 24
; NumVGPRsForWavesPerEU: 17
; Occupancy: 10
; WaveLimiterHint : 0
; COMPUTE_PGM_RSRC2:SCRATCH_EN: 0
; COMPUTE_PGM_RSRC2:USER_SGPR: 6
; COMPUTE_PGM_RSRC2:TRAP_HANDLER: 0
; COMPUTE_PGM_RSRC2:TGID_X_EN: 1
; COMPUTE_PGM_RSRC2:TGID_Y_EN: 1
; COMPUTE_PGM_RSRC2:TGID_Z_EN: 1
; COMPUTE_PGM_RSRC2:TIDIG_COMP_CNT: 0
	.section	.text._ZL33flash_attn_stream_k_fixup_generalILi112ELi2ELi8EEvPfPK15HIP_vector_typeIfLj2EEiiiiS1_IjLj3EES5_S5_S5_,"axG",@progbits,_ZL33flash_attn_stream_k_fixup_generalILi112ELi2ELi8EEvPfPK15HIP_vector_typeIfLj2EEiiiiS1_IjLj3EES5_S5_S5_,comdat
	.globl	_ZL33flash_attn_stream_k_fixup_generalILi112ELi2ELi8EEvPfPK15HIP_vector_typeIfLj2EEiiiiS1_IjLj3EES5_S5_S5_ ; -- Begin function _ZL33flash_attn_stream_k_fixup_generalILi112ELi2ELi8EEvPfPK15HIP_vector_typeIfLj2EEiiiiS1_IjLj3EES5_S5_S5_
	.p2align	8
	.type	_ZL33flash_attn_stream_k_fixup_generalILi112ELi2ELi8EEvPfPK15HIP_vector_typeIfLj2EEiiiiS1_IjLj3EES5_S5_S5_,@function
_ZL33flash_attn_stream_k_fixup_generalILi112ELi2ELi8EEvPfPK15HIP_vector_typeIfLj2EEiiiiS1_IjLj3EES5_S5_S5_: ; @_ZL33flash_attn_stream_k_fixup_generalILi112ELi2ELi8EEvPfPK15HIP_vector_typeIfLj2EEiiiiS1_IjLj3EES5_S5_S5_
; %bb.0:
	s_load_dwordx4 s[0:3], s[4:5], 0x10
	s_load_dword s22, s[4:5], 0x50
	s_mov_b32 s12, 0
	s_waitcnt lgkmcnt(0)
	s_mul_hi_i32 s13, s3, s6
	s_cmp_lg_u64 s[12:13], 0
	s_mul_i32 s9, s3, s6
	s_cbranch_scc0 .LBB12_20
; %bb.1:
	s_add_u32 s10, s22, 0
	s_addc_u32 s11, 0, 0
	s_xor_b64 s[10:11], s[10:11], 0
	v_cvt_f32_u32_e32 v1, s10
	v_cvt_f32_u32_e32 v2, s11
	s_sub_u32 s12, 0, s10
	s_subb_u32 s18, 0, s11
	v_madmk_f32 v1, v2, 0x4f800000, v1
	v_rcp_f32_e32 v1, v1
	v_mul_f32_e32 v1, 0x5f7ffffc, v1
	v_mul_f32_e32 v2, 0x2f800000, v1
	v_trunc_f32_e32 v2, v2
	v_madmk_f32 v1, v2, 0xcf800000, v1
	v_cvt_u32_f32_e32 v2, v2
	v_cvt_u32_f32_e32 v1, v1
	v_readfirstlane_b32 s19, v2
	v_readfirstlane_b32 s14, v1
	s_mul_i32 s15, s12, s19
	s_mul_hi_u32 s21, s12, s14
	s_mul_i32 s20, s18, s14
	s_add_i32 s15, s21, s15
	s_add_i32 s15, s15, s20
	s_mul_i32 s23, s12, s14
	s_mul_i32 s21, s14, s15
	s_mul_hi_u32 s24, s14, s23
	s_mul_hi_u32 s20, s14, s15
	s_add_u32 s21, s24, s21
	s_addc_u32 s20, 0, s20
	s_mul_hi_u32 s25, s19, s23
	s_mul_i32 s23, s19, s23
	s_add_u32 s21, s21, s23
	s_mul_hi_u32 s24, s19, s15
	s_addc_u32 s20, s20, s25
	s_addc_u32 s21, s24, 0
	s_mul_i32 s15, s19, s15
	s_add_u32 s15, s20, s15
	s_addc_u32 s20, 0, s21
	s_add_u32 s21, s14, s15
	s_cselect_b64 s[14:15], -1, 0
	s_cmp_lg_u64 s[14:15], 0
	s_addc_u32 s19, s19, s20
	s_mul_i32 s14, s12, s19
	s_mul_hi_u32 s15, s12, s21
	s_add_i32 s14, s15, s14
	s_mul_i32 s18, s18, s21
	s_add_i32 s14, s14, s18
	s_mul_i32 s12, s12, s21
	s_mul_hi_u32 s18, s19, s12
	s_mul_i32 s20, s19, s12
	s_mul_i32 s24, s21, s14
	s_mul_hi_u32 s12, s21, s12
	s_mul_hi_u32 s23, s21, s14
	s_add_u32 s12, s12, s24
	s_addc_u32 s23, 0, s23
	s_add_u32 s12, s12, s20
	s_mul_hi_u32 s15, s19, s14
	s_addc_u32 s12, s23, s18
	s_addc_u32 s15, s15, 0
	s_mul_i32 s14, s19, s14
	s_add_u32 s12, s12, s14
	s_addc_u32 s18, 0, s15
	s_add_u32 s20, s21, s12
	s_cselect_b64 s[14:15], -1, 0
	s_cmp_lg_u64 s[14:15], 0
	s_addc_u32 s18, s19, s18
	s_ashr_i32 s14, s13, 31
	s_add_u32 s12, s9, s14
	s_mov_b32 s15, s14
	s_addc_u32 s13, s13, s14
	s_xor_b64 s[12:13], s[12:13], s[14:15]
	s_mul_i32 s21, s12, s18
	s_mul_hi_u32 s23, s12, s20
	s_mul_hi_u32 s19, s12, s18
	s_add_u32 s21, s23, s21
	s_addc_u32 s19, 0, s19
	s_mul_hi_u32 s24, s13, s20
	s_mul_i32 s20, s13, s20
	s_add_u32 s20, s21, s20
	s_mul_hi_u32 s23, s13, s18
	s_addc_u32 s19, s19, s24
	s_addc_u32 s20, s23, 0
	s_mul_i32 s18, s13, s18
	s_add_u32 s23, s19, s18
	s_addc_u32 s24, 0, s20
	s_mul_i32 s18, s10, s24
	s_mul_hi_u32 s19, s10, s23
	s_add_i32 s18, s19, s18
	s_mul_i32 s19, s11, s23
	s_add_i32 s25, s18, s19
	s_sub_i32 s20, s13, s25
	s_mul_i32 s18, s10, s23
	s_sub_u32 s12, s12, s18
	s_cselect_b64 s[18:19], -1, 0
	s_cmp_lg_u64 s[18:19], 0
	s_subb_u32 s26, s20, s11
	s_sub_u32 s27, s12, s10
	s_cselect_b64 s[20:21], -1, 0
	s_cmp_lg_u64 s[20:21], 0
	s_subb_u32 s20, s26, 0
	s_cmp_ge_u32 s20, s11
	s_cselect_b32 s21, -1, 0
	s_cmp_ge_u32 s27, s10
	s_cselect_b32 s26, -1, 0
	s_cmp_eq_u32 s20, s11
	s_cselect_b32 s20, s26, s21
	s_add_u32 s21, s23, 1
	s_addc_u32 s26, s24, 0
	s_add_u32 s27, s23, 2
	s_addc_u32 s28, s24, 0
	s_cmp_lg_u32 s20, 0
	s_cselect_b32 s20, s27, s21
	s_cselect_b32 s21, s28, s26
	s_cmp_lg_u64 s[18:19], 0
	s_subb_u32 s13, s13, s25
	s_cmp_ge_u32 s13, s11
	s_cselect_b32 s18, -1, 0
	s_cmp_ge_u32 s12, s10
	s_cselect_b32 s10, -1, 0
	s_cmp_eq_u32 s13, s11
	s_cselect_b32 s10, s10, s18
	s_cmp_lg_u32 s10, 0
	s_cselect_b32 s11, s21, s24
	s_cselect_b32 s10, s20, s23
	s_xor_b64 s[12:13], s[14:15], 0
	s_xor_b64 s[10:11], s[10:11], s[12:13]
	s_sub_u32 s10, s10, s12
	s_load_dwordx4 s[12:15], s[4:5], 0x44
	s_cbranch_execnz .LBB12_3
.LBB12_2:
	v_cvt_f32_u32_e32 v1, s22
	s_sub_i32 s10, 0, s22
	v_rcp_iflag_f32_e32 v1, v1
	v_mul_f32_e32 v1, 0x4f7ffffe, v1
	v_cvt_u32_f32_e32 v1, v1
	v_readfirstlane_b32 s11, v1
	s_mul_i32 s10, s10, s11
	s_mul_hi_u32 s10, s11, s10
	s_add_i32 s11, s11, s10
	s_mul_hi_u32 s10, s9, s11
	s_waitcnt lgkmcnt(0)
	s_mul_i32 s15, s10, s22
	s_sub_i32 s9, s9, s15
	s_add_i32 s11, s10, 1
	s_sub_i32 s15, s9, s22
	s_cmp_ge_u32 s9, s22
	s_cselect_b32 s10, s11, s10
	s_cselect_b32 s9, s15, s9
	s_add_i32 s11, s10, 1
	s_cmp_ge_u32 s9, s22
	s_cselect_b32 s10, s11, s10
.LBB12_3:
	s_add_i32 s9, s6, 1
	s_mul_hi_i32 s21, s3, s9
	s_mov_b32 s20, 0
	s_cmp_lg_u64 s[20:21], 0
	s_mul_i32 s9, s3, s9
	s_cbranch_scc0 .LBB12_21
; %bb.4:
	s_add_u32 s16, s22, 0
	s_addc_u32 s17, 0, 0
	s_xor_b64 s[18:19], s[16:17], 0
	v_cvt_f32_u32_e32 v1, s18
	v_cvt_f32_u32_e32 v2, s19
	s_sub_u32 s11, 0, s18
	s_waitcnt lgkmcnt(0)
	s_subb_u32 s15, 0, s19
	v_madmk_f32 v1, v2, 0x4f800000, v1
	v_rcp_f32_e32 v1, v1
	v_mul_f32_e32 v1, 0x5f7ffffc, v1
	v_mul_f32_e32 v2, 0x2f800000, v1
	v_trunc_f32_e32 v2, v2
	v_madmk_f32 v1, v2, 0xcf800000, v1
	v_cvt_u32_f32_e32 v2, v2
	v_cvt_u32_f32_e32 v1, v1
	v_readfirstlane_b32 s20, v2
	v_readfirstlane_b32 s23, v1
	s_mul_i32 s24, s11, s20
	s_mul_hi_u32 s26, s11, s23
	s_mul_i32 s25, s15, s23
	s_add_i32 s24, s26, s24
	s_add_i32 s24, s24, s25
	s_mul_i32 s27, s11, s23
	s_mul_i32 s26, s23, s24
	s_mul_hi_u32 s28, s23, s27
	s_mul_hi_u32 s25, s23, s24
	s_add_u32 s26, s28, s26
	s_addc_u32 s25, 0, s25
	s_mul_hi_u32 s29, s20, s27
	s_mul_i32 s27, s20, s27
	s_add_u32 s26, s26, s27
	s_mul_hi_u32 s28, s20, s24
	s_addc_u32 s25, s25, s29
	s_addc_u32 s26, s28, 0
	s_mul_i32 s24, s20, s24
	s_add_u32 s24, s25, s24
	s_addc_u32 s26, 0, s26
	s_add_u32 s23, s23, s24
	s_cselect_b64 s[24:25], -1, 0
	s_cmp_lg_u64 s[24:25], 0
	s_addc_u32 s20, s20, s26
	s_mul_i32 s24, s11, s20
	s_mul_hi_u32 s25, s11, s23
	s_add_i32 s24, s25, s24
	s_mul_i32 s15, s15, s23
	s_add_i32 s24, s24, s15
	s_mul_i32 s11, s11, s23
	s_mul_hi_u32 s25, s20, s11
	s_mul_i32 s26, s20, s11
	s_mul_i32 s28, s23, s24
	s_mul_hi_u32 s11, s23, s11
	s_mul_hi_u32 s27, s23, s24
	s_add_u32 s11, s11, s28
	s_addc_u32 s27, 0, s27
	s_add_u32 s11, s11, s26
	s_mul_hi_u32 s15, s20, s24
	s_addc_u32 s11, s27, s25
	s_addc_u32 s15, s15, 0
	s_mul_i32 s24, s20, s24
	s_add_u32 s11, s11, s24
	s_addc_u32 s15, 0, s15
	s_add_u32 s11, s23, s11
	s_cselect_b64 s[24:25], -1, 0
	s_cmp_lg_u64 s[24:25], 0
	s_addc_u32 s15, s20, s15
	s_ashr_i32 s24, s21, 31
	s_add_u32 s20, s9, s24
	s_mov_b32 s25, s24
	s_addc_u32 s21, s21, s24
	s_xor_b64 s[20:21], s[20:21], s[24:25]
	s_mul_i32 s26, s20, s15
	s_mul_hi_u32 s27, s20, s11
	s_mul_hi_u32 s23, s20, s15
	s_add_u32 s26, s27, s26
	s_addc_u32 s23, 0, s23
	s_mul_hi_u32 s28, s21, s11
	s_mul_i32 s11, s21, s11
	s_add_u32 s11, s26, s11
	s_mul_hi_u32 s27, s21, s15
	s_addc_u32 s11, s23, s28
	s_addc_u32 s23, s27, 0
	s_mul_i32 s15, s21, s15
	s_add_u32 s11, s11, s15
	s_addc_u32 s15, 0, s23
	s_mul_i32 s23, s18, s15
	s_mul_hi_u32 s26, s18, s11
	s_add_i32 s23, s26, s23
	s_mul_i32 s26, s19, s11
	s_add_i32 s23, s23, s26
	s_sub_i32 s28, s21, s23
	s_mul_i32 s26, s18, s11
	s_sub_u32 s20, s20, s26
	s_cselect_b64 s[26:27], -1, 0
	s_cmp_lg_u64 s[26:27], 0
	s_subb_u32 s30, s28, s19
	s_sub_u32 s31, s20, s18
	s_cselect_b64 s[28:29], -1, 0
	s_cmp_lg_u64 s[28:29], 0
	s_subb_u32 s28, s30, 0
	s_cmp_ge_u32 s28, s19
	s_cselect_b32 s29, -1, 0
	s_cmp_ge_u32 s31, s18
	s_cselect_b32 s30, -1, 0
	s_cmp_eq_u32 s28, s19
	s_cselect_b32 s28, s30, s29
	s_add_u32 s29, s11, 1
	s_addc_u32 s30, s15, 0
	s_add_u32 s31, s11, 2
	s_addc_u32 s33, s15, 0
	s_cmp_lg_u32 s28, 0
	s_cselect_b32 s28, s31, s29
	s_cselect_b32 s29, s33, s30
	s_cmp_lg_u64 s[26:27], 0
	s_subb_u32 s21, s21, s23
	s_cmp_ge_u32 s21, s19
	s_cselect_b32 s23, -1, 0
	s_cmp_ge_u32 s20, s18
	s_cselect_b32 s18, -1, 0
	s_cmp_eq_u32 s21, s19
	s_cselect_b32 s18, s18, s23
	s_cmp_lg_u32 s18, 0
	s_cselect_b32 s19, s29, s15
	s_cselect_b32 s18, s28, s11
	s_xor_b64 s[20:21], s[24:25], 0
	s_xor_b64 s[18:19], s[18:19], s[20:21]
	s_sub_u32 s18, s18, s20
	s_cbranch_execnz .LBB12_6
.LBB12_5:
	v_cvt_f32_u32_e32 v1, s22
	s_sub_i32 s11, 0, s22
	v_rcp_iflag_f32_e32 v1, v1
	v_mul_f32_e32 v1, 0x4f7ffffe, v1
	v_cvt_u32_f32_e32 v1, v1
	s_waitcnt lgkmcnt(0)
	v_readfirstlane_b32 s15, v1
	s_mul_i32 s11, s11, s15
	s_mul_hi_u32 s11, s15, s11
	s_add_i32 s15, s15, s11
	s_mul_hi_u32 s11, s9, s15
	s_mul_i32 s16, s11, s22
	s_sub_i32 s9, s9, s16
	s_add_i32 s15, s11, 1
	s_sub_i32 s16, s9, s22
	s_cmp_ge_u32 s9, s22
	s_cselect_b32 s11, s15, s11
	s_cselect_b32 s9, s16, s9
	s_add_i32 s15, s11, 1
	s_cmp_ge_u32 s9, s22
	s_cselect_b32 s18, s15, s11
.LBB12_6:
	s_cmp_eq_u32 s10, s18
	s_waitcnt lgkmcnt(0)
	s_mul_hi_u32 s9, s10, s12
	s_cselect_b64 s[16:17], -1, 0
	s_add_i32 s9, s9, s10
	s_lshr_b32 s11, s9, s13
	s_mul_i32 s9, s11, s14
	s_cmp_eq_u32 s9, s10
	s_mul_hi_u32 s9, s18, s12
	s_cselect_b64 s[20:21], -1, 0
	s_add_i32 s9, s9, s18
	s_lshr_b32 s9, s9, s13
	s_cmp_eq_u32 s11, s9
	s_mul_i32 s9, s9, s14
	s_cselect_b64 s[24:25], -1, 0
	s_cmp_lg_u32 s9, s18
	s_cselect_b64 s[18:19], -1, 0
	s_and_b64 s[18:19], s[24:25], s[18:19]
	s_or_b64 s[16:17], s[16:17], s[20:21]
	s_or_b64 s[16:17], s[16:17], s[18:19]
	s_and_b64 vcc, exec, s[16:17]
	s_cbranch_vccnz .LBB12_23
; %bb.7:
	s_load_dwordx8 s[24:31], s[4:5], 0x20
	s_load_dword s15, s[4:5], 0x40
	s_waitcnt lgkmcnt(0)
	s_mul_hi_u32 s9, s10, s24
	s_add_i32 s9, s9, s10
	s_lshr_b32 s9, s9, s25
	s_mul_i32 s16, s9, s26
	s_sub_i32 s16, s10, s16
	s_mul_hi_u32 s17, s16, s27
	s_add_i32 s17, s16, s17
	s_lshr_b32 s23, s17, s28
	s_mul_i32 s17, s23, s29
	s_sub_i32 s16, s16, s17
	;; [unrolled: 5-line block ×3, first 2 shown]
	s_mul_hi_u32 s16, s15, s12
	s_add_i32 s15, s15, s16
	s_lshr_b32 s24, s15, s13
	s_lshl_b32 s15, s24, 1
	s_lshl_b32 s25, s17, 3
	s_add_i32 s15, s15, s7
	s_cmp_lt_i32 s15, s0
	s_cselect_b64 s[16:17], -1, 0
	s_add_i32 s25, s25, s8
	s_cmp_lt_i32 s25, s2
	s_cselect_b64 s[18:19], -1, 0
	s_and_b64 s[16:17], s[16:17], s[18:19]
	s_andn2_b64 vcc, exec, s[16:17]
	s_cbranch_vccnz .LBB12_23
; %bb.8:
	s_load_dwordx4 s[16:19], s[4:5], 0x0
	s_mov_b32 s4, 0
	s_lshl_b32 s15, s7, 3
	s_lshl_b32 s20, s22, 6
	s_mov_b32 s21, s4
	s_add_i32 s15, s15, s8
	s_lshl_b64 s[20:21], s[20:21], 2
	s_waitcnt lgkmcnt(0)
	s_add_u32 s20, s18, s20
	s_mul_i32 s0, s9, s0
	s_addc_u32 s21, s19, s21
	s_mul_i32 s23, s23, s2
	s_add_i32 s0, s0, s7
	s_mul_i32 s2, s1, s24
	s_mul_i32 s0, s0, s1
	s_add_i32 s1, s25, s23
	s_add_i32 s0, s1, s0
	s_mulk_i32 s2, 0xe0
	s_mulk_i32 s0, 0x70
	s_add_i32 s2, s2, s0
	v_add_u32_e32 v1, s2, v0
	v_ashrrev_i32_e32 v2, 31, v1
	v_lshlrev_b64 v[1:2], 2, v[1:2]
	v_mov_b32_e32 v3, s17
	v_add_co_u32_e32 v1, vcc, s16, v1
	v_addc_co_u32_e32 v2, vcc, v3, v2, vcc
	global_load_dword v3, v[1:2], off
	v_cvt_f32_u32_e32 v4, s22
	s_lshl_b32 s0, s6, 4
	s_add_i32 s0, s15, s0
	s_ashr_i32 s1, s0, 31
	s_lshl_b64 s[0:1], s[0:1], 3
	v_rcp_iflag_f32_e32 v4, v4
	s_add_u32 s0, s18, s0
	s_addc_u32 s1, s19, s1
	s_load_dwordx2 s[0:1], s[0:1], 0x0
	v_mul_f32_e32 v4, 0x4f7ffffe, v4
	v_cvt_u32_f32_e32 v4, v4
	s_mul_i32 s2, s15, 0x70
	s_add_i32 s24, s6, -1
	v_add_u32_e32 v0, s2, v0
	s_waitcnt lgkmcnt(0)
	v_mov_b32_e32 v6, s1
	v_mov_b32_e32 v7, s0
	s_mov_b32 s2, 0x3fb8aa3b
	s_mov_b32 s16, 0xc2ce8ed0
	s_mov_b32 s17, 0x42b17218
	s_mov_b32 s23, 0xc1a00000
	v_mov_b32_e32 v5, 0x7f800000
	s_mul_hi_i32 s5, s24, s3
	s_cmp_lg_u64 s[4:5], 0
	s_mul_i32 s8, s24, s3
	s_cbranch_scc0 .LBB12_19
.LBB12_9:
	s_add_u32 s0, s22, 0
	s_addc_u32 s1, 0, 0
	s_xor_b64 s[0:1], s[0:1], 0
	v_cvt_f32_u32_e32 v8, s0
	v_cvt_f32_u32_e32 v9, s1
	s_sub_u32 s9, 0, s0
	s_subb_u32 s25, 0, s1
	v_mac_f32_e32 v8, 0x4f800000, v9
	v_rcp_f32_e32 v8, v8
	v_mul_f32_e32 v8, 0x5f7ffffc, v8
	v_mul_f32_e32 v9, 0x2f800000, v8
	v_trunc_f32_e32 v9, v9
	v_mac_f32_e32 v8, 0xcf800000, v9
	v_cvt_u32_f32_e32 v9, v9
	v_cvt_u32_f32_e32 v8, v8
	v_readfirstlane_b32 s26, v9
	v_readfirstlane_b32 s6, v8
	s_mul_i32 s7, s9, s26
	s_mul_hi_u32 s28, s9, s6
	s_mul_i32 s27, s25, s6
	s_add_i32 s7, s28, s7
	s_mul_i32 s29, s9, s6
	s_add_i32 s7, s7, s27
	s_mul_i32 s28, s6, s7
	s_mul_hi_u32 s30, s6, s29
	s_mul_hi_u32 s27, s6, s7
	s_add_u32 s28, s30, s28
	s_addc_u32 s27, 0, s27
	s_mul_hi_u32 s31, s26, s29
	s_mul_i32 s29, s26, s29
	s_add_u32 s28, s28, s29
	s_mul_hi_u32 s30, s26, s7
	s_addc_u32 s27, s27, s31
	s_addc_u32 s28, s30, 0
	s_mul_i32 s7, s26, s7
	s_add_u32 s7, s27, s7
	s_addc_u32 s27, 0, s28
	s_add_u32 s28, s6, s7
	s_cselect_b64 s[6:7], -1, 0
	s_cmp_lg_u64 s[6:7], 0
	s_addc_u32 s26, s26, s27
	s_mul_i32 s6, s9, s26
	s_mul_hi_u32 s7, s9, s28
	s_add_i32 s6, s7, s6
	s_mul_i32 s25, s25, s28
	s_add_i32 s6, s6, s25
	s_mul_i32 s9, s9, s28
	s_mul_hi_u32 s25, s26, s9
	s_mul_i32 s27, s26, s9
	s_mul_i32 s30, s28, s6
	s_mul_hi_u32 s9, s28, s9
	s_mul_hi_u32 s29, s28, s6
	s_add_u32 s9, s9, s30
	s_addc_u32 s29, 0, s29
	s_add_u32 s9, s9, s27
	s_mul_hi_u32 s7, s26, s6
	s_addc_u32 s9, s29, s25
	s_addc_u32 s7, s7, 0
	s_mul_i32 s6, s26, s6
	s_add_u32 s6, s9, s6
	s_addc_u32 s9, 0, s7
	s_add_u32 s25, s28, s6
	s_cselect_b64 s[6:7], -1, 0
	s_cmp_lg_u64 s[6:7], 0
	s_addc_u32 s9, s26, s9
	s_ashr_i32 s6, s5, 31
	s_add_u32 s26, s8, s6
	s_mov_b32 s7, s6
	s_addc_u32 s27, s5, s6
	s_xor_b64 s[26:27], s[26:27], s[6:7]
	s_mul_i32 s28, s26, s9
	s_mul_hi_u32 s29, s26, s25
	s_mul_hi_u32 s5, s26, s9
	s_add_u32 s28, s29, s28
	s_addc_u32 s5, 0, s5
	s_mul_hi_u32 s30, s27, s25
	s_mul_i32 s25, s27, s25
	s_add_u32 s25, s28, s25
	s_mul_hi_u32 s29, s27, s9
	s_addc_u32 s5, s5, s30
	s_addc_u32 s25, s29, 0
	s_mul_i32 s9, s27, s9
	s_add_u32 s5, s5, s9
	s_addc_u32 s9, 0, s25
	s_mul_i32 s25, s0, s9
	s_mul_hi_u32 s28, s0, s5
	s_add_i32 s25, s28, s25
	s_mul_i32 s28, s1, s5
	s_add_i32 s25, s25, s28
	s_sub_i32 s30, s27, s25
	s_mul_i32 s28, s0, s5
	s_sub_u32 s26, s26, s28
	s_cselect_b64 s[28:29], -1, 0
	s_cmp_lg_u64 s[28:29], 0
	s_subb_u32 s33, s30, s1
	s_sub_u32 s34, s26, s0
	s_cselect_b64 s[30:31], -1, 0
	s_cmp_lg_u64 s[30:31], 0
	s_subb_u32 s30, s33, 0
	s_cmp_ge_u32 s30, s1
	s_cselect_b32 s31, -1, 0
	s_cmp_ge_u32 s34, s0
	s_cselect_b32 s33, -1, 0
	s_cmp_eq_u32 s30, s1
	s_cselect_b32 s30, s33, s31
	s_add_u32 s31, s5, 1
	s_addc_u32 s33, s9, 0
	s_add_u32 s34, s5, 2
	s_addc_u32 s35, s9, 0
	s_cmp_lg_u32 s30, 0
	s_cselect_b32 s30, s34, s31
	s_cselect_b32 s31, s35, s33
	s_cmp_lg_u64 s[28:29], 0
	s_subb_u32 s25, s27, s25
	s_cmp_ge_u32 s25, s1
	s_cselect_b32 s27, -1, 0
	s_cmp_ge_u32 s26, s0
	s_cselect_b32 s0, -1, 0
	s_cmp_eq_u32 s25, s1
	s_cselect_b32 s0, s0, s27
	s_cmp_lg_u32 s0, 0
	s_cselect_b32 s1, s31, s9
	s_cselect_b32 s0, s30, s5
	s_xor_b64 s[6:7], s[6:7], 0
	s_xor_b64 s[0:1], s[0:1], s[6:7]
	s_sub_u32 s6, s0, s6
	s_cbranch_execnz .LBB12_11
.LBB12_10:
	s_sub_i32 s0, 0, s22
	v_readfirstlane_b32 s1, v4
	s_mul_i32 s0, s0, s1
	s_mul_hi_u32 s0, s1, s0
	s_add_i32 s1, s1, s0
	s_mul_hi_u32 s0, s8, s1
	s_mul_i32 s5, s0, s22
	s_sub_i32 s5, s8, s5
	s_add_i32 s1, s0, 1
	s_sub_i32 s6, s5, s22
	s_cmp_ge_u32 s5, s22
	s_cselect_b32 s0, s1, s0
	s_cselect_b32 s5, s6, s5
	s_add_i32 s1, s0, 1
	s_cmp_ge_u32 s5, s22
	s_cselect_b32 s6, s1, s0
.LBB12_11:
	s_cmp_lg_u32 s10, s6
	s_mov_b64 s[8:9], -1
                                        ; implicit-def: $sgpr0_sgpr1
                                        ; implicit-def: $vgpr10
                                        ; implicit-def: $vgpr8
                                        ; implicit-def: $vgpr9
                                        ; implicit-def: $sgpr5
                                        ; implicit-def: $sgpr7
	s_cbranch_scc1 .LBB12_14
; %bb.12:
	s_andn2_b64 vcc, exec, s[8:9]
	s_cbranch_vccz .LBB12_17
.LBB12_13:
	s_andn2_b64 vcc, exec, s[0:1]
	s_cbranch_vccnz .LBB12_18
	s_branch .LBB12_22
.LBB12_14:
	s_add_i32 s0, s24, s22
	s_lshl_b32 s0, s0, 4
	s_add_i32 s0, s0, s15
	s_mov_b32 s1, s4
	s_lshl_b64 s[0:1], s[0:1], 3
	s_add_u32 s8, s18, s0
	s_mul_hi_u32 s0, s6, s12
	s_addc_u32 s9, s19, s1
	s_add_i32 s0, s0, s6
	s_lshr_b32 s5, s0, s13
	s_mul_i32 s0, s5, s14
	s_cmp_eq_u32 s0, s6
	s_cselect_b64 s[0:1], -1, 0
	s_cmp_lt_u32 s5, s11
	s_cselect_b64 s[26:27], -1, 0
	s_or_b64 s[26:27], s[26:27], s[0:1]
	s_mov_b64 s[0:1], -1
	s_and_b64 vcc, exec, s[26:27]
	s_mov_b32 s5, s24
	s_mov_b32 s7, s10
	s_cbranch_vccnz .LBB12_16
; %bb.15:
	s_add_i32 s5, s24, -1
	s_mov_b64 s[0:1], 0
	s_mov_b32 s7, s6
.LBB12_16:
	s_mul_i32 s6, s24, 0x700
	v_add_u32_e32 v8, s6, v0
	v_ashrrev_i32_e32 v9, 31, v8
	v_lshlrev_b64 v[8:9], 2, v[8:9]
	v_mov_b32_e32 v10, s21
	v_add_co_u32_e32 v8, vcc, s20, v8
	v_addc_co_u32_e32 v9, vcc, v10, v9, vcc
	global_load_dword v10, v[8:9], off
	s_load_dwordx2 s[8:9], s[8:9], 0x0
	v_max_f32_e32 v8, v7, v7
	s_waitcnt lgkmcnt(0)
	v_max_f32_e64 v9, s8, s8
	v_max_f32_e32 v8, v8, v9
	v_sub_f32_e32 v9, v7, v8
	v_sub_f32_e32 v11, s8, v8
	v_mul_f32_e32 v12, 0x3fb8aa3b, v9
	v_mul_f32_e32 v13, 0x3fb8aa3b, v11
	v_fma_f32 v14, v9, s2, -v12
	v_rndne_f32_e32 v15, v12
	v_fma_f32 v16, v11, s2, -v13
	v_rndne_f32_e32 v17, v13
	v_fmac_f32_e32 v14, 0x32a5705f, v9
	v_sub_f32_e32 v12, v12, v15
	v_fmac_f32_e32 v16, 0x32a5705f, v11
	v_sub_f32_e32 v13, v13, v17
	v_add_f32_e32 v12, v12, v14
	v_cvt_i32_f32_e32 v15, v15
	v_add_f32_e32 v13, v13, v16
	v_exp_f32_e32 v12, v12
	v_cvt_i32_f32_e32 v17, v17
	v_exp_f32_e32 v13, v13
	v_cmp_ngt_f32_e32 vcc, s16, v9
	v_ldexp_f32 v12, v12, v15
	v_cndmask_b32_e32 v12, 0, v12, vcc
	v_ldexp_f32 v13, v13, v17
	v_cmp_ngt_f32_e32 vcc, s16, v11
	v_cndmask_b32_e32 v13, 0, v13, vcc
	v_cmp_nlt_f32_e32 vcc, s17, v9
	v_cndmask_b32_e32 v12, v5, v12, vcc
	v_cmp_nlt_f32_e32 vcc, s17, v11
	v_cndmask_b32_e32 v13, v5, v13, vcc
	v_cmp_le_f32_e32 vcc, s23, v9
	v_cndmask_b32_e32 v12, 0, v12, vcc
	v_cmp_le_f32_e32 vcc, s23, v11
	v_cndmask_b32_e32 v11, 0, v13, vcc
	v_mul_f32_e32 v9, s9, v11
	v_fmac_f32_e32 v9, v6, v12
	s_waitcnt vmcnt(0)
	v_mul_f32_e32 v10, v10, v11
	v_fmac_f32_e32 v10, v3, v12
	s_cbranch_execnz .LBB12_13
.LBB12_17:
	s_add_i32 s5, s24, -1
	s_mov_b32 s7, s10
	v_mov_b32_e32 v9, v6
	v_mov_b32_e32 v8, v7
	s_waitcnt vmcnt(0)
	v_mov_b32_e32 v10, v3
	s_cbranch_execz .LBB12_22
.LBB12_18:
	s_mov_b32 s10, s7
	s_mov_b32 s24, s5
	v_mov_b32_e32 v6, v9
	v_mov_b32_e32 v7, v8
	s_waitcnt vmcnt(0)
	v_mov_b32_e32 v3, v10
	s_mul_hi_i32 s5, s24, s3
	s_cmp_lg_u64 s[4:5], 0
	s_mul_i32 s8, s24, s3
	s_cbranch_scc1 .LBB12_9
.LBB12_19:
                                        ; implicit-def: $sgpr6_sgpr7
	s_branch .LBB12_10
.LBB12_20:
                                        ; implicit-def: $sgpr10_sgpr11
	s_load_dwordx4 s[12:15], s[4:5], 0x44
	s_branch .LBB12_2
.LBB12_21:
                                        ; implicit-def: $sgpr18_sgpr19
	s_branch .LBB12_5
.LBB12_22:
	v_div_scale_f32 v0, s[0:1], v9, v9, v10
	s_waitcnt vmcnt(0)
	v_div_scale_f32 v3, vcc, v10, v9, v10
	v_rcp_f32_e32 v4, v0
	v_fma_f32 v5, -v0, v4, 1.0
	v_fmac_f32_e32 v4, v5, v4
	v_mul_f32_e32 v5, v3, v4
	v_fma_f32 v6, -v0, v5, v3
	v_fmac_f32_e32 v5, v6, v4
	v_fma_f32 v0, -v0, v5, v3
	v_div_fmas_f32 v0, v0, v4, v5
	v_div_fixup_f32 v0, v0, v9, v10
	global_store_dword v[1:2], v0, off
.LBB12_23:
	s_endpgm
	.section	.rodata,"a",@progbits
	.p2align	6, 0x0
	.amdhsa_kernel _ZL33flash_attn_stream_k_fixup_generalILi112ELi2ELi8EEvPfPK15HIP_vector_typeIfLj2EEiiiiS1_IjLj3EES5_S5_S5_
		.amdhsa_group_segment_fixed_size 0
		.amdhsa_private_segment_fixed_size 0
		.amdhsa_kernarg_size 336
		.amdhsa_user_sgpr_count 6
		.amdhsa_user_sgpr_private_segment_buffer 1
		.amdhsa_user_sgpr_dispatch_ptr 0
		.amdhsa_user_sgpr_queue_ptr 0
		.amdhsa_user_sgpr_kernarg_segment_ptr 1
		.amdhsa_user_sgpr_dispatch_id 0
		.amdhsa_user_sgpr_flat_scratch_init 0
		.amdhsa_user_sgpr_private_segment_size 0
		.amdhsa_uses_dynamic_stack 0
		.amdhsa_system_sgpr_private_segment_wavefront_offset 0
		.amdhsa_system_sgpr_workgroup_id_x 1
		.amdhsa_system_sgpr_workgroup_id_y 1
		.amdhsa_system_sgpr_workgroup_id_z 1
		.amdhsa_system_sgpr_workgroup_info 0
		.amdhsa_system_vgpr_workitem_id 0
		.amdhsa_next_free_vgpr 18
		.amdhsa_next_free_sgpr 36
		.amdhsa_reserve_vcc 1
		.amdhsa_reserve_flat_scratch 0
		.amdhsa_float_round_mode_32 0
		.amdhsa_float_round_mode_16_64 0
		.amdhsa_float_denorm_mode_32 3
		.amdhsa_float_denorm_mode_16_64 3
		.amdhsa_dx10_clamp 1
		.amdhsa_ieee_mode 1
		.amdhsa_fp16_overflow 0
		.amdhsa_exception_fp_ieee_invalid_op 0
		.amdhsa_exception_fp_denorm_src 0
		.amdhsa_exception_fp_ieee_div_zero 0
		.amdhsa_exception_fp_ieee_overflow 0
		.amdhsa_exception_fp_ieee_underflow 0
		.amdhsa_exception_fp_ieee_inexact 0
		.amdhsa_exception_int_div_zero 0
	.end_amdhsa_kernel
	.section	.text._ZL33flash_attn_stream_k_fixup_generalILi112ELi2ELi8EEvPfPK15HIP_vector_typeIfLj2EEiiiiS1_IjLj3EES5_S5_S5_,"axG",@progbits,_ZL33flash_attn_stream_k_fixup_generalILi112ELi2ELi8EEvPfPK15HIP_vector_typeIfLj2EEiiiiS1_IjLj3EES5_S5_S5_,comdat
.Lfunc_end12:
	.size	_ZL33flash_attn_stream_k_fixup_generalILi112ELi2ELi8EEvPfPK15HIP_vector_typeIfLj2EEiiiiS1_IjLj3EES5_S5_S5_, .Lfunc_end12-_ZL33flash_attn_stream_k_fixup_generalILi112ELi2ELi8EEvPfPK15HIP_vector_typeIfLj2EEiiiiS1_IjLj3EES5_S5_S5_
                                        ; -- End function
	.set _ZL33flash_attn_stream_k_fixup_generalILi112ELi2ELi8EEvPfPK15HIP_vector_typeIfLj2EEiiiiS1_IjLj3EES5_S5_S5_.num_vgpr, 18
	.set _ZL33flash_attn_stream_k_fixup_generalILi112ELi2ELi8EEvPfPK15HIP_vector_typeIfLj2EEiiiiS1_IjLj3EES5_S5_S5_.num_agpr, 0
	.set _ZL33flash_attn_stream_k_fixup_generalILi112ELi2ELi8EEvPfPK15HIP_vector_typeIfLj2EEiiiiS1_IjLj3EES5_S5_S5_.numbered_sgpr, 36
	.set _ZL33flash_attn_stream_k_fixup_generalILi112ELi2ELi8EEvPfPK15HIP_vector_typeIfLj2EEiiiiS1_IjLj3EES5_S5_S5_.num_named_barrier, 0
	.set _ZL33flash_attn_stream_k_fixup_generalILi112ELi2ELi8EEvPfPK15HIP_vector_typeIfLj2EEiiiiS1_IjLj3EES5_S5_S5_.private_seg_size, 0
	.set _ZL33flash_attn_stream_k_fixup_generalILi112ELi2ELi8EEvPfPK15HIP_vector_typeIfLj2EEiiiiS1_IjLj3EES5_S5_S5_.uses_vcc, 1
	.set _ZL33flash_attn_stream_k_fixup_generalILi112ELi2ELi8EEvPfPK15HIP_vector_typeIfLj2EEiiiiS1_IjLj3EES5_S5_S5_.uses_flat_scratch, 0
	.set _ZL33flash_attn_stream_k_fixup_generalILi112ELi2ELi8EEvPfPK15HIP_vector_typeIfLj2EEiiiiS1_IjLj3EES5_S5_S5_.has_dyn_sized_stack, 0
	.set _ZL33flash_attn_stream_k_fixup_generalILi112ELi2ELi8EEvPfPK15HIP_vector_typeIfLj2EEiiiiS1_IjLj3EES5_S5_S5_.has_recursion, 0
	.set _ZL33flash_attn_stream_k_fixup_generalILi112ELi2ELi8EEvPfPK15HIP_vector_typeIfLj2EEiiiiS1_IjLj3EES5_S5_S5_.has_indirect_call, 0
	.section	.AMDGPU.csdata,"",@progbits
; Kernel info:
; codeLenInByte = 2944
; TotalNumSgprs: 40
; NumVgprs: 18
; ScratchSize: 0
; MemoryBound: 0
; FloatMode: 240
; IeeeMode: 1
; LDSByteSize: 0 bytes/workgroup (compile time only)
; SGPRBlocks: 4
; VGPRBlocks: 4
; NumSGPRsForWavesPerEU: 40
; NumVGPRsForWavesPerEU: 18
; Occupancy: 10
; WaveLimiterHint : 0
; COMPUTE_PGM_RSRC2:SCRATCH_EN: 0
; COMPUTE_PGM_RSRC2:USER_SGPR: 6
; COMPUTE_PGM_RSRC2:TRAP_HANDLER: 0
; COMPUTE_PGM_RSRC2:TGID_X_EN: 1
; COMPUTE_PGM_RSRC2:TGID_Y_EN: 1
; COMPUTE_PGM_RSRC2:TGID_Z_EN: 1
; COMPUTE_PGM_RSRC2:TIDIG_COMP_CNT: 0
	.section	.text._ZL15flash_attn_tileILi112ELi112ELi1ELi8ELb0EEvPKcS1_S1_S1_S1_PKiPfP15HIP_vector_typeIfLj2EEffffjfiS5_IjLj3EEiiiiiiiiiiiliiliiiiil,"axG",@progbits,_ZL15flash_attn_tileILi112ELi112ELi1ELi8ELb0EEvPKcS1_S1_S1_S1_PKiPfP15HIP_vector_typeIfLj2EEffffjfiS5_IjLj3EEiiiiiiiiiiiliiliiiiil,comdat
	.globl	_ZL15flash_attn_tileILi112ELi112ELi1ELi8ELb0EEvPKcS1_S1_S1_S1_PKiPfP15HIP_vector_typeIfLj2EEffffjfiS5_IjLj3EEiiiiiiiiiiiliiliiiiil ; -- Begin function _ZL15flash_attn_tileILi112ELi112ELi1ELi8ELb0EEvPKcS1_S1_S1_S1_PKiPfP15HIP_vector_typeIfLj2EEffffjfiS5_IjLj3EEiiiiiiiiiiiliiliiiiil
	.p2align	8
	.type	_ZL15flash_attn_tileILi112ELi112ELi1ELi8ELb0EEvPKcS1_S1_S1_S1_PKiPfP15HIP_vector_typeIfLj2EEffffjfiS5_IjLj3EEiiiiiiiiiiiliiliiiiil,@function
_ZL15flash_attn_tileILi112ELi112ELi1ELi8ELb0EEvPKcS1_S1_S1_S1_PKiPfP15HIP_vector_typeIfLj2EEffffjfiS5_IjLj3EEiiiiiiiiiiiliiliiiiil: ; @_ZL15flash_attn_tileILi112ELi112ELi1ELi8ELb0EEvPKcS1_S1_S1_S1_PKiPfP15HIP_vector_typeIfLj2EEffffjfiS5_IjLj3EEiiiiiiiiiiiliiliiiiil
; %bb.0:
	s_load_dwordx4 s[36:39], s[4:5], 0x5c
	s_load_dwordx2 s[34:35], s[4:5], 0x80
	s_load_dwordx16 s[16:31], s[4:5], 0x0
	s_mov_b64 s[40:41], 0
	s_waitcnt lgkmcnt(0)
	s_ashr_i32 s0, s39, 31
	s_lshr_b32 s0, s0, 29
	s_add_i32 s0, s39, s0
	s_ashr_i32 s0, s0, 3
	v_cvt_f32_u32_e32 v2, s0
	s_sub_i32 s1, 0, s0
	v_rcp_iflag_f32_e32 v2, v2
	v_mul_f32_e32 v2, 0x4f7ffffe, v2
	v_cvt_u32_f32_e32 v2, v2
	v_readfirstlane_b32 s2, v2
	s_mul_i32 s1, s1, s2
	s_mul_hi_u32 s1, s2, s1
	s_add_i32 s2, s2, s1
	s_mul_hi_u32 s1, s8, s2
	s_mul_i32 s2, s1, s0
	s_sub_i32 s2, s8, s2
	s_add_i32 s3, s1, 1
	s_sub_i32 s9, s2, s0
	s_cmp_ge_u32 s2, s0
	s_cselect_b32 s1, s3, s1
	s_cselect_b32 s2, s9, s2
	s_add_i32 s3, s1, 1
	s_cmp_ge_u32 s2, s0
	s_cselect_b32 s33, s3, s1
	s_abs_i32 s1, s35
	v_cvt_f32_u32_e32 v2, s1
	s_lshl_b32 s0, s8, 3
	s_sub_i32 s8, 0, s1
	s_abs_i32 s3, s39
	v_rcp_iflag_f32_e32 v2, v2
	s_xor_b32 s2, s39, s35
	s_ashr_i32 s2, s2, 31
	v_mul_f32_e32 v2, 0x4f7ffffe, v2
	v_cvt_u32_f32_e32 v2, v2
	v_readfirstlane_b32 s9, v2
	s_mul_i32 s8, s8, s9
	s_mul_hi_u32 s8, s9, s8
	s_add_i32 s9, s9, s8
	s_mul_hi_u32 s8, s3, s9
	s_mul_i32 s9, s8, s1
	s_sub_i32 s3, s3, s9
	s_add_i32 s10, s8, 1
	s_sub_i32 s9, s3, s1
	s_cmp_ge_u32 s3, s1
	s_cselect_b32 s8, s10, s8
	s_cselect_b32 s3, s9, s3
	s_add_i32 s9, s8, 1
	s_cmp_ge_u32 s3, s1
	s_cselect_b32 s1, s9, s8
	s_xor_b32 s1, s1, s2
	s_sub_i32 s15, s1, s2
	s_abs_i32 s14, s15
	v_cvt_f32_u32_e32 v2, s14
	s_load_dwordx2 s[2:3], s[4:5], 0xb8
	s_mul_i32 s1, s33, s39
	s_cmp_eq_u64 s[22:23], 0
	v_rcp_iflag_f32_e32 v2, v2
	v_mul_f32_e32 v2, 0x4f7ffffe, v2
	v_cvt_u32_f32_e32 v2, v2
	v_readfirstlane_b32 s43, v2
	s_cbranch_scc1 .LBB13_2
; %bb.1:
	s_waitcnt lgkmcnt(0)
	s_abs_i32 s2, s2
	v_cvt_f32_u32_e32 v2, s2
	s_sub_i32 s12, 0, s2
	s_abs_i32 s11, s33
	s_ashr_i32 s10, s33, 31
	v_rcp_iflag_f32_e32 v2, v2
	s_load_dwordx2 s[8:9], s[4:5], 0xc8
	v_mul_f32_e32 v2, 0x4f7ffffe, v2
	v_cvt_u32_f32_e32 v2, v2
	v_readfirstlane_b32 s13, v2
	s_mul_i32 s12, s12, s13
	s_mul_hi_u32 s12, s13, s12
	s_add_i32 s13, s13, s12
	s_mul_hi_u32 s12, s11, s13
	s_mul_i32 s12, s12, s2
	s_sub_i32 s11, s11, s12
	s_sub_i32 s12, s11, s2
	s_cmp_ge_u32 s11, s2
	s_cselect_b32 s11, s12, s11
	s_sub_i32 s12, s11, s2
	s_cmp_ge_u32 s11, s2
	s_cselect_b32 s2, s12, s11
	s_xor_b32 s2, s2, s10
	s_sub_i32 s2, s2, s10
	s_ashr_i32 s10, s2, 31
	s_waitcnt lgkmcnt(0)
	s_mul_hi_u32 s11, s8, s2
	s_mul_i32 s10, s8, s10
	s_mul_i32 s9, s9, s2
	s_add_i32 s10, s11, s10
	s_add_i32 s10, s10, s9
	s_mul_i32 s2, s8, s2
	s_add_u32 s40, s22, s2
	s_addc_u32 s41, s23, s10
.LBB13_2:
	s_waitcnt lgkmcnt(0)
	s_movk_i32 s2, 0xe0
	v_mov_b32_e32 v2, 0x1040
	s_sub_i32 s35, s0, s1
	v_cmp_gt_u32_e64 s[0:1], 28, v0
	v_mad_u32_u24 v57, v1, s2, v2
	v_lshlrev_b32_e32 v58, 3, v0
	v_and_b32_e32 v55, 7, v1
	v_lshrrev_b32_e32 v56, 3, v1
	s_and_saveexec_b64 s[12:13], s[0:1]
	s_cbranch_execz .LBB13_4
; %bb.3:
	s_load_dwordx4 s[8:11], s[4:5], 0x70
	v_add_u32_e32 v5, s6, v56
	v_mul_hi_u32 v4, s36, v5
	s_waitcnt lgkmcnt(0)
	s_mul_i32 s2, s33, s10
	s_ashr_i32 s22, s2, 31
	s_mul_i32 s11, s35, s9
	s_add_u32 s2, s16, s2
	s_addc_u32 s16, s17, s22
	s_ashr_i32 s17, s11, 31
	s_add_u32 s2, s2, s11
	s_mov_b32 s10, s9
	s_addc_u32 s22, s16, s17
	s_ashr_i32 s11, s9, 31
	s_lshr_b64 s[16:17], s[10:11], 2
	v_add_u32_e32 v4, v5, v4
	v_mad_u64_u32 v[2:3], s[16:17], s16, v55, 0
	v_lshrrev_b32_e32 v4, s37, v4
	v_mul_lo_u32 v6, v4, s38
	s_lshr_b32 s9, s11, 2
	v_mad_u64_u32 v[3:4], s[10:11], s9, v55, v[3:4]
	s_ashr_i32 s9, s8, 31
	s_lshr_b64 s[10:11], s[8:9], 2
	v_sub_u32_e32 v6, v5, v6
	v_mad_u64_u32 v[4:5], s[10:11], s10, v6, 0
	s_lshr_b32 s8, s9, 2
	v_lshlrev_b64 v[2:3], 2, v[2:3]
	v_mad_u64_u32 v[5:6], s[8:9], s8, v6, v[5:6]
	v_mov_b32_e32 v7, s22
	v_add_co_u32_e32 v6, vcc, s2, v2
	v_addc_co_u32_e32 v7, vcc, v7, v3, vcc
	v_lshlrev_b64 v[2:3], 2, v[4:5]
	v_lshlrev_b32_e32 v4, 4, v0
	v_add_co_u32_e32 v2, vcc, v6, v2
	v_addc_co_u32_e32 v3, vcc, v7, v3, vcc
	v_add_co_u32_e32 v2, vcc, v2, v4
	v_addc_co_u32_e32 v3, vcc, 0, v3, vcc
	global_load_dwordx4 v[2:5], v[2:3], off
	s_load_dword s2, s[4:5], 0x40
	v_add_u32_e32 v6, v57, v58
	s_waitcnt vmcnt(0) lgkmcnt(0)
	v_fma_mixlo_f16 v2, s2, v2, 0
	v_fma_mixlo_f16 v3, s2, v3, 0
	;; [unrolled: 1-line block ×4, first 2 shown]
	v_lshlrev_b32_e32 v3, 16, v3
	v_and_b32_e32 v2, 0xffff, v2
	v_lshlrev_b32_e32 v5, 16, v5
	v_and_b32_e32 v4, 0xffff, v4
	v_or_b32_e32 v2, v3, v2
	v_or3_b32 v3, v5, v4, 0
	v_or3_b32 v2, 0, 0, v2
	ds_write_b64 v6, v[2:3]
.LBB13_4:
	s_or_b64 exec, exec, s[12:13]
	s_cmp_eq_u64 s[26:27], 0
	s_waitcnt lgkmcnt(0)
	s_barrier
	s_cbranch_scc1 .LBB13_6
; %bb.5:
	s_load_dword s2, s[4:5], 0xd0
	s_mov_b32 s9, 0
	s_waitcnt lgkmcnt(0)
	s_mul_i32 s2, s2, s33
	s_add_i32 s8, s2, s6
	s_lshl_b64 s[8:9], s[8:9], 2
	s_add_u32 s8, s26, s8
	s_addc_u32 s9, s27, s9
	s_load_dword s34, s[8:9], 0x0
.LBB13_6:
	s_lshl_b32 s42, s7, 5
	s_waitcnt lgkmcnt(0)
	s_cmp_lt_i32 s42, s34
	v_mbcnt_lo_u32_b32 v2, -1, 0
	s_cbranch_scc1 .LBB13_16
; %bb.7:
	v_mbcnt_hi_u32_b32 v59, -1, v2
	v_and_b32_e32 v3, 0x60, v59
	v_add_u32_e32 v76, 32, v3
	v_xor_b32_e32 v77, 16, v59
	v_xor_b32_e32 v78, 8, v59
	;; [unrolled: 1-line block ×5, first 2 shown]
	s_cbranch_execz .LBB13_17
; %bb.8:
	v_mov_b32_e32 v61, 0
	v_mov_b32_e32 v82, 0
	;; [unrolled: 1-line block ×4, first 2 shown]
.LBB13_9:
	v_cmp_lt_i32_e32 vcc, v77, v76
	v_cndmask_b32_e32 v1, v59, v77, vcc
	v_lshlrev_b32_e32 v1, 2, v1
	ds_bpermute_b32 v1, v1, v82
	v_cmp_lt_i32_e32 vcc, v78, v76
	v_cndmask_b32_e32 v2, v59, v78, vcc
	v_lshlrev_b32_e32 v2, 2, v2
	v_cmp_lt_i32_e32 vcc, v79, v76
	s_waitcnt lgkmcnt(0)
	v_add_f32_e32 v1, v82, v1
	ds_bpermute_b32 v2, v2, v1
	v_cndmask_b32_e32 v3, v59, v79, vcc
	v_lshlrev_b32_e32 v3, 2, v3
	v_cmp_lt_i32_e32 vcc, v80, v76
	s_cmp_lg_u64 s[24:25], 0
	s_waitcnt lgkmcnt(0)
	v_add_f32_e32 v1, v1, v2
	ds_bpermute_b32 v2, v3, v1
	v_cndmask_b32_e32 v3, v59, v80, vcc
	v_lshlrev_b32_e32 v3, 2, v3
	v_cmp_lt_i32_e32 vcc, v81, v76
	v_cndmask_b32_e32 v4, v59, v81, vcc
	s_waitcnt lgkmcnt(0)
	v_add_f32_e32 v2, v1, v2
	ds_bpermute_b32 v3, v3, v2
	v_lshlrev_b32_e32 v4, 2, v4
	s_cselect_b64 s[2:3], -1, 0
	s_cmp_eq_u32 s7, 0
	s_cselect_b64 s[8:9], -1, 0
	s_waitcnt lgkmcnt(0)
	v_add_f32_e32 v2, v2, v3
	ds_bpermute_b32 v3, v4, v2
	s_and_b64 s[2:3], s[8:9], s[2:3]
	v_add_u32_e32 v1, s35, v55
	s_and_b64 vcc, exec, s[2:3]
	s_waitcnt lgkmcnt(0)
	v_add_f32_e32 v55, v2, v3
	s_cbranch_vccz .LBB13_11
; %bb.10:
	v_ashrrev_i32_e32 v2, 31, v1
	v_lshlrev_b64 v[2:3], 2, v[1:2]
	v_mov_b32_e32 v4, s25
	v_add_co_u32_e32 v2, vcc, s24, v2
	v_addc_co_u32_e32 v3, vcc, v4, v3, vcc
	global_load_dword v2, v[2:3], off
	v_max_f32_e32 v3, v54, v54
	s_mov_b32 s2, 0x3fb8aa3b
	s_mov_b32 s3, 0xc2ce8ed0
	s_waitcnt vmcnt(0)
	v_max_f32_e32 v4, v2, v2
	v_max_f32_e32 v3, v3, v4
	v_sub_f32_e32 v4, v54, v3
	v_sub_f32_e32 v2, v2, v3
	v_mul_f32_e32 v5, 0x3fb8aa3b, v4
	v_mul_f32_e32 v6, 0x3fb8aa3b, v2
	v_fma_f32 v7, v4, s2, -v5
	v_rndne_f32_e32 v8, v5
	v_fma_f32 v9, v2, s2, -v6
	v_rndne_f32_e32 v10, v6
	v_fmac_f32_e32 v7, 0x32a5705f, v4
	v_sub_f32_e32 v5, v5, v8
	v_fmac_f32_e32 v9, 0x32a5705f, v2
	v_sub_f32_e32 v6, v6, v10
	v_add_f32_e32 v5, v5, v7
	v_cvt_i32_f32_e32 v8, v8
	v_add_f32_e32 v6, v6, v9
	v_exp_f32_e32 v5, v5
	v_cvt_i32_f32_e32 v10, v10
	v_exp_f32_e32 v6, v6
	v_cmp_ngt_f32_e32 vcc, s3, v4
	v_ldexp_f32 v5, v5, v8
	s_mov_b32 s2, 0x42b17218
	v_ldexp_f32 v6, v6, v10
	v_cndmask_b32_e32 v5, 0, v5, vcc
	v_cmp_ngt_f32_e32 vcc, s3, v2
	v_mov_b32_e32 v7, 0x7f800000
	v_cndmask_b32_e32 v6, 0, v6, vcc
	v_cmp_nlt_f32_e32 vcc, s2, v4
	v_cndmask_b32_e32 v4, v7, v5, vcc
	v_cvt_f16_f32_e32 v5, v4
	v_cmp_nlt_f32_e32 vcc, s2, v2
	v_cndmask_b32_e32 v2, v7, v6, vcc
	v_fmac_f32_e32 v2, v55, v4
	v_mov_b32_e32 v55, v2
	v_mul_u32_u24_e32 v2, 0x10001, v5
	v_pk_mul_f16 v60, v60, v2
	v_pk_mul_f16 v61, v61, v2
	v_mov_b32_e32 v54, v3
.LBB13_11:
	s_load_dword s8, s[4:5], 0xd4
	s_mul_i32 s4, s33, s38
	s_waitcnt lgkmcnt(0)
	s_cmp_lg_u32 s8, 1
	s_cselect_b64 s[2:3], -1, 0
	s_add_i32 s4, s4, s6
	v_add_u32_e32 v2, s4, v56
	v_mad_u64_u32 v[1:2], s[4:5], v2, s39, v[1:2]
	v_mul_lo_u32 v1, s8, v1
	v_add_u32_e32 v1, s7, v1
	s_and_saveexec_b64 s[4:5], s[0:1]
	s_cbranch_execz .LBB13_13
; %bb.12:
	v_div_scale_f32 v2, s[0:1], v55, v55, 1.0
	v_div_scale_f32 v3, vcc, 1.0, v55, 1.0
	s_movk_i32 s0, 0x70
	v_cvt_f32_f16_sdwa v8, v61 dst_sel:DWORD dst_unused:UNUSED_PAD src0_sel:WORD_1
	v_cvt_f32_f16_e32 v9, v61
	v_cvt_f32_f16_sdwa v10, v60 dst_sel:DWORD dst_unused:UNUSED_PAD src0_sel:WORD_1
	v_cvt_f32_f16_e32 v11, v60
	v_rcp_f32_e32 v4, v2
	v_fma_f32 v5, -v2, v4, 1.0
	v_fmac_f32_e32 v4, v5, v4
	v_mul_f32_e32 v5, v3, v4
	v_fma_f32 v6, -v2, v5, v3
	v_fmac_f32_e32 v5, v6, v4
	v_fma_f32 v2, -v2, v5, v3
	v_div_fmas_f32 v4, v2, v4, v5
	v_mul_lo_u32 v2, v1, s0
	v_mov_b32_e32 v3, 0
	v_mov_b32_e32 v5, s29
	v_lshl_add_u32 v2, v0, 2, v2
	v_lshlrev_b64 v[2:3], 2, v[2:3]
	v_add_co_u32_e32 v6, vcc, s28, v2
	v_addc_co_u32_e32 v7, vcc, v5, v3, vcc
	v_div_fixup_f32 v2, v4, v55, 1.0
	v_cndmask_b32_e64 v2, v2, 1.0, s[2:3]
	v_mul_f32_e32 v5, v2, v8
	v_mul_f32_e32 v4, v2, v9
	;; [unrolled: 1-line block ×4, first 2 shown]
	global_store_dwordx4 v[6:7], v[2:5], off
.LBB13_13:
	s_or_b64 exec, exec, s[4:5]
	v_cmp_eq_u32_e32 vcc, 0, v0
	s_and_b64 s[0:1], vcc, s[2:3]
	s_and_saveexec_b64 s[2:3], s[0:1]
	s_cbranch_execz .LBB13_15
; %bb.14:
	v_ashrrev_i32_e32 v2, 31, v1
	v_lshlrev_b64 v[0:1], 3, v[1:2]
	v_mov_b32_e32 v2, s31
	v_add_co_u32_e32 v0, vcc, s30, v0
	v_addc_co_u32_e32 v1, vcc, v2, v1, vcc
	global_store_dwordx2 v[0:1], v[54:55], off
.LBB13_15:
	s_endpgm
.LBB13_16:
                                        ; implicit-def: $vgpr59
                                        ; implicit-def: $vgpr76
                                        ; implicit-def: $vgpr77
                                        ; implicit-def: $vgpr78
                                        ; implicit-def: $vgpr79
                                        ; implicit-def: $vgpr80
                                        ; implicit-def: $vgpr81
.LBB13_17:
	s_load_dwordx2 s[12:13], s[4:5], 0x8c
	s_load_dwordx4 s[8:11], s[4:5], 0x98
	s_sub_i32 s2, 0, s14
	s_mul_i32 s2, s2, s43
	s_mul_hi_u32 s2, s43, s2
	s_abs_i32 s22, s35
	s_add_i32 s43, s43, s2
	s_ashr_i32 s26, s3, 1
	s_ashr_i32 s3, s33, 31
	s_mul_hi_u32 s2, s22, s43
	s_waitcnt lgkmcnt(0)
	s_ashr_i32 s43, s10, 2
	s_ashr_i32 s44, s12, 2
	s_mul_hi_u32 s10, s8, s33
	s_mul_i32 s12, s8, s3
	s_add_i32 s10, s10, s12
	s_mul_i32 s9, s9, s33
	s_ashr_i32 s23, s35, 31
	s_ashr_i32 s15, s15, 31
	s_add_i32 s10, s10, s9
	s_mul_i32 s8, s8, s33
	s_add_u32 s8, s18, s8
	s_mul_i32 s12, s2, s14
	s_addc_u32 s9, s19, s10
	s_sub_i32 s12, s22, s12
	s_xor_b32 s10, s23, s15
	s_add_i32 s15, s2, 1
	s_sub_i32 s18, s12, s14
	s_cmp_ge_u32 s12, s14
	v_add_u32_e32 v7, s6, v56
	s_cselect_b32 s2, s15, s2
	v_mul_hi_u32 v6, s36, v7
	s_cselect_b32 s12, s18, s12
	s_add_i32 s15, s2, 1
	s_cmp_ge_u32 s12, s14
	s_load_dwordx2 s[16:17], s[4:5], 0xa8
	s_cselect_b32 s2, s15, s2
	s_xor_b32 s2, s2, s10
	v_add_u32_e32 v6, v7, v6
	s_sub_i32 s2, s2, s10
	v_lshrrev_b32_e32 v6, s37, v6
	s_mul_i32 s10, s2, s13
	v_mul_lo_u32 v11, v6, s38
	s_ashr_i32 s12, s10, 31
	s_add_u32 s45, s8, s10
	s_waitcnt lgkmcnt(0)
	s_mul_hi_u32 s8, s16, s33
	s_mul_i32 s3, s16, s3
	s_addc_u32 s46, s9, s12
	s_add_i32 s3, s8, s3
	s_mul_i32 s8, s17, s33
	s_add_i32 s3, s3, s8
	s_mul_i32 s8, s16, s33
	v_lshrrev_b32_e32 v4, 1, v0
	v_lshlrev_b32_e32 v14, 2, v0
	v_sub_u32_e32 v17, v7, v11
	v_mov_b32_e32 v7, 0x1740
	s_add_u32 s8, s20, s8
	s_mul_i32 s2, s2, s11
	v_lshl_add_u32 v9, v1, 4, v4
	v_lshrrev_b32_e32 v4, 2, v0
	v_and_b32_e32 v15, 4, v14
	v_lshl_add_u32 v63, v1, 6, v7
	v_lshrrev_b32_e32 v7, 3, v0
	s_addc_u32 s3, s21, s3
	s_ashr_i32 s9, s2, 31
	v_lshl_add_u32 v3, v1, 5, v0
	v_lshl_add_u32 v10, v1, 3, v4
	v_lshlrev_b32_e32 v5, 7, v9
	v_lshlrev_b32_e32 v8, 2, v15
	v_and_b32_e32 v16, 12, v14
	v_lshl_add_u32 v1, v1, 2, v7
	v_mul_u32_u24_e32 v7, 0xe0, v9
	s_add_u32 s47, s8, s2
	v_or3_b32 v62, v5, v8, 64
	v_lshlrev_b32_e32 v12, 2, v16
	v_or_b32_e32 v13, v7, v8
	v_mul_u32_u24_e32 v8, 0xe0, v10
	s_movk_i32 s8, 0x80
	s_addc_u32 s48, s3, s9
	v_cmp_gt_u32_e32 vcc, 32, v3
	v_cmp_gt_u32_e64 s[2:3], 32, v9
	v_mul_lo_u32 v3, s44, v3
	v_mul_lo_u32 v5, s44, v9
	;; [unrolled: 1-line block ×3, first 2 shown]
	v_add3_u32 v64, v8, v12, s8
	v_cmp_gt_u32_e64 s[8:9], 16, v9
	v_mul_lo_u32 v9, s43, v9
	v_mul_lo_u32 v11, s43, v10
	v_add_u32_e32 v66, 0xc0, v13
	v_mul_lo_u32 v13, s43, v1
	v_and_b32_e32 v67, 28, v14
	s_movk_i32 s14, 0xe0
	v_lshlrev_b32_e32 v14, 2, v67
	v_mad_u32_u24 v68, v1, s14, v14
	v_mad_u64_u32 v[53:54], s[14:15], v17, s26, v[0:1]
	v_cmp_gt_u32_e64 s[18:19], 32, v10
	v_ashrrev_i32_e32 v4, 31, v3
	v_ashrrev_i32_e32 v6, 31, v5
	v_lshl_or_b32 v65, v10, 7, v12
	v_ashrrev_i32_e32 v8, 31, v7
	v_cmp_gt_u32_e64 s[10:11], 16, v10
	v_ashrrev_i32_e32 v10, 31, v9
	v_ashrrev_i32_e32 v12, 31, v11
	;; [unrolled: 1-line block ×3, first 2 shown]
	s_add_u32 s22, s4, 0xd0
	v_lshlrev_b64 v[41:42], 2, v[3:4]
	v_lshlrev_b64 v[43:44], 2, v[5:6]
	;; [unrolled: 1-line block ×6, first 2 shown]
	v_lshlrev_b32_e32 v71, 7, v0
	v_cmp_gt_u32_e64 s[12:13], 16, v1
	s_addc_u32 s23, s5, 0
	s_mov_b32 s36, 0x3fb8aa3b
	s_mov_b32 s37, 0xc2ce8ed0
	;; [unrolled: 1-line block ×4, first 2 shown]
	v_lshlrev_b32_e32 v69, 2, v15
	v_lshlrev_b32_e32 v70, 2, v16
	v_mbcnt_hi_u32_b32 v59, -1, v2
	v_or_b32_e32 v72, 0x60, v71
	v_mov_b32_e32 v60, 0
	v_lshl_add_u32 v73, v0, 1, v63
	v_mov_b32_e32 v1, 0xfeffffff
	v_mov_b32_e32 v74, 0x7f800000
	;; [unrolled: 1-line block ×4, first 2 shown]
.LBB13_18:                              ; =>This Inner Loop Header: Depth=1
	s_mul_hi_i32 s15, s42, s44
	s_mul_i32 s14, s42, s44
	s_lshl_b64 s[14:15], s[14:15], 2
	s_add_u32 s20, s45, s14
	s_addc_u32 s21, s46, s15
	s_and_saveexec_b64 s[16:17], vcc
	s_cbranch_execnz .LBB13_36
; %bb.19:                               ;   in Loop: Header=BB13_18 Depth=1
	s_or_b64 exec, exec, s[16:17]
	s_and_saveexec_b64 s[16:17], s[2:3]
	s_cbranch_execnz .LBB13_37
.LBB13_20:                              ;   in Loop: Header=BB13_18 Depth=1
	s_or_b64 exec, exec, s[16:17]
	s_and_saveexec_b64 s[16:17], s[18:19]
	s_cbranch_execz .LBB13_22
.LBB13_21:                              ;   in Loop: Header=BB13_18 Depth=1
	v_mov_b32_e32 v2, s21
	v_add_co_u32_e64 v3, s[14:15], s20, v45
	v_addc_co_u32_e64 v4, s[14:15], v2, v46, s[14:15]
	v_add_co_u32_e64 v2, s[14:15], v3, v70
	v_addc_co_u32_e64 v3, s[14:15], 0, v4, s[14:15]
	global_load_dwordx4 v[2:5], v[2:3], off
	s_waitcnt vmcnt(0)
	ds_write_b128 v65, v[2:5]
.LBB13_22:                              ;   in Loop: Header=BB13_18 Depth=1
	s_or_b64 exec, exec, s[16:17]
	s_waitcnt lgkmcnt(0)
	s_barrier
	ds_read_b128 v[3:6], v71
	ds_read_b128 v[7:10], v57
	v_mov_b32_e32 v2, 0
	s_waitcnt lgkmcnt(0)
	;;#ASMSTART
	v_dot2_f32_f16 v2, v3, v7, v2
	;;#ASMEND
	;;#ASMSTART
	v_dot2_f32_f16 v2, v4, v8, v2
	;;#ASMEND
	;;#ASMSTART
	v_dot2_f32_f16 v2, v5, v9, v2
	;;#ASMEND
	;;#ASMSTART
	v_dot2_f32_f16 v2, v6, v10, v2
	;;#ASMEND
	ds_read_b128 v[3:6], v71 offset:16
	ds_read_b128 v[7:10], v57 offset:16
	s_waitcnt lgkmcnt(0)
	;;#ASMSTART
	v_dot2_f32_f16 v2, v3, v7, v2
	;;#ASMEND
	;;#ASMSTART
	v_dot2_f32_f16 v2, v4, v8, v2
	;;#ASMEND
	;;#ASMSTART
	v_dot2_f32_f16 v2, v5, v9, v2
	;;#ASMEND
	;;#ASMSTART
	v_dot2_f32_f16 v2, v6, v10, v2
	;;#ASMEND
	ds_read_b128 v[3:6], v71 offset:32
	ds_read_b128 v[7:10], v57 offset:32
	;; [unrolled: 15-line block ×6, first 2 shown]
	s_waitcnt lgkmcnt(0)
	;;#ASMSTART
	v_dot2_f32_f16 v2, v3, v7, v2
	;;#ASMEND
	;;#ASMSTART
	v_dot2_f32_f16 v2, v4, v8, v2
	;;#ASMEND
	;; [unrolled: 3-line block ×4, first 2 shown]
	s_barrier
	s_and_saveexec_b64 s[16:17], vcc
	s_cbranch_execnz .LBB13_38
; %bb.23:                               ;   in Loop: Header=BB13_18 Depth=1
	s_or_b64 exec, exec, s[16:17]
	s_and_saveexec_b64 s[16:17], s[2:3]
	s_cbranch_execnz .LBB13_39
.LBB13_24:                              ;   in Loop: Header=BB13_18 Depth=1
	s_or_b64 exec, exec, s[16:17]
	s_and_saveexec_b64 s[16:17], s[18:19]
	s_cbranch_execz .LBB13_26
.LBB13_25:                              ;   in Loop: Header=BB13_18 Depth=1
	v_mov_b32_e32 v3, s21
	v_add_co_u32_e64 v4, s[14:15], s20, v45
	v_addc_co_u32_e64 v5, s[14:15], v3, v46, s[14:15]
	v_add_co_u32_e64 v3, s[14:15], v4, v70
	v_addc_co_u32_e64 v4, s[14:15], 0, v5, s[14:15]
	global_load_dwordx4 v[3:6], v[3:4], off offset:112
	s_waitcnt vmcnt(0)
	ds_write_b128 v65, v[3:6]
.LBB13_26:                              ;   in Loop: Header=BB13_18 Depth=1
	s_or_b64 exec, exec, s[16:17]
	s_waitcnt lgkmcnt(0)
	s_barrier
	ds_read_b128 v[3:6], v71
	ds_read_b128 v[7:10], v57 offset:112
	v_add_u32_e32 v11, s42, v53
	s_waitcnt lgkmcnt(0)
	;;#ASMSTART
	v_dot2_f32_f16 v2, v3, v7, v2
	;;#ASMEND
	;;#ASMSTART
	v_dot2_f32_f16 v2, v4, v8, v2
	;;#ASMEND
	;;#ASMSTART
	v_dot2_f32_f16 v2, v5, v9, v2
	;;#ASMEND
	;;#ASMSTART
	v_dot2_f32_f16 v2, v6, v10, v2
	;;#ASMEND
	ds_read_b128 v[3:6], v71 offset:16
	ds_read_b128 v[7:10], v57 offset:128
	s_waitcnt lgkmcnt(0)
	;;#ASMSTART
	v_dot2_f32_f16 v2, v3, v7, v2
	;;#ASMEND
	;;#ASMSTART
	v_dot2_f32_f16 v2, v4, v8, v2
	;;#ASMEND
	;;#ASMSTART
	v_dot2_f32_f16 v2, v5, v9, v2
	;;#ASMEND
	;;#ASMSTART
	v_dot2_f32_f16 v2, v6, v10, v2
	;;#ASMEND
	ds_read_b128 v[3:6], v71 offset:32
	ds_read_b128 v[7:10], v57 offset:144
	;; [unrolled: 15-line block ×6, first 2 shown]
	v_ashrrev_i32_e32 v12, 31, v11
	v_lshlrev_b64 v[11:12], 1, v[11:12]
	s_waitcnt lgkmcnt(0)
	;;#ASMSTART
	v_dot2_f32_f16 v2, v3, v7, v2
	;;#ASMEND
	v_mov_b32_e32 v13, s41
	v_add_co_u32_e64 v11, s[14:15], s40, v11
	;;#ASMSTART
	v_dot2_f32_f16 v2, v4, v8, v2
	;;#ASMEND
	v_addc_co_u32_e64 v12, s[14:15], v13, v12, s[14:15]
	;;#ASMSTART
	v_dot2_f32_f16 v2, v5, v9, v2
	;;#ASMEND
	;;#ASMSTART
	v_dot2_f32_f16 v2, v6, v10, v2
	;;#ASMEND
	global_load_ushort v3, v[11:12], off
	v_and_b32_e32 v4, 0x60, v59
	v_xor_b32_e32 v77, 16, v59
	v_add_u32_e32 v76, 32, v4
	v_cmp_lt_i32_e64 s[14:15], v77, v76
	v_max_f32_e32 v5, v1, v1
	v_cndmask_b32_e64 v4, v59, v77, s[14:15]
	v_lshlrev_b32_e32 v4, 2, v4
	v_xor_b32_e32 v78, 8, v59
	v_cmp_lt_i32_e64 s[14:15], v78, v76
	v_xor_b32_e32 v79, 4, v59
	v_xor_b32_e32 v80, 2, v59
	;; [unrolled: 1-line block ×3, first 2 shown]
	s_waitcnt vmcnt(0)
	s_barrier
	v_cvt_f32_f16_e32 v3, v3
	v_add_f32_e32 v2, v2, v3
	v_add_f32_e32 v3, 0x40051340, v2
	v_max_f32_e32 v3, v5, v3
	ds_bpermute_b32 v4, v4, v3
	v_cndmask_b32_e64 v5, v59, v78, s[14:15]
	v_lshlrev_b32_e32 v5, 2, v5
	v_cmp_lt_i32_e64 s[14:15], v79, v76
	s_waitcnt lgkmcnt(0)
	v_max_f32_e32 v4, v4, v4
	v_max_f32_e32 v3, v3, v4
	ds_bpermute_b32 v4, v5, v3
	v_cndmask_b32_e64 v5, v59, v79, s[14:15]
	v_lshlrev_b32_e32 v5, 2, v5
	v_cmp_lt_i32_e64 s[14:15], v80, v76
	s_waitcnt lgkmcnt(0)
	v_max_f32_e32 v4, v4, v4
	;; [unrolled: 7-line block ×3, first 2 shown]
	v_max_f32_e32 v3, v3, v4
	ds_bpermute_b32 v4, v5, v3
	v_cndmask_b32_e64 v5, v59, v81, s[14:15]
	v_lshlrev_b32_e32 v5, 2, v5
	s_mul_hi_i32 s15, s42, s43
	s_mul_i32 s14, s42, s43
	s_waitcnt lgkmcnt(0)
	v_max_f32_e32 v4, v4, v4
	v_max_f32_e32 v3, v3, v4
	ds_bpermute_b32 v4, v5, v3
	s_lshl_b64 s[16:17], s[14:15], 2
	s_add_u32 s20, s47, s16
	s_addc_u32 s21, s48, s17
	s_waitcnt lgkmcnt(0)
	v_max_f32_e32 v4, v4, v4
	v_max_f32_e32 v54, v3, v4
	v_sub_f32_e32 v2, v2, v54
	v_mul_f32_e32 v3, 0x3fb8aa3b, v2
	v_fma_f32 v4, v2, s36, -v3
	v_rndne_f32_e32 v5, v3
	v_fmac_f32_e32 v4, 0x32a5705f, v2
	v_sub_f32_e32 v3, v3, v5
	v_add_f32_e32 v3, v3, v4
	v_cvt_i32_f32_e32 v5, v5
	v_exp_f32_e32 v3, v3
	v_cmp_ngt_f32_e64 s[14:15], s37, v2
	v_ldexp_f32 v3, v3, v5
	v_cndmask_b32_e64 v3, 0, v3, s[14:15]
	v_cmp_nlt_f32_e64 s[14:15], s49, v2
	v_cndmask_b32_e64 v82, v74, v3, s[14:15]
	v_cvt_f16_f32_e32 v2, v82
	ds_write_b16 v73, v2
	s_and_saveexec_b64 s[16:17], s[8:9]
	s_cbranch_execnz .LBB13_40
; %bb.27:                               ;   in Loop: Header=BB13_18 Depth=1
	s_or_b64 exec, exec, s[16:17]
	s_and_saveexec_b64 s[16:17], s[10:11]
	s_cbranch_execnz .LBB13_41
.LBB13_28:                              ;   in Loop: Header=BB13_18 Depth=1
	s_or_b64 exec, exec, s[16:17]
	v_lshlrev_b32_e32 v84, 2, v67
	s_and_saveexec_b64 s[16:17], s[12:13]
	s_cbranch_execz .LBB13_30
.LBB13_29:                              ;   in Loop: Header=BB13_18 Depth=1
	v_mov_b32_e32 v2, s21
	v_add_co_u32_e64 v3, s[14:15], s20, v51
	v_addc_co_u32_e64 v4, s[14:15], v2, v52, s[14:15]
	v_add_co_u32_e64 v2, s[14:15], v3, v84
	v_addc_co_u32_e64 v3, s[14:15], 0, v4, s[14:15]
	global_load_dwordx4 v[2:5], v[2:3], off
	s_waitcnt vmcnt(0)
	ds_write_b128 v68, v[2:5]
.LBB13_30:                              ;   in Loop: Header=BB13_18 Depth=1
	s_or_b64 exec, exec, s[16:17]
	s_waitcnt lgkmcnt(0)
	s_barrier
	ds_read2_b64 v[21:24], v58 offset1:28
	ds_read_b128 v[37:40], v63
	ds_read_b128 v[33:36], v63 offset:16
	ds_read2_b64 v[29:32], v58 offset0:56 offset1:84
	ds_read2_b64 v[25:28], v58 offset0:112 offset1:140
	;; [unrolled: 1-line block ×4, first 2 shown]
	v_add_u32_e32 v83, 0x800, v58
	v_sub_f32_e32 v85, v1, v54
	ds_read2_b64 v[13:16], v83 offset0:24 offset1:52
	ds_read2_b64 v[5:8], v83 offset0:80 offset1:108
	;; [unrolled: 1-line block ×3, first 2 shown]
	s_or_b32 s20, s42, 16
	s_mul_hi_i32 s21, s20, s43
	s_mul_i32 s20, s20, s43
	s_lshl_b64 s[20:21], s[20:21], 2
	s_add_u32 s51, s47, s20
	v_cmp_ngt_f32_e64 s[14:15], s37, v85
	v_cmp_nlt_f32_e64 s[16:17], s49, v85
	s_addc_u32 s52, s48, s21
	s_waitcnt lgkmcnt(0)
	s_barrier
	s_and_saveexec_b64 s[26:27], s[8:9]
	s_cbranch_execnz .LBB13_42
; %bb.31:                               ;   in Loop: Header=BB13_18 Depth=1
	s_or_b64 exec, exec, s[26:27]
	s_and_saveexec_b64 s[26:27], s[10:11]
	s_cbranch_execnz .LBB13_43
.LBB13_32:                              ;   in Loop: Header=BB13_18 Depth=1
	s_or_b64 exec, exec, s[26:27]
	s_and_saveexec_b64 s[26:27], s[12:13]
	s_cbranch_execz .LBB13_34
.LBB13_33:                              ;   in Loop: Header=BB13_18 Depth=1
	v_mov_b32_e32 v86, s52
	v_add_co_u32_e64 v87, s[20:21], s51, v51
	v_addc_co_u32_e64 v88, s[20:21], v86, v52, s[20:21]
	v_add_co_u32_e64 v86, s[20:21], v87, v84
	v_addc_co_u32_e64 v87, s[20:21], 0, v88, s[20:21]
	global_load_dwordx4 v[86:89], v[86:87], off
	s_waitcnt vmcnt(0)
	ds_write_b128 v68, v[86:89]
.LBB13_34:                              ;   in Loop: Header=BB13_18 Depth=1
	s_or_b64 exec, exec, s[26:27]
	v_mul_f32_e32 v84, 0x3fb8aa3b, v85
	v_fma_f32 v86, v85, s36, -v84
	v_fmac_f32_e32 v86, 0x32a5705f, v85
	v_rndne_f32_e32 v85, v84
	v_sub_f32_e32 v84, v84, v85
	v_add_f32_e32 v84, v84, v86
	v_cvt_i32_f32_e32 v85, v85
	v_exp_f32_e32 v84, v84
	v_mul_u32_u24_sdwa v86, v37, s50 dst_sel:DWORD dst_unused:UNUSED_PAD src0_sel:WORD_0 src1_sel:DWORD
	v_pk_mul_f16 v21, v21, v86
	v_pk_mul_f16 v22, v22, v86
	v_ldexp_f32 v84, v84, v85
	v_cndmask_b32_e64 v84, 0, v84, s[14:15]
	v_cndmask_b32_e64 v84, v74, v84, s[16:17]
	v_cvt_f16_f32_e32 v85, v84
	v_mul_u32_u24_sdwa v37, v37, s50 dst_sel:DWORD dst_unused:UNUSED_PAD src0_sel:WORD_1 src1_sel:DWORD
	v_mul_u32_u24_sdwa v87, v38, s50 dst_sel:DWORD dst_unused:UNUSED_PAD src0_sel:WORD_0 src1_sel:DWORD
	v_mul_u32_u24_sdwa v38, v38, s50 dst_sel:DWORD dst_unused:UNUSED_PAD src0_sel:WORD_1 src1_sel:DWORD
	v_mul_u32_u24_e32 v85, 0x10001, v85
	v_pk_fma_f16 v21, v60, v85, v21
	v_pk_fma_f16 v22, v61, v85, v22
	;; [unrolled: 1-line block ×6, first 2 shown]
	v_mul_u32_u24_sdwa v88, v39, s50 dst_sel:DWORD dst_unused:UNUSED_PAD src0_sel:WORD_0 src1_sel:DWORD
	v_pk_fma_f16 v21, v31, v38, v21
	v_pk_fma_f16 v22, v32, v38, v22
	v_mul_u32_u24_sdwa v39, v39, s50 dst_sel:DWORD dst_unused:UNUSED_PAD src0_sel:WORD_1 src1_sel:DWORD
	v_pk_fma_f16 v21, v25, v88, v21
	v_pk_fma_f16 v22, v26, v88, v22
	v_mul_u32_u24_sdwa v89, v40, s50 dst_sel:DWORD dst_unused:UNUSED_PAD src0_sel:WORD_0 src1_sel:DWORD
	v_pk_fma_f16 v21, v27, v39, v21
	v_pk_fma_f16 v22, v28, v39, v22
	v_mul_u32_u24_sdwa v40, v40, s50 dst_sel:DWORD dst_unused:UNUSED_PAD src0_sel:WORD_1 src1_sel:DWORD
	v_pk_fma_f16 v17, v17, v89, v21
	v_pk_fma_f16 v18, v18, v89, v22
	;; [unrolled: 6-line block ×5, first 2 shown]
	v_mul_u32_u24_sdwa v93, v36, s50 dst_sel:DWORD dst_unused:UNUSED_PAD src0_sel:WORD_0 src1_sel:DWORD
	v_pk_fma_f16 v5, v7, v35, v5
	v_pk_fma_f16 v6, v8, v35, v6
	;; [unrolled: 1-line block ×4, first 2 shown]
	s_waitcnt lgkmcnt(0)
	s_barrier
	ds_read_b128 v[5:8], v63 offset:32
	ds_read2_b64 v[9:12], v58 offset1:28
	v_mul_u32_u24_sdwa v36, v36, s50 dst_sel:DWORD dst_unused:UNUSED_PAD src0_sel:WORD_1 src1_sel:DWORD
	v_pk_fma_f16 v13, v3, v36, v1
	v_pk_fma_f16 v14, v4, v36, v2
	s_waitcnt lgkmcnt(1)
	v_mul_u32_u24_sdwa v15, v5, s50 dst_sel:DWORD dst_unused:UNUSED_PAD src0_sel:WORD_0 src1_sel:DWORD
	s_waitcnt lgkmcnt(0)
	v_pk_fma_f16 v9, v9, v15, v13
	v_pk_fma_f16 v10, v10, v15, v14
	ds_read2_b64 v[13:16], v58 offset0:56 offset1:84
	v_mul_u32_u24_sdwa v5, v5, s50 dst_sel:DWORD dst_unused:UNUSED_PAD src0_sel:WORD_1 src1_sel:DWORD
	v_pk_fma_f16 v9, v11, v5, v9
	v_pk_fma_f16 v5, v12, v5, v10
	v_mul_u32_u24_sdwa v10, v6, s50 dst_sel:DWORD dst_unused:UNUSED_PAD src0_sel:WORD_0 src1_sel:DWORD
	s_waitcnt lgkmcnt(0)
	v_pk_fma_f16 v13, v13, v10, v9
	v_pk_fma_f16 v5, v14, v10, v5
	ds_read2_b64 v[9:12], v58 offset0:112 offset1:140
	v_mul_u32_u24_sdwa v6, v6, s50 dst_sel:DWORD dst_unused:UNUSED_PAD src0_sel:WORD_1 src1_sel:DWORD
	v_pk_fma_f16 v13, v15, v6, v13
	v_pk_fma_f16 v5, v16, v6, v5
	v_mul_u32_u24_sdwa v6, v7, s50 dst_sel:DWORD dst_unused:UNUSED_PAD src0_sel:WORD_0 src1_sel:DWORD
	s_waitcnt lgkmcnt(0)
	v_pk_fma_f16 v9, v9, v6, v13
	ds_read2_b64 v[13:16], v58 offset0:168 offset1:196
	ds_read_b128 v[1:4], v63 offset:48
	v_pk_fma_f16 v5, v10, v6, v5
	v_mul_u32_u24_sdwa v6, v7, s50 dst_sel:DWORD dst_unused:UNUSED_PAD src0_sel:WORD_1 src1_sel:DWORD
	v_pk_fma_f16 v7, v11, v6, v9
	v_pk_fma_f16 v5, v12, v6, v5
	ds_read2_b64 v[9:12], v58 offset0:224 offset1:252
	v_mul_u32_u24_sdwa v6, v8, s50 dst_sel:DWORD dst_unused:UNUSED_PAD src0_sel:WORD_0 src1_sel:DWORD
	s_waitcnt lgkmcnt(2)
	v_pk_fma_f16 v7, v13, v6, v7
	v_pk_fma_f16 v5, v14, v6, v5
	v_mul_u32_u24_sdwa v6, v8, s50 dst_sel:DWORD dst_unused:UNUSED_PAD src0_sel:WORD_1 src1_sel:DWORD
	v_pk_fma_f16 v7, v15, v6, v7
	v_pk_fma_f16 v5, v16, v6, v5
	s_waitcnt lgkmcnt(1)
	v_mul_u32_u24_sdwa v6, v1, s50 dst_sel:DWORD dst_unused:UNUSED_PAD src0_sel:WORD_0 src1_sel:DWORD
	s_waitcnt lgkmcnt(0)
	v_pk_fma_f16 v9, v9, v6, v7
	v_pk_fma_f16 v10, v10, v6, v5
	ds_read2_b64 v[5:8], v83 offset0:24 offset1:52
	v_mul_u32_u24_sdwa v1, v1, s50 dst_sel:DWORD dst_unused:UNUSED_PAD src0_sel:WORD_1 src1_sel:DWORD
	v_pk_fma_f16 v9, v11, v1, v9
	v_pk_fma_f16 v1, v12, v1, v10
	v_mul_u32_u24_sdwa v10, v2, s50 dst_sel:DWORD dst_unused:UNUSED_PAD src0_sel:WORD_0 src1_sel:DWORD
	s_waitcnt lgkmcnt(0)
	v_pk_fma_f16 v5, v5, v10, v9
	v_pk_fma_f16 v1, v6, v10, v1
	ds_read2_b64 v[9:12], v83 offset0:80 offset1:108
	v_mul_u32_u24_sdwa v2, v2, s50 dst_sel:DWORD dst_unused:UNUSED_PAD src0_sel:WORD_1 src1_sel:DWORD
	v_pk_fma_f16 v5, v7, v2, v5
	v_pk_fma_f16 v1, v8, v2, v1
	v_mul_u32_u24_sdwa v2, v3, s50 dst_sel:DWORD dst_unused:UNUSED_PAD src0_sel:WORD_0 src1_sel:DWORD
	s_waitcnt lgkmcnt(0)
	v_pk_fma_f16 v5, v9, v2, v5
	v_pk_fma_f16 v1, v10, v2, v1
	v_mul_u32_u24_sdwa v2, v3, s50 dst_sel:DWORD dst_unused:UNUSED_PAD src0_sel:WORD_1 src1_sel:DWORD
	v_pk_fma_f16 v3, v11, v2, v5
	ds_read2_b64 v[5:8], v83 offset0:136 offset1:164
	s_waitcnt lgkmcnt(0)
	s_barrier
	s_load_dword s14, s[22:23], 0x4
	v_pk_fma_f16 v1, v12, v2, v1
	v_mul_u32_u24_sdwa v2, v4, s50 dst_sel:DWORD dst_unused:UNUSED_PAD src0_sel:WORD_0 src1_sel:DWORD
	v_pk_fma_f16 v3, v5, v2, v3
	v_pk_fma_f16 v1, v6, v2, v1
	s_waitcnt lgkmcnt(0)
	s_lshl_b32 s14, s14, 5
	v_mul_u32_u24_sdwa v2, v4, s50 dst_sel:DWORD dst_unused:UNUSED_PAD src0_sel:WORD_1 src1_sel:DWORD
	s_add_i32 s42, s14, s42
	v_fmac_f32_e32 v82, v75, v84
	v_pk_fma_f16 v60, v7, v2, v3
	s_cmp_ge_i32 s42, s34
	v_pk_fma_f16 v61, v8, v2, v1
	s_cbranch_scc1 .LBB13_9
; %bb.35:                               ;   in Loop: Header=BB13_18 Depth=1
	v_mov_b32_e32 v1, v54
	v_mov_b32_e32 v75, v82
	s_branch .LBB13_18
.LBB13_36:                              ;   in Loop: Header=BB13_18 Depth=1
	v_mov_b32_e32 v3, s21
	v_add_co_u32_e64 v2, s[14:15], s20, v41
	v_addc_co_u32_e64 v3, s[14:15], v3, v42, s[14:15]
	global_load_dwordx4 v[2:5], v[2:3], off offset:96
	s_waitcnt vmcnt(0)
	ds_write_b128 v72, v[2:5]
	s_or_b64 exec, exec, s[16:17]
	s_and_saveexec_b64 s[16:17], s[2:3]
	s_cbranch_execz .LBB13_20
.LBB13_37:                              ;   in Loop: Header=BB13_18 Depth=1
	v_mov_b32_e32 v2, s21
	v_add_co_u32_e64 v3, s[14:15], s20, v43
	v_addc_co_u32_e64 v4, s[14:15], v2, v44, s[14:15]
	v_add_co_u32_e64 v2, s[14:15], v3, v69
	v_addc_co_u32_e64 v3, s[14:15], 0, v4, s[14:15]
	global_load_dwordx4 v[2:5], v[2:3], off offset:64
	s_waitcnt vmcnt(0)
	ds_write_b128 v62, v[2:5]
	s_or_b64 exec, exec, s[16:17]
	s_and_saveexec_b64 s[16:17], s[18:19]
	s_cbranch_execnz .LBB13_21
	s_branch .LBB13_22
.LBB13_38:                              ;   in Loop: Header=BB13_18 Depth=1
	v_mov_b32_e32 v4, s21
	v_add_co_u32_e64 v3, s[14:15], s20, v41
	v_addc_co_u32_e64 v4, s[14:15], v4, v42, s[14:15]
	global_load_dwordx4 v[3:6], v[3:4], off offset:208
	s_waitcnt vmcnt(0)
	ds_write_b128 v72, v[3:6]
	s_or_b64 exec, exec, s[16:17]
	s_and_saveexec_b64 s[16:17], s[2:3]
	s_cbranch_execz .LBB13_24
.LBB13_39:                              ;   in Loop: Header=BB13_18 Depth=1
	v_mov_b32_e32 v3, s21
	v_add_co_u32_e64 v4, s[14:15], s20, v43
	v_addc_co_u32_e64 v5, s[14:15], v3, v44, s[14:15]
	v_add_co_u32_e64 v3, s[14:15], v4, v69
	v_addc_co_u32_e64 v4, s[14:15], 0, v5, s[14:15]
	global_load_dwordx4 v[3:6], v[3:4], off offset:176
	s_waitcnt vmcnt(0)
	ds_write_b128 v62, v[3:6]
	s_or_b64 exec, exec, s[16:17]
	s_and_saveexec_b64 s[16:17], s[18:19]
	s_cbranch_execnz .LBB13_25
	s_branch .LBB13_26
.LBB13_40:                              ;   in Loop: Header=BB13_18 Depth=1
	v_mov_b32_e32 v2, s21
	v_add_co_u32_e64 v3, s[14:15], s20, v47
	v_addc_co_u32_e64 v4, s[14:15], v2, v48, s[14:15]
	v_add_co_u32_e64 v2, s[14:15], v3, v69
	v_addc_co_u32_e64 v3, s[14:15], 0, v4, s[14:15]
	global_load_dwordx4 v[2:5], v[2:3], off offset:192
	s_waitcnt vmcnt(0)
	ds_write_b128 v66, v[2:5]
	s_or_b64 exec, exec, s[16:17]
	s_and_saveexec_b64 s[16:17], s[10:11]
	s_cbranch_execz .LBB13_28
.LBB13_41:                              ;   in Loop: Header=BB13_18 Depth=1
	v_mov_b32_e32 v2, s21
	v_add_co_u32_e64 v3, s[14:15], s20, v49
	v_addc_co_u32_e64 v4, s[14:15], v2, v50, s[14:15]
	v_add_co_u32_e64 v2, s[14:15], v3, v70
	v_addc_co_u32_e64 v3, s[14:15], 0, v4, s[14:15]
	global_load_dwordx4 v[2:5], v[2:3], off offset:128
	s_waitcnt vmcnt(0)
	ds_write_b128 v64, v[2:5]
	s_or_b64 exec, exec, s[16:17]
	v_lshlrev_b32_e32 v84, 2, v67
	s_and_saveexec_b64 s[16:17], s[12:13]
	s_cbranch_execnz .LBB13_29
	s_branch .LBB13_30
.LBB13_42:                              ;   in Loop: Header=BB13_18 Depth=1
	v_mov_b32_e32 v86, s52
	v_add_co_u32_e64 v87, s[20:21], s51, v47
	v_addc_co_u32_e64 v88, s[20:21], v86, v48, s[20:21]
	v_add_co_u32_e64 v86, s[20:21], v87, v69
	v_addc_co_u32_e64 v87, s[20:21], 0, v88, s[20:21]
	global_load_dwordx4 v[86:89], v[86:87], off offset:192
	s_waitcnt vmcnt(0)
	ds_write_b128 v66, v[86:89]
	s_or_b64 exec, exec, s[26:27]
	s_and_saveexec_b64 s[26:27], s[10:11]
	s_cbranch_execz .LBB13_32
.LBB13_43:                              ;   in Loop: Header=BB13_18 Depth=1
	v_mov_b32_e32 v86, s52
	v_add_co_u32_e64 v87, s[20:21], s51, v49
	v_addc_co_u32_e64 v88, s[20:21], v86, v50, s[20:21]
	v_add_co_u32_e64 v86, s[20:21], v87, v70
	v_addc_co_u32_e64 v87, s[20:21], 0, v88, s[20:21]
	global_load_dwordx4 v[86:89], v[86:87], off offset:128
	s_waitcnt vmcnt(0)
	ds_write_b128 v64, v[86:89]
	s_or_b64 exec, exec, s[26:27]
	s_and_saveexec_b64 s[26:27], s[12:13]
	s_cbranch_execnz .LBB13_33
	s_branch .LBB13_34
	.section	.rodata,"a",@progbits
	.p2align	6, 0x0
	.amdhsa_kernel _ZL15flash_attn_tileILi112ELi112ELi1ELi8ELb0EEvPKcS1_S1_S1_S1_PKiPfP15HIP_vector_typeIfLj2EEffffjfiS5_IjLj3EEiiiiiiiiiiiliiliiiiil
		.amdhsa_group_segment_fixed_size 6464
		.amdhsa_private_segment_fixed_size 0
		.amdhsa_kernarg_size 464
		.amdhsa_user_sgpr_count 6
		.amdhsa_user_sgpr_private_segment_buffer 1
		.amdhsa_user_sgpr_dispatch_ptr 0
		.amdhsa_user_sgpr_queue_ptr 0
		.amdhsa_user_sgpr_kernarg_segment_ptr 1
		.amdhsa_user_sgpr_dispatch_id 0
		.amdhsa_user_sgpr_flat_scratch_init 0
		.amdhsa_user_sgpr_private_segment_size 0
		.amdhsa_uses_dynamic_stack 0
		.amdhsa_system_sgpr_private_segment_wavefront_offset 0
		.amdhsa_system_sgpr_workgroup_id_x 1
		.amdhsa_system_sgpr_workgroup_id_y 1
		.amdhsa_system_sgpr_workgroup_id_z 1
		.amdhsa_system_sgpr_workgroup_info 0
		.amdhsa_system_vgpr_workitem_id 1
		.amdhsa_next_free_vgpr 94
		.amdhsa_next_free_sgpr 53
		.amdhsa_reserve_vcc 1
		.amdhsa_reserve_flat_scratch 0
		.amdhsa_float_round_mode_32 0
		.amdhsa_float_round_mode_16_64 0
		.amdhsa_float_denorm_mode_32 3
		.amdhsa_float_denorm_mode_16_64 3
		.amdhsa_dx10_clamp 1
		.amdhsa_ieee_mode 1
		.amdhsa_fp16_overflow 0
		.amdhsa_exception_fp_ieee_invalid_op 0
		.amdhsa_exception_fp_denorm_src 0
		.amdhsa_exception_fp_ieee_div_zero 0
		.amdhsa_exception_fp_ieee_overflow 0
		.amdhsa_exception_fp_ieee_underflow 0
		.amdhsa_exception_fp_ieee_inexact 0
		.amdhsa_exception_int_div_zero 0
	.end_amdhsa_kernel
	.section	.text._ZL15flash_attn_tileILi112ELi112ELi1ELi8ELb0EEvPKcS1_S1_S1_S1_PKiPfP15HIP_vector_typeIfLj2EEffffjfiS5_IjLj3EEiiiiiiiiiiiliiliiiiil,"axG",@progbits,_ZL15flash_attn_tileILi112ELi112ELi1ELi8ELb0EEvPKcS1_S1_S1_S1_PKiPfP15HIP_vector_typeIfLj2EEffffjfiS5_IjLj3EEiiiiiiiiiiiliiliiiiil,comdat
.Lfunc_end13:
	.size	_ZL15flash_attn_tileILi112ELi112ELi1ELi8ELb0EEvPKcS1_S1_S1_S1_PKiPfP15HIP_vector_typeIfLj2EEffffjfiS5_IjLj3EEiiiiiiiiiiiliiliiiiil, .Lfunc_end13-_ZL15flash_attn_tileILi112ELi112ELi1ELi8ELb0EEvPKcS1_S1_S1_S1_PKiPfP15HIP_vector_typeIfLj2EEffffjfiS5_IjLj3EEiiiiiiiiiiiliiliiiiil
                                        ; -- End function
	.set _ZL15flash_attn_tileILi112ELi112ELi1ELi8ELb0EEvPKcS1_S1_S1_S1_PKiPfP15HIP_vector_typeIfLj2EEffffjfiS5_IjLj3EEiiiiiiiiiiiliiliiiiil.num_vgpr, 94
	.set _ZL15flash_attn_tileILi112ELi112ELi1ELi8ELb0EEvPKcS1_S1_S1_S1_PKiPfP15HIP_vector_typeIfLj2EEffffjfiS5_IjLj3EEiiiiiiiiiiiliiliiiiil.num_agpr, 0
	.set _ZL15flash_attn_tileILi112ELi112ELi1ELi8ELb0EEvPKcS1_S1_S1_S1_PKiPfP15HIP_vector_typeIfLj2EEffffjfiS5_IjLj3EEiiiiiiiiiiiliiliiiiil.numbered_sgpr, 53
	.set _ZL15flash_attn_tileILi112ELi112ELi1ELi8ELb0EEvPKcS1_S1_S1_S1_PKiPfP15HIP_vector_typeIfLj2EEffffjfiS5_IjLj3EEiiiiiiiiiiiliiliiiiil.num_named_barrier, 0
	.set _ZL15flash_attn_tileILi112ELi112ELi1ELi8ELb0EEvPKcS1_S1_S1_S1_PKiPfP15HIP_vector_typeIfLj2EEffffjfiS5_IjLj3EEiiiiiiiiiiiliiliiiiil.private_seg_size, 0
	.set _ZL15flash_attn_tileILi112ELi112ELi1ELi8ELb0EEvPKcS1_S1_S1_S1_PKiPfP15HIP_vector_typeIfLj2EEffffjfiS5_IjLj3EEiiiiiiiiiiiliiliiiiil.uses_vcc, 1
	.set _ZL15flash_attn_tileILi112ELi112ELi1ELi8ELb0EEvPKcS1_S1_S1_S1_PKiPfP15HIP_vector_typeIfLj2EEffffjfiS5_IjLj3EEiiiiiiiiiiiliiliiiiil.uses_flat_scratch, 0
	.set _ZL15flash_attn_tileILi112ELi112ELi1ELi8ELb0EEvPKcS1_S1_S1_S1_PKiPfP15HIP_vector_typeIfLj2EEffffjfiS5_IjLj3EEiiiiiiiiiiiliiliiiiil.has_dyn_sized_stack, 0
	.set _ZL15flash_attn_tileILi112ELi112ELi1ELi8ELb0EEvPKcS1_S1_S1_S1_PKiPfP15HIP_vector_typeIfLj2EEffffjfiS5_IjLj3EEiiiiiiiiiiiliiliiiiil.has_recursion, 0
	.set _ZL15flash_attn_tileILi112ELi112ELi1ELi8ELb0EEvPKcS1_S1_S1_S1_PKiPfP15HIP_vector_typeIfLj2EEffffjfiS5_IjLj3EEiiiiiiiiiiiliiliiiiil.has_indirect_call, 0
	.section	.AMDGPU.csdata,"",@progbits
; Kernel info:
; codeLenInByte = 5656
; TotalNumSgprs: 57
; NumVgprs: 94
; ScratchSize: 0
; MemoryBound: 0
; FloatMode: 240
; IeeeMode: 1
; LDSByteSize: 6464 bytes/workgroup (compile time only)
; SGPRBlocks: 7
; VGPRBlocks: 23
; NumSGPRsForWavesPerEU: 57
; NumVGPRsForWavesPerEU: 94
; Occupancy: 2
; WaveLimiterHint : 1
; COMPUTE_PGM_RSRC2:SCRATCH_EN: 0
; COMPUTE_PGM_RSRC2:USER_SGPR: 6
; COMPUTE_PGM_RSRC2:TRAP_HANDLER: 0
; COMPUTE_PGM_RSRC2:TGID_X_EN: 1
; COMPUTE_PGM_RSRC2:TGID_Y_EN: 1
; COMPUTE_PGM_RSRC2:TGID_Z_EN: 1
; COMPUTE_PGM_RSRC2:TIDIG_COMP_CNT: 1
	.section	.text._ZL25flash_attn_mask_to_KV_maxILi1EEvPK7__half2Piiii,"axG",@progbits,_ZL25flash_attn_mask_to_KV_maxILi1EEvPK7__half2Piiii,comdat
	.globl	_ZL25flash_attn_mask_to_KV_maxILi1EEvPK7__half2Piiii ; -- Begin function _ZL25flash_attn_mask_to_KV_maxILi1EEvPK7__half2Piiii
	.p2align	8
	.type	_ZL25flash_attn_mask_to_KV_maxILi1EEvPK7__half2Piiii,@function
_ZL25flash_attn_mask_to_KV_maxILi1EEvPK7__half2Piiii: ; @_ZL25flash_attn_mask_to_KV_maxILi1EEvPK7__half2Piiii
; %bb.0:
	s_load_dwordx4 s[8:11], s[4:5], 0x0
	v_cmp_gt_u32_e32 vcc, 32, v0
	s_and_saveexec_b64 s[0:1], vcc
; %bb.1:
	v_lshlrev_b32_e32 v1, 2, v0
	v_mov_b32_e32 v2, 1
	ds_write_b32 v1, v2
; %bb.2:
	s_or_b64 exec, exec, s[0:1]
	s_load_dwordx4 s[0:3], s[4:5], 0x10
	s_load_dword s12, s[4:5], 0x20
	v_and_b32_e32 v1, 31, v0
	v_lshlrev_b32_e32 v4, 2, v1
	v_lshrrev_b32_e32 v3, 3, v0
	s_waitcnt lgkmcnt(0)
	s_mul_i32 s2, s2, s7
	s_mul_i32 s1, s1, s6
	s_add_i32 s2, s2, s1
	s_ashr_i32 s3, s2, 31
	s_lshl_b64 s[2:3], s[2:3], 2
	s_add_u32 s13, s8, s2
	s_addc_u32 s14, s9, s3
	s_lshl_b32 s15, s0, 8
	v_cmp_eq_u32_e64 s[0:1], 0, v1
	v_mbcnt_lo_u32_b32 v1, -1, 0
	v_mbcnt_hi_u32_b32 v5, -1, v1
	v_and_b32_e32 v1, 0x60, v5
	s_mov_b64 s[4:5], 0
	v_mov_b32_e32 v2, 0
	s_movk_i32 s16, 0x204
	v_add_u32_e32 v6, 32, v1
	v_xor_b32_e32 v7, 16, v5
	v_xor_b32_e32 v8, 8, v5
	;; [unrolled: 1-line block ×5, first 2 shown]
	s_barrier
                                        ; implicit-def: $sgpr2_sgpr3
	s_branch .LBB14_5
.LBB14_3:                               ;   in Loop: Header=BB14_5 Depth=1
	s_or_b64 exec, exec, s[8:9]
	s_waitcnt lgkmcnt(0)
	s_barrier
	ds_read_b32 v16, v4
	s_waitcnt lgkmcnt(0)
	s_barrier
	ds_bpermute_b32 v1, v1, v16
	v_cmp_ne_u32_e32 vcc, 0, v16
	s_waitcnt lgkmcnt(0)
	v_cmp_ne_u32_e64 s[2:3], 0, v1
	s_and_b64 s[2:3], vcc, s[2:3]
	v_cndmask_b32_e64 v1, 0, 1, s[2:3]
	ds_bpermute_b32 v1, v12, v1
	s_waitcnt lgkmcnt(0)
	v_cmp_ne_u32_e32 vcc, 0, v1
	s_and_b64 s[2:3], vcc, s[2:3]
	v_cndmask_b32_e64 v1, 0, 1, s[2:3]
	ds_bpermute_b32 v1, v13, v1
	s_waitcnt lgkmcnt(0)
	v_cmp_ne_u32_e32 vcc, 0, v1
	;; [unrolled: 5-line block ×3, first 2 shown]
	s_and_b64 s[2:3], vcc, s[2:3]
	v_cndmask_b32_e64 v1, 0, 1, s[2:3]
	ds_bpermute_b32 v1, v15, v1
	s_xor_b64 s[2:3], s[2:3], -1
	s_waitcnt lgkmcnt(0)
	v_cmp_eq_u32_e32 vcc, 0, v1
	s_or_b64 s[2:3], vcc, s[2:3]
.LBB14_4:                               ;   in Loop: Header=BB14_5 Depth=1
	s_and_b64 s[8:9], exec, s[2:3]
	s_or_b64 s[4:5], s[8:9], s[4:5]
	v_mov_b32_e32 v1, s15
	s_mov_b32 s15, s17
	s_andn2_b64 exec, exec, s[4:5]
	s_cbranch_execz .LBB14_10
.LBB14_5:                               ; =>This Inner Loop Header: Depth=1
	s_add_i32 s17, s15, 0xffffff00
	s_or_b64 s[2:3], s[2:3], exec
	s_cmp_lt_i32 s17, 0
	s_cbranch_scc1 .LBB14_4
; %bb.6:                                ;   in Loop: Header=BB14_5 Depth=1
	s_lshr_b32 s2, s17, 1
	v_add_u32_e32 v1, s2, v0
	v_lshlrev_b64 v[12:13], 2, v[1:2]
	v_mov_b32_e32 v1, s14
	v_add_co_u32_e32 v12, vcc, s13, v12
	v_addc_co_u32_e32 v13, vcc, v1, v13, vcc
	global_load_dword v1, v[12:13], off
	v_mov_b32_e32 v12, 0
	s_waitcnt vmcnt(0)
	v_cmp_class_f16_e64 s[8:9], v1, s16
	s_and_saveexec_b64 s[2:3], s[8:9]
; %bb.7:                                ;   in Loop: Header=BB14_5 Depth=1
	v_cmp_class_f16_sdwa s[8:9], v1, s16 src0_sel:WORD_1 src1_sel:DWORD
	v_cndmask_b32_e64 v12, 0, 1, s[8:9]
; %bb.8:                                ;   in Loop: Header=BB14_5 Depth=1
	s_or_b64 exec, exec, s[2:3]
	v_cmp_lt_i32_e32 vcc, v7, v6
	v_cndmask_b32_e32 v1, v5, v7, vcc
	v_lshlrev_b32_e32 v1, 2, v1
	ds_bpermute_b32 v13, v1, v12
	v_cmp_ne_u32_e32 vcc, 0, v12
	s_waitcnt lgkmcnt(0)
	v_cmp_ne_u32_e64 s[2:3], 0, v13
	s_and_b64 s[2:3], vcc, s[2:3]
	v_cmp_lt_i32_e32 vcc, v8, v6
	v_cndmask_b32_e32 v12, v5, v8, vcc
	v_cndmask_b32_e64 v13, 0, 1, s[2:3]
	v_lshlrev_b32_e32 v12, 2, v12
	ds_bpermute_b32 v13, v12, v13
	s_waitcnt lgkmcnt(0)
	v_cmp_ne_u32_e32 vcc, 0, v13
	s_and_b64 s[2:3], vcc, s[2:3]
	v_cmp_lt_i32_e32 vcc, v9, v6
	v_cndmask_b32_e32 v13, v5, v9, vcc
	v_cndmask_b32_e64 v14, 0, 1, s[2:3]
	v_lshlrev_b32_e32 v13, 2, v13
	ds_bpermute_b32 v14, v13, v14
	s_waitcnt lgkmcnt(0)
	v_cmp_ne_u32_e32 vcc, 0, v14
	;; [unrolled: 8-line block ×3, first 2 shown]
	s_and_b64 s[2:3], vcc, s[2:3]
	v_cmp_lt_i32_e32 vcc, v11, v6
	v_cndmask_b32_e32 v15, v5, v11, vcc
	v_cndmask_b32_e64 v16, 0, 1, s[2:3]
	v_lshlrev_b32_e32 v15, 2, v15
	ds_bpermute_b32 v16, v15, v16
	s_and_saveexec_b64 s[8:9], s[0:1]
	s_cbranch_execz .LBB14_3
; %bb.9:                                ;   in Loop: Header=BB14_5 Depth=1
	s_waitcnt lgkmcnt(0)
	v_cmp_ne_u32_e32 vcc, 0, v16
	s_and_b64 s[2:3], vcc, s[2:3]
	v_cndmask_b32_e64 v16, 0, 1, s[2:3]
	ds_write_b32 v3, v16
	s_branch .LBB14_3
.LBB14_10:
	s_or_b64 exec, exec, s[4:5]
	v_cmp_eq_u32_e32 vcc, 0, v0
	s_and_saveexec_b64 s[0:1], vcc
	s_cbranch_execz .LBB14_12
; %bb.11:
	s_mul_i32 s0, s12, s7
	s_add_i32 s0, s0, s6
	s_ashr_i32 s1, s0, 31
	s_lshl_b64 s[0:1], s[0:1], 2
	s_add_u32 s0, s10, s0
	s_addc_u32 s1, s11, s1
	v_mov_b32_e32 v0, 0
	global_store_dword v0, v1, s[0:1]
.LBB14_12:
	s_endpgm
	.section	.rodata,"a",@progbits
	.p2align	6, 0x0
	.amdhsa_kernel _ZL25flash_attn_mask_to_KV_maxILi1EEvPK7__half2Piiii
		.amdhsa_group_segment_fixed_size 128
		.amdhsa_private_segment_fixed_size 0
		.amdhsa_kernarg_size 288
		.amdhsa_user_sgpr_count 6
		.amdhsa_user_sgpr_private_segment_buffer 1
		.amdhsa_user_sgpr_dispatch_ptr 0
		.amdhsa_user_sgpr_queue_ptr 0
		.amdhsa_user_sgpr_kernarg_segment_ptr 1
		.amdhsa_user_sgpr_dispatch_id 0
		.amdhsa_user_sgpr_flat_scratch_init 0
		.amdhsa_user_sgpr_private_segment_size 0
		.amdhsa_uses_dynamic_stack 0
		.amdhsa_system_sgpr_private_segment_wavefront_offset 0
		.amdhsa_system_sgpr_workgroup_id_x 1
		.amdhsa_system_sgpr_workgroup_id_y 1
		.amdhsa_system_sgpr_workgroup_id_z 0
		.amdhsa_system_sgpr_workgroup_info 0
		.amdhsa_system_vgpr_workitem_id 0
		.amdhsa_next_free_vgpr 17
		.amdhsa_next_free_sgpr 18
		.amdhsa_reserve_vcc 1
		.amdhsa_reserve_flat_scratch 0
		.amdhsa_float_round_mode_32 0
		.amdhsa_float_round_mode_16_64 0
		.amdhsa_float_denorm_mode_32 3
		.amdhsa_float_denorm_mode_16_64 3
		.amdhsa_dx10_clamp 1
		.amdhsa_ieee_mode 1
		.amdhsa_fp16_overflow 0
		.amdhsa_exception_fp_ieee_invalid_op 0
		.amdhsa_exception_fp_denorm_src 0
		.amdhsa_exception_fp_ieee_div_zero 0
		.amdhsa_exception_fp_ieee_overflow 0
		.amdhsa_exception_fp_ieee_underflow 0
		.amdhsa_exception_fp_ieee_inexact 0
		.amdhsa_exception_int_div_zero 0
	.end_amdhsa_kernel
	.section	.text._ZL25flash_attn_mask_to_KV_maxILi1EEvPK7__half2Piiii,"axG",@progbits,_ZL25flash_attn_mask_to_KV_maxILi1EEvPK7__half2Piiii,comdat
.Lfunc_end14:
	.size	_ZL25flash_attn_mask_to_KV_maxILi1EEvPK7__half2Piiii, .Lfunc_end14-_ZL25flash_attn_mask_to_KV_maxILi1EEvPK7__half2Piiii
                                        ; -- End function
	.set _ZL25flash_attn_mask_to_KV_maxILi1EEvPK7__half2Piiii.num_vgpr, 17
	.set _ZL25flash_attn_mask_to_KV_maxILi1EEvPK7__half2Piiii.num_agpr, 0
	.set _ZL25flash_attn_mask_to_KV_maxILi1EEvPK7__half2Piiii.numbered_sgpr, 18
	.set _ZL25flash_attn_mask_to_KV_maxILi1EEvPK7__half2Piiii.num_named_barrier, 0
	.set _ZL25flash_attn_mask_to_KV_maxILi1EEvPK7__half2Piiii.private_seg_size, 0
	.set _ZL25flash_attn_mask_to_KV_maxILi1EEvPK7__half2Piiii.uses_vcc, 1
	.set _ZL25flash_attn_mask_to_KV_maxILi1EEvPK7__half2Piiii.uses_flat_scratch, 0
	.set _ZL25flash_attn_mask_to_KV_maxILi1EEvPK7__half2Piiii.has_dyn_sized_stack, 0
	.set _ZL25flash_attn_mask_to_KV_maxILi1EEvPK7__half2Piiii.has_recursion, 0
	.set _ZL25flash_attn_mask_to_KV_maxILi1EEvPK7__half2Piiii.has_indirect_call, 0
	.section	.AMDGPU.csdata,"",@progbits
; Kernel info:
; codeLenInByte = 752
; TotalNumSgprs: 22
; NumVgprs: 17
; ScratchSize: 0
; MemoryBound: 0
; FloatMode: 240
; IeeeMode: 1
; LDSByteSize: 128 bytes/workgroup (compile time only)
; SGPRBlocks: 2
; VGPRBlocks: 4
; NumSGPRsForWavesPerEU: 22
; NumVGPRsForWavesPerEU: 17
; Occupancy: 10
; WaveLimiterHint : 0
; COMPUTE_PGM_RSRC2:SCRATCH_EN: 0
; COMPUTE_PGM_RSRC2:USER_SGPR: 6
; COMPUTE_PGM_RSRC2:TRAP_HANDLER: 0
; COMPUTE_PGM_RSRC2:TGID_X_EN: 1
; COMPUTE_PGM_RSRC2:TGID_Y_EN: 1
; COMPUTE_PGM_RSRC2:TGID_Z_EN: 0
; COMPUTE_PGM_RSRC2:TIDIG_COMP_CNT: 0
	.section	.text._ZL33flash_attn_stream_k_fixup_uniformILi112ELi1ELi8EEvPfPK15HIP_vector_typeIfLj2EEiiiiiiS1_IjLj3EES5_S5_,"axG",@progbits,_ZL33flash_attn_stream_k_fixup_uniformILi112ELi1ELi8EEvPfPK15HIP_vector_typeIfLj2EEiiiiiiS1_IjLj3EES5_S5_,comdat
	.globl	_ZL33flash_attn_stream_k_fixup_uniformILi112ELi1ELi8EEvPfPK15HIP_vector_typeIfLj2EEiiiiiiS1_IjLj3EES5_S5_ ; -- Begin function _ZL33flash_attn_stream_k_fixup_uniformILi112ELi1ELi8EEvPfPK15HIP_vector_typeIfLj2EEiiiiiiS1_IjLj3EES5_S5_
	.p2align	8
	.type	_ZL33flash_attn_stream_k_fixup_uniformILi112ELi1ELi8EEvPfPK15HIP_vector_typeIfLj2EEiiiiiiS1_IjLj3EES5_S5_,@function
_ZL33flash_attn_stream_k_fixup_uniformILi112ELi1ELi8EEvPfPK15HIP_vector_typeIfLj2EEiiiiiiS1_IjLj3EES5_S5_: ; @_ZL33flash_attn_stream_k_fixup_uniformILi112ELi1ELi8EEvPfPK15HIP_vector_typeIfLj2EEiiiiiiS1_IjLj3EES5_S5_
; %bb.0:
	s_load_dwordx8 s[12:19], s[4:5], 0x1c
	s_load_dwordx2 s[10:11], s[4:5], 0x10
	s_load_dwordx4 s[0:3], s[4:5], 0x3c
	s_waitcnt lgkmcnt(0)
	s_mul_hi_u32 s9, s15, s6
	s_add_i32 s9, s6, s9
	s_lshr_b32 s9, s9, s16
	s_mul_i32 s15, s9, s17
	s_sub_i32 s16, s6, s15
	s_mul_hi_u32 s15, s16, s18
	s_add_i32 s15, s16, s15
	s_lshr_b32 s15, s15, s19
	s_mul_i32 s0, s15, s0
	s_sub_i32 s0, s16, s0
	;; [unrolled: 5-line block ×3, first 2 shown]
	s_lshl_b32 s17, s1, 3
	s_add_i32 s16, s16, s7
	s_cmp_lt_i32 s16, s10
	s_cselect_b64 s[0:1], -1, 0
	s_add_i32 s17, s17, s8
	s_cmp_lt_i32 s17, s13
	s_cselect_b64 s[2:3], -1, 0
	s_and_b64 s[0:1], s[0:1], s[2:3]
	s_andn2_b64 vcc, exec, s[0:1]
	s_cbranch_vccnz .LBB15_6
; %bb.1:
	s_mul_i32 s9, s9, s10
	s_load_dwordx4 s[0:3], s[4:5], 0x0
	s_mul_i32 s15, s15, s13
	s_add_i32 s4, s16, s9
	s_mul_i32 s4, s4, s11
	s_add_i32 s5, s17, s15
	s_add_i32 s4, s5, s4
	s_mulk_i32 s4, 0x70
	v_add_u32_e32 v1, s4, v0
	v_ashrrev_i32_e32 v2, 31, v1
	v_lshlrev_b64 v[1:2], 2, v[1:2]
	s_waitcnt lgkmcnt(0)
	v_mov_b32_e32 v3, s1
	v_add_co_u32_e32 v1, vcc, s0, v1
	v_addc_co_u32_e32 v2, vcc, v3, v2, vcc
	global_load_dword v8, v[1:2], off
	s_mul_i32 s9, s14, s6
	s_add_i32 s4, s9, s14
	s_add_i32 s0, s7, s4
	s_lshl_b32 s0, s0, 3
	s_add_i32 s0, s0, s8
	s_add_i32 s0, s0, -8
	s_ashr_i32 s1, s0, 31
	s_lshl_b64 s[0:1], s[0:1], 3
	s_add_u32 s0, s2, s0
	s_addc_u32 s1, s3, s1
	s_load_dword s5, s[0:1], 0x4
	s_add_i32 s10, s4, -2
	s_cmp_lt_i32 s10, s9
	s_cbranch_scc1 .LBB15_4
; %bb.2:
	s_lshl_b32 s10, s12, 5
	s_ashr_i32 s11, s10, 31
	s_lshl_b64 s[10:11], s[10:11], 2
	s_add_u32 s10, s2, s10
	s_addc_u32 s13, s3, s11
	s_add_i32 s6, s6, 1
	s_load_dword s0, s[0:1], 0x0
	s_mul_i32 s1, s14, s6
	s_mul_i32 s6, s7, 0x380
	;; [unrolled: 1-line block ×3, first 2 shown]
	s_mulk_i32 s1, 0x380
	s_add_i32 s6, s14, s6
	s_add_i32 s6, s6, s1
	;; [unrolled: 1-line block ×4, first 2 shown]
	s_lshl_b32 s1, s1, 3
	v_add_u32_e32 v0, s6, v0
	s_add_i32 s1, s8, s1
	s_add_i32 s11, s4, -1
	v_add_u32_e32 v3, 0xfffff900, v0
	s_add_i32 s4, s1, -16
	s_waitcnt lgkmcnt(0)
	v_mov_b32_e32 v7, s5
	v_mov_b32_e32 v6, s0
	;; [unrolled: 1-line block ×3, first 2 shown]
	s_mov_b32 s6, 0x3fb8aa3b
	s_mov_b32 s7, 0xc2ce8ed0
	;; [unrolled: 1-line block ×3, first 2 shown]
	v_mov_b32_e32 v5, 0x7f800000
	s_mov_b32 s12, 0xc1a00000
.LBB15_3:                               ; =>This Inner Loop Header: Depth=1
	v_ashrrev_i32_e32 v4, 31, v3
	v_lshlrev_b64 v[9:10], 2, v[3:4]
	s_ashr_i32 s5, s4, 31
	v_add_co_u32_e32 v9, vcc, s10, v9
	v_addc_co_u32_e32 v10, vcc, v0, v10, vcc
	global_load_dword v4, v[9:10], off
	s_lshl_b64 s[0:1], s[4:5], 3
	s_add_u32 s0, s2, s0
	s_addc_u32 s1, s3, s1
	s_load_dwordx2 s[14:15], s[0:1], 0x0
	s_waitcnt vmcnt(1)
	v_mov_b32_e32 v9, v8
	v_max_f32_e32 v8, v6, v6
	v_mov_b32_e32 v10, v7
	s_add_i32 s11, s11, -1
	s_waitcnt lgkmcnt(0)
	v_max_f32_e64 v7, s14, s14
	v_max_f32_e32 v7, v8, v7
	v_sub_f32_e32 v11, s14, v7
	v_sub_f32_e32 v8, v6, v7
	v_mul_f32_e32 v12, 0x3fb8aa3b, v11
	v_mov_b32_e32 v6, v7
	v_mul_f32_e32 v7, 0x3fb8aa3b, v8
	v_fma_f32 v15, v11, s6, -v12
	v_rndne_f32_e32 v16, v12
	v_fma_f32 v13, v8, s6, -v7
	v_rndne_f32_e32 v14, v7
	v_fmac_f32_e32 v15, 0x32a5705f, v11
	v_sub_f32_e32 v12, v12, v16
	v_fmac_f32_e32 v13, 0x32a5705f, v8
	v_sub_f32_e32 v7, v7, v14
	v_add_f32_e32 v12, v12, v15
	v_cvt_i32_f32_e32 v16, v16
	v_add_f32_e32 v7, v7, v13
	v_exp_f32_e32 v12, v12
	v_cvt_i32_f32_e32 v14, v14
	v_exp_f32_e32 v7, v7
	v_cmp_ngt_f32_e32 vcc, s7, v11
	v_ldexp_f32 v12, v12, v16
	v_cmp_ngt_f32_e64 s[0:1], s7, v8
	v_ldexp_f32 v7, v7, v14
	v_cndmask_b32_e32 v12, 0, v12, vcc
	v_cmp_nlt_f32_e32 vcc, s8, v11
	v_cndmask_b32_e64 v7, 0, v7, s[0:1]
	v_cmp_nlt_f32_e64 s[0:1], s8, v8
	v_cndmask_b32_e32 v12, v5, v12, vcc
	v_cmp_le_f32_e32 vcc, s12, v11
	v_cndmask_b32_e64 v7, v5, v7, s[0:1]
	v_cmp_le_f32_e64 s[0:1], s12, v8
	v_cndmask_b32_e32 v8, 0, v12, vcc
	s_add_i32 s4, s4, -8
	v_cndmask_b32_e64 v11, 0, v7, s[0:1]
	v_mul_f32_e32 v7, s15, v8
	v_add_u32_e32 v3, 0xfffffc80, v3
	s_cmp_le_i32 s11, s9
	v_fmac_f32_e32 v7, v10, v11
	s_waitcnt vmcnt(0)
	v_mul_f32_e32 v8, v4, v8
	v_fmac_f32_e32 v8, v9, v11
	s_cbranch_scc0 .LBB15_3
	s_branch .LBB15_5
.LBB15_4:
	s_waitcnt lgkmcnt(0)
	v_mov_b32_e32 v7, s5
.LBB15_5:
	s_waitcnt vmcnt(0)
	v_div_scale_f32 v0, s[0:1], v7, v7, v8
	v_div_scale_f32 v3, vcc, v8, v7, v8
	v_rcp_f32_e32 v4, v0
	v_fma_f32 v5, -v0, v4, 1.0
	v_fmac_f32_e32 v4, v5, v4
	v_mul_f32_e32 v5, v3, v4
	v_fma_f32 v6, -v0, v5, v3
	v_fmac_f32_e32 v5, v6, v4
	v_fma_f32 v0, -v0, v5, v3
	v_div_fmas_f32 v0, v0, v4, v5
	v_div_fixup_f32 v0, v0, v7, v8
	global_store_dword v[1:2], v0, off
.LBB15_6:
	s_endpgm
	.section	.rodata,"a",@progbits
	.p2align	6, 0x0
	.amdhsa_kernel _ZL33flash_attn_stream_k_fixup_uniformILi112ELi1ELi8EEvPfPK15HIP_vector_typeIfLj2EEiiiiiiS1_IjLj3EES5_S5_
		.amdhsa_group_segment_fixed_size 0
		.amdhsa_private_segment_fixed_size 0
		.amdhsa_kernarg_size 76
		.amdhsa_user_sgpr_count 6
		.amdhsa_user_sgpr_private_segment_buffer 1
		.amdhsa_user_sgpr_dispatch_ptr 0
		.amdhsa_user_sgpr_queue_ptr 0
		.amdhsa_user_sgpr_kernarg_segment_ptr 1
		.amdhsa_user_sgpr_dispatch_id 0
		.amdhsa_user_sgpr_flat_scratch_init 0
		.amdhsa_user_sgpr_private_segment_size 0
		.amdhsa_uses_dynamic_stack 0
		.amdhsa_system_sgpr_private_segment_wavefront_offset 0
		.amdhsa_system_sgpr_workgroup_id_x 1
		.amdhsa_system_sgpr_workgroup_id_y 1
		.amdhsa_system_sgpr_workgroup_id_z 1
		.amdhsa_system_sgpr_workgroup_info 0
		.amdhsa_system_vgpr_workitem_id 0
		.amdhsa_next_free_vgpr 17
		.amdhsa_next_free_sgpr 20
		.amdhsa_reserve_vcc 1
		.amdhsa_reserve_flat_scratch 0
		.amdhsa_float_round_mode_32 0
		.amdhsa_float_round_mode_16_64 0
		.amdhsa_float_denorm_mode_32 3
		.amdhsa_float_denorm_mode_16_64 3
		.amdhsa_dx10_clamp 1
		.amdhsa_ieee_mode 1
		.amdhsa_fp16_overflow 0
		.amdhsa_exception_fp_ieee_invalid_op 0
		.amdhsa_exception_fp_denorm_src 0
		.amdhsa_exception_fp_ieee_div_zero 0
		.amdhsa_exception_fp_ieee_overflow 0
		.amdhsa_exception_fp_ieee_underflow 0
		.amdhsa_exception_fp_ieee_inexact 0
		.amdhsa_exception_int_div_zero 0
	.end_amdhsa_kernel
	.section	.text._ZL33flash_attn_stream_k_fixup_uniformILi112ELi1ELi8EEvPfPK15HIP_vector_typeIfLj2EEiiiiiiS1_IjLj3EES5_S5_,"axG",@progbits,_ZL33flash_attn_stream_k_fixup_uniformILi112ELi1ELi8EEvPfPK15HIP_vector_typeIfLj2EEiiiiiiS1_IjLj3EES5_S5_,comdat
.Lfunc_end15:
	.size	_ZL33flash_attn_stream_k_fixup_uniformILi112ELi1ELi8EEvPfPK15HIP_vector_typeIfLj2EEiiiiiiS1_IjLj3EES5_S5_, .Lfunc_end15-_ZL33flash_attn_stream_k_fixup_uniformILi112ELi1ELi8EEvPfPK15HIP_vector_typeIfLj2EEiiiiiiS1_IjLj3EES5_S5_
                                        ; -- End function
	.set _ZL33flash_attn_stream_k_fixup_uniformILi112ELi1ELi8EEvPfPK15HIP_vector_typeIfLj2EEiiiiiiS1_IjLj3EES5_S5_.num_vgpr, 17
	.set _ZL33flash_attn_stream_k_fixup_uniformILi112ELi1ELi8EEvPfPK15HIP_vector_typeIfLj2EEiiiiiiS1_IjLj3EES5_S5_.num_agpr, 0
	.set _ZL33flash_attn_stream_k_fixup_uniformILi112ELi1ELi8EEvPfPK15HIP_vector_typeIfLj2EEiiiiiiS1_IjLj3EES5_S5_.numbered_sgpr, 20
	.set _ZL33flash_attn_stream_k_fixup_uniformILi112ELi1ELi8EEvPfPK15HIP_vector_typeIfLj2EEiiiiiiS1_IjLj3EES5_S5_.num_named_barrier, 0
	.set _ZL33flash_attn_stream_k_fixup_uniformILi112ELi1ELi8EEvPfPK15HIP_vector_typeIfLj2EEiiiiiiS1_IjLj3EES5_S5_.private_seg_size, 0
	.set _ZL33flash_attn_stream_k_fixup_uniformILi112ELi1ELi8EEvPfPK15HIP_vector_typeIfLj2EEiiiiiiS1_IjLj3EES5_S5_.uses_vcc, 1
	.set _ZL33flash_attn_stream_k_fixup_uniformILi112ELi1ELi8EEvPfPK15HIP_vector_typeIfLj2EEiiiiiiS1_IjLj3EES5_S5_.uses_flat_scratch, 0
	.set _ZL33flash_attn_stream_k_fixup_uniformILi112ELi1ELi8EEvPfPK15HIP_vector_typeIfLj2EEiiiiiiS1_IjLj3EES5_S5_.has_dyn_sized_stack, 0
	.set _ZL33flash_attn_stream_k_fixup_uniformILi112ELi1ELi8EEvPfPK15HIP_vector_typeIfLj2EEiiiiiiS1_IjLj3EES5_S5_.has_recursion, 0
	.set _ZL33flash_attn_stream_k_fixup_uniformILi112ELi1ELi8EEvPfPK15HIP_vector_typeIfLj2EEiiiiiiS1_IjLj3EES5_S5_.has_indirect_call, 0
	.section	.AMDGPU.csdata,"",@progbits
; Kernel info:
; codeLenInByte = 836
; TotalNumSgprs: 24
; NumVgprs: 17
; ScratchSize: 0
; MemoryBound: 0
; FloatMode: 240
; IeeeMode: 1
; LDSByteSize: 0 bytes/workgroup (compile time only)
; SGPRBlocks: 2
; VGPRBlocks: 4
; NumSGPRsForWavesPerEU: 24
; NumVGPRsForWavesPerEU: 17
; Occupancy: 10
; WaveLimiterHint : 0
; COMPUTE_PGM_RSRC2:SCRATCH_EN: 0
; COMPUTE_PGM_RSRC2:USER_SGPR: 6
; COMPUTE_PGM_RSRC2:TRAP_HANDLER: 0
; COMPUTE_PGM_RSRC2:TGID_X_EN: 1
; COMPUTE_PGM_RSRC2:TGID_Y_EN: 1
; COMPUTE_PGM_RSRC2:TGID_Z_EN: 1
; COMPUTE_PGM_RSRC2:TIDIG_COMP_CNT: 0
	.section	.text._ZL33flash_attn_stream_k_fixup_generalILi112ELi1ELi8EEvPfPK15HIP_vector_typeIfLj2EEiiiiS1_IjLj3EES5_S5_S5_,"axG",@progbits,_ZL33flash_attn_stream_k_fixup_generalILi112ELi1ELi8EEvPfPK15HIP_vector_typeIfLj2EEiiiiS1_IjLj3EES5_S5_S5_,comdat
	.globl	_ZL33flash_attn_stream_k_fixup_generalILi112ELi1ELi8EEvPfPK15HIP_vector_typeIfLj2EEiiiiS1_IjLj3EES5_S5_S5_ ; -- Begin function _ZL33flash_attn_stream_k_fixup_generalILi112ELi1ELi8EEvPfPK15HIP_vector_typeIfLj2EEiiiiS1_IjLj3EES5_S5_S5_
	.p2align	8
	.type	_ZL33flash_attn_stream_k_fixup_generalILi112ELi1ELi8EEvPfPK15HIP_vector_typeIfLj2EEiiiiS1_IjLj3EES5_S5_S5_,@function
_ZL33flash_attn_stream_k_fixup_generalILi112ELi1ELi8EEvPfPK15HIP_vector_typeIfLj2EEiiiiS1_IjLj3EES5_S5_S5_: ; @_ZL33flash_attn_stream_k_fixup_generalILi112ELi1ELi8EEvPfPK15HIP_vector_typeIfLj2EEiiiiS1_IjLj3EES5_S5_S5_
; %bb.0:
	s_load_dwordx4 s[0:3], s[4:5], 0x10
	s_load_dword s9, s[4:5], 0x50
	s_mov_b32 s12, 0
	s_waitcnt lgkmcnt(0)
	s_mul_hi_i32 s13, s3, s6
	s_cmp_lg_u64 s[12:13], 0
	s_mul_i32 s18, s3, s6
	s_cbranch_scc0 .LBB16_20
; %bb.1:
	s_add_u32 s10, s9, 0
	s_addc_u32 s11, 0, 0
	s_xor_b64 s[10:11], s[10:11], 0
	v_cvt_f32_u32_e32 v1, s10
	v_cvt_f32_u32_e32 v2, s11
	s_sub_u32 s12, 0, s10
	s_subb_u32 s19, 0, s11
	v_madmk_f32 v1, v2, 0x4f800000, v1
	v_rcp_f32_e32 v1, v1
	v_mul_f32_e32 v1, 0x5f7ffffc, v1
	v_mul_f32_e32 v2, 0x2f800000, v1
	v_trunc_f32_e32 v2, v2
	v_madmk_f32 v1, v2, 0xcf800000, v1
	v_cvt_u32_f32_e32 v2, v2
	v_cvt_u32_f32_e32 v1, v1
	v_readfirstlane_b32 s20, v2
	v_readfirstlane_b32 s14, v1
	s_mul_i32 s15, s12, s20
	s_mul_hi_u32 s22, s12, s14
	s_mul_i32 s21, s19, s14
	s_add_i32 s15, s22, s15
	s_add_i32 s15, s15, s21
	s_mul_i32 s23, s12, s14
	s_mul_i32 s22, s14, s15
	s_mul_hi_u32 s24, s14, s23
	s_mul_hi_u32 s21, s14, s15
	s_add_u32 s22, s24, s22
	s_addc_u32 s21, 0, s21
	s_mul_hi_u32 s25, s20, s23
	s_mul_i32 s23, s20, s23
	s_add_u32 s22, s22, s23
	s_mul_hi_u32 s24, s20, s15
	s_addc_u32 s21, s21, s25
	s_addc_u32 s22, s24, 0
	s_mul_i32 s15, s20, s15
	s_add_u32 s15, s21, s15
	s_addc_u32 s21, 0, s22
	s_add_u32 s22, s14, s15
	s_cselect_b64 s[14:15], -1, 0
	s_cmp_lg_u64 s[14:15], 0
	s_addc_u32 s20, s20, s21
	s_mul_i32 s14, s12, s20
	s_mul_hi_u32 s15, s12, s22
	s_add_i32 s14, s15, s14
	s_mul_i32 s19, s19, s22
	s_add_i32 s14, s14, s19
	s_mul_i32 s12, s12, s22
	s_mul_hi_u32 s19, s20, s12
	s_mul_i32 s21, s20, s12
	s_mul_i32 s24, s22, s14
	s_mul_hi_u32 s12, s22, s12
	s_mul_hi_u32 s23, s22, s14
	s_add_u32 s12, s12, s24
	s_addc_u32 s23, 0, s23
	s_add_u32 s12, s12, s21
	s_mul_hi_u32 s15, s20, s14
	s_addc_u32 s12, s23, s19
	s_addc_u32 s15, s15, 0
	s_mul_i32 s14, s20, s14
	s_add_u32 s12, s12, s14
	s_addc_u32 s19, 0, s15
	s_add_u32 s21, s22, s12
	s_cselect_b64 s[14:15], -1, 0
	s_cmp_lg_u64 s[14:15], 0
	s_addc_u32 s19, s20, s19
	s_ashr_i32 s14, s13, 31
	s_add_u32 s12, s18, s14
	s_mov_b32 s15, s14
	s_addc_u32 s13, s13, s14
	s_xor_b64 s[12:13], s[12:13], s[14:15]
	s_mul_i32 s22, s12, s19
	s_mul_hi_u32 s23, s12, s21
	s_mul_hi_u32 s20, s12, s19
	s_add_u32 s22, s23, s22
	s_addc_u32 s20, 0, s20
	s_mul_hi_u32 s24, s13, s21
	s_mul_i32 s21, s13, s21
	s_add_u32 s21, s22, s21
	s_mul_hi_u32 s23, s13, s19
	s_addc_u32 s20, s20, s24
	s_addc_u32 s21, s23, 0
	s_mul_i32 s19, s13, s19
	s_add_u32 s19, s20, s19
	s_addc_u32 s24, 0, s21
	s_mul_i32 s20, s10, s24
	s_mul_hi_u32 s21, s10, s19
	s_add_i32 s20, s21, s20
	s_mul_i32 s21, s11, s19
	s_add_i32 s25, s20, s21
	s_sub_i32 s22, s13, s25
	s_mul_i32 s20, s10, s19
	s_sub_u32 s12, s12, s20
	s_cselect_b64 s[20:21], -1, 0
	s_cmp_lg_u64 s[20:21], 0
	s_subb_u32 s26, s22, s11
	s_sub_u32 s27, s12, s10
	s_cselect_b64 s[22:23], -1, 0
	s_cmp_lg_u64 s[22:23], 0
	s_subb_u32 s22, s26, 0
	s_cmp_ge_u32 s22, s11
	s_cselect_b32 s23, -1, 0
	s_cmp_ge_u32 s27, s10
	s_cselect_b32 s26, -1, 0
	s_cmp_eq_u32 s22, s11
	s_cselect_b32 s22, s26, s23
	s_add_u32 s23, s19, 1
	s_addc_u32 s26, s24, 0
	s_add_u32 s27, s19, 2
	s_addc_u32 s28, s24, 0
	s_cmp_lg_u32 s22, 0
	s_cselect_b32 s22, s27, s23
	s_cselect_b32 s23, s28, s26
	s_cmp_lg_u64 s[20:21], 0
	s_subb_u32 s13, s13, s25
	s_cmp_ge_u32 s13, s11
	s_cselect_b32 s20, -1, 0
	s_cmp_ge_u32 s12, s10
	s_cselect_b32 s10, -1, 0
	s_cmp_eq_u32 s13, s11
	s_cselect_b32 s10, s10, s20
	s_cmp_lg_u32 s10, 0
	s_cselect_b32 s11, s23, s24
	s_cselect_b32 s10, s22, s19
	s_xor_b64 s[12:13], s[14:15], 0
	s_xor_b64 s[10:11], s[10:11], s[12:13]
	s_sub_u32 s10, s10, s12
	s_load_dwordx4 s[12:15], s[4:5], 0x44
	s_cbranch_execnz .LBB16_3
.LBB16_2:
	v_cvt_f32_u32_e32 v1, s9
	s_sub_i32 s10, 0, s9
	v_rcp_iflag_f32_e32 v1, v1
	v_mul_f32_e32 v1, 0x4f7ffffe, v1
	v_cvt_u32_f32_e32 v1, v1
	v_readfirstlane_b32 s11, v1
	s_mul_i32 s10, s10, s11
	s_mul_hi_u32 s10, s11, s10
	s_add_i32 s11, s11, s10
	s_mul_hi_u32 s10, s18, s11
	s_waitcnt lgkmcnt(0)
	s_mul_i32 s15, s10, s9
	s_sub_i32 s15, s18, s15
	s_add_i32 s11, s10, 1
	s_sub_i32 s16, s15, s9
	s_cmp_ge_u32 s15, s9
	s_cselect_b32 s10, s11, s10
	s_cselect_b32 s15, s16, s15
	s_add_i32 s11, s10, 1
	s_cmp_ge_u32 s15, s9
	s_cselect_b32 s10, s11, s10
.LBB16_3:
	s_add_i32 s11, s6, 1
	s_mul_hi_i32 s21, s3, s11
	s_mov_b32 s20, 0
	s_cmp_lg_u64 s[20:21], 0
	s_mul_i32 s11, s3, s11
	s_cbranch_scc0 .LBB16_21
; %bb.4:
	s_add_u32 s16, s9, 0
	s_addc_u32 s17, 0, 0
	s_xor_b64 s[18:19], s[16:17], 0
	v_cvt_f32_u32_e32 v1, s18
	v_cvt_f32_u32_e32 v2, s19
	s_waitcnt lgkmcnt(0)
	s_sub_u32 s15, 0, s18
	s_subb_u32 s20, 0, s19
	v_madmk_f32 v1, v2, 0x4f800000, v1
	v_rcp_f32_e32 v1, v1
	v_mul_f32_e32 v1, 0x5f7ffffc, v1
	v_mul_f32_e32 v2, 0x2f800000, v1
	v_trunc_f32_e32 v2, v2
	v_madmk_f32 v1, v2, 0xcf800000, v1
	v_cvt_u32_f32_e32 v2, v2
	v_cvt_u32_f32_e32 v1, v1
	v_readfirstlane_b32 s24, v2
	v_readfirstlane_b32 s22, v1
	s_mul_i32 s23, s15, s24
	s_mul_hi_u32 s26, s15, s22
	s_mul_i32 s25, s20, s22
	s_add_i32 s23, s26, s23
	s_add_i32 s23, s23, s25
	s_mul_i32 s27, s15, s22
	s_mul_i32 s26, s22, s23
	s_mul_hi_u32 s28, s22, s27
	s_mul_hi_u32 s25, s22, s23
	s_add_u32 s26, s28, s26
	s_addc_u32 s25, 0, s25
	s_mul_hi_u32 s29, s24, s27
	s_mul_i32 s27, s24, s27
	s_add_u32 s26, s26, s27
	s_mul_hi_u32 s28, s24, s23
	s_addc_u32 s25, s25, s29
	s_addc_u32 s26, s28, 0
	s_mul_i32 s23, s24, s23
	s_add_u32 s23, s25, s23
	s_addc_u32 s25, 0, s26
	s_add_u32 s26, s22, s23
	s_cselect_b64 s[22:23], -1, 0
	s_cmp_lg_u64 s[22:23], 0
	s_addc_u32 s24, s24, s25
	s_mul_i32 s22, s15, s24
	s_mul_hi_u32 s23, s15, s26
	s_add_i32 s22, s23, s22
	s_mul_i32 s20, s20, s26
	s_add_i32 s22, s22, s20
	s_mul_i32 s15, s15, s26
	s_mul_hi_u32 s23, s24, s15
	s_mul_i32 s25, s24, s15
	s_mul_i32 s28, s26, s22
	s_mul_hi_u32 s15, s26, s15
	s_mul_hi_u32 s27, s26, s22
	s_add_u32 s15, s15, s28
	s_addc_u32 s27, 0, s27
	s_add_u32 s15, s15, s25
	s_mul_hi_u32 s20, s24, s22
	s_addc_u32 s15, s27, s23
	s_addc_u32 s20, s20, 0
	s_mul_i32 s22, s24, s22
	s_add_u32 s15, s15, s22
	s_addc_u32 s20, 0, s20
	s_add_u32 s15, s26, s15
	s_cselect_b64 s[22:23], -1, 0
	s_cmp_lg_u64 s[22:23], 0
	s_addc_u32 s24, s24, s20
	s_ashr_i32 s22, s21, 31
	s_add_u32 s20, s11, s22
	s_mov_b32 s23, s22
	s_addc_u32 s21, s21, s22
	s_xor_b64 s[20:21], s[20:21], s[22:23]
	s_mul_i32 s26, s20, s24
	s_mul_hi_u32 s27, s20, s15
	s_mul_hi_u32 s25, s20, s24
	s_add_u32 s26, s27, s26
	s_addc_u32 s25, 0, s25
	s_mul_hi_u32 s28, s21, s15
	s_mul_i32 s15, s21, s15
	s_add_u32 s15, s26, s15
	s_mul_hi_u32 s27, s21, s24
	s_addc_u32 s15, s25, s28
	s_addc_u32 s25, s27, 0
	s_mul_i32 s24, s21, s24
	s_add_u32 s15, s15, s24
	s_addc_u32 s28, 0, s25
	s_mul_i32 s24, s18, s28
	s_mul_hi_u32 s25, s18, s15
	s_add_i32 s24, s25, s24
	s_mul_i32 s25, s19, s15
	s_add_i32 s29, s24, s25
	s_sub_i32 s26, s21, s29
	s_mul_i32 s24, s18, s15
	s_sub_u32 s20, s20, s24
	s_cselect_b64 s[24:25], -1, 0
	s_cmp_lg_u64 s[24:25], 0
	s_subb_u32 s30, s26, s19
	s_sub_u32 s31, s20, s18
	s_cselect_b64 s[26:27], -1, 0
	s_cmp_lg_u64 s[26:27], 0
	s_subb_u32 s26, s30, 0
	s_cmp_ge_u32 s26, s19
	s_cselect_b32 s27, -1, 0
	s_cmp_ge_u32 s31, s18
	s_cselect_b32 s30, -1, 0
	s_cmp_eq_u32 s26, s19
	s_cselect_b32 s26, s30, s27
	s_add_u32 s27, s15, 1
	s_addc_u32 s30, s28, 0
	s_add_u32 s31, s15, 2
	s_addc_u32 s33, s28, 0
	s_cmp_lg_u32 s26, 0
	s_cselect_b32 s26, s31, s27
	s_cselect_b32 s27, s33, s30
	s_cmp_lg_u64 s[24:25], 0
	s_subb_u32 s21, s21, s29
	s_cmp_ge_u32 s21, s19
	s_cselect_b32 s24, -1, 0
	s_cmp_ge_u32 s20, s18
	s_cselect_b32 s18, -1, 0
	s_cmp_eq_u32 s21, s19
	s_cselect_b32 s18, s18, s24
	s_cmp_lg_u32 s18, 0
	s_cselect_b32 s19, s27, s28
	s_cselect_b32 s18, s26, s15
	s_xor_b64 s[20:21], s[22:23], 0
	s_xor_b64 s[18:19], s[18:19], s[20:21]
	s_sub_u32 s18, s18, s20
	s_cbranch_execnz .LBB16_6
.LBB16_5:
	v_cvt_f32_u32_e32 v1, s9
	s_waitcnt lgkmcnt(0)
	s_sub_i32 s15, 0, s9
	v_rcp_iflag_f32_e32 v1, v1
	v_mul_f32_e32 v1, 0x4f7ffffe, v1
	v_cvt_u32_f32_e32 v1, v1
	v_readfirstlane_b32 s16, v1
	s_mul_i32 s15, s15, s16
	s_mul_hi_u32 s15, s16, s15
	s_add_i32 s16, s16, s15
	s_mul_hi_u32 s15, s11, s16
	s_mul_i32 s17, s15, s9
	s_sub_i32 s11, s11, s17
	s_add_i32 s16, s15, 1
	s_sub_i32 s17, s11, s9
	s_cmp_ge_u32 s11, s9
	s_cselect_b32 s15, s16, s15
	s_cselect_b32 s11, s17, s11
	s_add_i32 s16, s15, 1
	s_cmp_ge_u32 s11, s9
	s_cselect_b32 s18, s16, s15
.LBB16_6:
	s_cmp_eq_u32 s10, s18
	s_waitcnt lgkmcnt(0)
	s_mul_hi_u32 s11, s10, s12
	s_cselect_b64 s[16:17], -1, 0
	s_add_i32 s11, s11, s10
	s_lshr_b32 s11, s11, s13
	s_mul_i32 s15, s11, s14
	s_cmp_eq_u32 s15, s10
	s_mul_hi_u32 s15, s18, s12
	s_cselect_b64 s[20:21], -1, 0
	s_add_i32 s15, s15, s18
	s_lshr_b32 s15, s15, s13
	s_cmp_eq_u32 s11, s15
	s_mul_i32 s15, s15, s14
	s_cselect_b64 s[22:23], -1, 0
	s_cmp_lg_u32 s15, s18
	s_cselect_b64 s[18:19], -1, 0
	s_and_b64 s[18:19], s[22:23], s[18:19]
	s_or_b64 s[16:17], s[16:17], s[20:21]
	s_or_b64 s[16:17], s[16:17], s[18:19]
	s_and_b64 vcc, exec, s[16:17]
	s_cbranch_vccnz .LBB16_23
; %bb.7:
	s_load_dwordx8 s[20:27], s[4:5], 0x20
	s_load_dword s15, s[4:5], 0x40
	s_waitcnt lgkmcnt(0)
	s_mul_hi_u32 s16, s10, s20
	s_add_i32 s16, s16, s10
	s_lshr_b32 s21, s16, s21
	s_mul_i32 s16, s21, s22
	s_sub_i32 s16, s10, s16
	s_mul_hi_u32 s17, s16, s23
	s_add_i32 s17, s16, s17
	s_lshr_b32 s22, s17, s24
	s_mul_i32 s17, s22, s25
	s_sub_i32 s16, s16, s17
	;; [unrolled: 5-line block ×3, first 2 shown]
	s_mul_hi_u32 s16, s15, s12
	s_add_i32 s15, s15, s16
	s_lshr_b32 s23, s15, s13
	s_lshl_b32 s24, s17, 3
	s_add_i32 s23, s23, s7
	s_cmp_lt_i32 s23, s0
	s_cselect_b64 s[16:17], -1, 0
	s_add_i32 s24, s24, s8
	s_cmp_lt_i32 s24, s2
	s_cselect_b64 s[18:19], -1, 0
	s_and_b64 s[16:17], s[16:17], s[18:19]
	s_andn2_b64 vcc, exec, s[16:17]
	s_cbranch_vccnz .LBB16_23
; %bb.8:
	s_load_dwordx4 s[16:19], s[4:5], 0x0
	s_lshl_b32 s4, s7, 3
	s_add_i32 s5, s4, s8
	s_mov_b32 s4, 0
	s_lshl_b32 s26, s9, 5
	s_mov_b32 s27, s4
	s_lshl_b64 s[26:27], s[26:27], 2
	s_waitcnt lgkmcnt(0)
	s_add_u32 s15, s18, s26
	s_mul_i32 s21, s21, s0
	s_addc_u32 s20, s19, s27
	s_mul_i32 s22, s22, s2
	s_add_i32 s0, s23, s21
	s_mul_i32 s0, s0, s1
	s_add_i32 s1, s24, s22
	s_add_i32 s0, s1, s0
	s_mulk_i32 s0, 0x70
	v_add_u32_e32 v1, s0, v0
	v_ashrrev_i32_e32 v2, 31, v1
	v_lshlrev_b64 v[1:2], 2, v[1:2]
	v_mov_b32_e32 v3, s17
	v_add_co_u32_e32 v1, vcc, s16, v1
	v_addc_co_u32_e32 v2, vcc, v3, v2, vcc
	global_load_dword v3, v[1:2], off
	s_add_i32 s0, s7, s6
	v_cvt_f32_u32_e32 v4, s9
	s_lshl_b32 s0, s0, 3
	s_add_i32 s0, s0, s8
	s_ashr_i32 s1, s0, 31
	s_lshl_b64 s[0:1], s[0:1], 3
	v_rcp_iflag_f32_e32 v4, v4
	s_add_u32 s0, s18, s0
	s_addc_u32 s1, s19, s1
	s_load_dwordx2 s[0:1], s[0:1], 0x0
	v_mul_f32_e32 v4, 0x4f7ffffe, v4
	v_cvt_u32_f32_e32 v4, v4
	s_mulk_i32 s5, 0x70
	s_add_i32 s25, s6, -1
	v_add_u32_e32 v0, s5, v0
	s_add_i32 s2, s9, s7
	s_waitcnt lgkmcnt(0)
	v_mov_b32_e32 v6, s1
	v_mov_b32_e32 v7, s0
	s_mov_b32 s21, 0x3fb8aa3b
	s_mov_b32 s22, 0xc2ce8ed0
	;; [unrolled: 1-line block ×4, first 2 shown]
	v_mov_b32_e32 v5, 0x7f800000
	s_mul_hi_i32 s5, s25, s3
	s_cmp_lg_u64 s[4:5], 0
	s_mul_i32 s16, s25, s3
	s_cbranch_scc0 .LBB16_19
.LBB16_9:
	s_add_u32 s0, s9, 0
	s_addc_u32 s1, 0, 0
	s_xor_b64 s[0:1], s[0:1], 0
	v_cvt_f32_u32_e32 v8, s0
	v_cvt_f32_u32_e32 v9, s1
	s_sub_u32 s17, 0, s0
	s_subb_u32 s26, 0, s1
	v_mac_f32_e32 v8, 0x4f800000, v9
	v_rcp_f32_e32 v8, v8
	v_mul_f32_e32 v8, 0x5f7ffffc, v8
	v_mul_f32_e32 v9, 0x2f800000, v8
	v_trunc_f32_e32 v9, v9
	v_mac_f32_e32 v8, 0xcf800000, v9
	v_cvt_u32_f32_e32 v9, v9
	v_cvt_u32_f32_e32 v8, v8
	v_readfirstlane_b32 s27, v9
	v_readfirstlane_b32 s6, v8
	s_mul_i32 s7, s17, s27
	s_mul_hi_u32 s29, s17, s6
	s_mul_i32 s28, s26, s6
	s_add_i32 s7, s29, s7
	s_mul_i32 s30, s17, s6
	s_add_i32 s7, s7, s28
	s_mul_i32 s29, s6, s7
	s_mul_hi_u32 s31, s6, s30
	s_mul_hi_u32 s28, s6, s7
	s_add_u32 s29, s31, s29
	s_addc_u32 s28, 0, s28
	s_mul_hi_u32 s33, s27, s30
	s_mul_i32 s30, s27, s30
	s_add_u32 s29, s29, s30
	s_mul_hi_u32 s31, s27, s7
	s_addc_u32 s28, s28, s33
	s_addc_u32 s29, s31, 0
	s_mul_i32 s7, s27, s7
	s_add_u32 s7, s28, s7
	s_addc_u32 s28, 0, s29
	s_add_u32 s29, s6, s7
	s_cselect_b64 s[6:7], -1, 0
	s_cmp_lg_u64 s[6:7], 0
	s_addc_u32 s27, s27, s28
	s_mul_i32 s6, s17, s27
	s_mul_hi_u32 s7, s17, s29
	s_add_i32 s6, s7, s6
	s_mul_i32 s26, s26, s29
	s_add_i32 s6, s6, s26
	s_mul_i32 s17, s17, s29
	s_mul_hi_u32 s26, s27, s17
	s_mul_i32 s28, s27, s17
	s_mul_i32 s31, s29, s6
	s_mul_hi_u32 s17, s29, s17
	s_mul_hi_u32 s30, s29, s6
	s_add_u32 s17, s17, s31
	s_addc_u32 s30, 0, s30
	s_add_u32 s17, s17, s28
	s_mul_hi_u32 s7, s27, s6
	s_addc_u32 s17, s30, s26
	s_addc_u32 s7, s7, 0
	s_mul_i32 s6, s27, s6
	s_add_u32 s6, s17, s6
	s_addc_u32 s17, 0, s7
	s_add_u32 s28, s29, s6
	s_cselect_b64 s[6:7], -1, 0
	s_cmp_lg_u64 s[6:7], 0
	s_addc_u32 s17, s27, s17
	s_ashr_i32 s6, s5, 31
	s_add_u32 s26, s16, s6
	s_mov_b32 s7, s6
	s_addc_u32 s27, s5, s6
	s_xor_b64 s[26:27], s[26:27], s[6:7]
	s_mul_i32 s29, s26, s17
	s_mul_hi_u32 s30, s26, s28
	s_mul_hi_u32 s5, s26, s17
	s_add_u32 s29, s30, s29
	s_addc_u32 s5, 0, s5
	s_mul_hi_u32 s31, s27, s28
	s_mul_i32 s28, s27, s28
	s_add_u32 s28, s29, s28
	s_mul_hi_u32 s30, s27, s17
	s_addc_u32 s5, s5, s31
	s_addc_u32 s28, s30, 0
	s_mul_i32 s17, s27, s17
	s_add_u32 s5, s5, s17
	s_addc_u32 s17, 0, s28
	s_mul_i32 s28, s0, s17
	s_mul_hi_u32 s29, s0, s5
	s_add_i32 s28, s29, s28
	s_mul_i32 s29, s1, s5
	s_add_i32 s33, s28, s29
	s_sub_i32 s30, s27, s33
	s_mul_i32 s28, s0, s5
	s_sub_u32 s26, s26, s28
	s_cselect_b64 s[28:29], -1, 0
	s_cmp_lg_u64 s[28:29], 0
	s_subb_u32 s34, s30, s1
	s_sub_u32 s35, s26, s0
	s_cselect_b64 s[30:31], -1, 0
	s_cmp_lg_u64 s[30:31], 0
	s_subb_u32 s30, s34, 0
	s_cmp_ge_u32 s30, s1
	s_cselect_b32 s31, -1, 0
	s_cmp_ge_u32 s35, s0
	s_cselect_b32 s34, -1, 0
	s_cmp_eq_u32 s30, s1
	s_cselect_b32 s30, s34, s31
	s_add_u32 s31, s5, 1
	s_addc_u32 s34, s17, 0
	s_add_u32 s35, s5, 2
	s_addc_u32 s36, s17, 0
	s_cmp_lg_u32 s30, 0
	s_cselect_b32 s30, s35, s31
	s_cselect_b32 s31, s36, s34
	s_cmp_lg_u64 s[28:29], 0
	s_subb_u32 s27, s27, s33
	s_cmp_ge_u32 s27, s1
	s_cselect_b32 s28, -1, 0
	s_cmp_ge_u32 s26, s0
	s_cselect_b32 s0, -1, 0
	s_cmp_eq_u32 s27, s1
	s_cselect_b32 s0, s0, s28
	s_cmp_lg_u32 s0, 0
	s_cselect_b32 s1, s31, s17
	s_cselect_b32 s0, s30, s5
	s_xor_b64 s[6:7], s[6:7], 0
	s_xor_b64 s[0:1], s[0:1], s[6:7]
	s_sub_u32 s6, s0, s6
	s_cbranch_execnz .LBB16_11
.LBB16_10:
	s_sub_i32 s0, 0, s9
	v_readfirstlane_b32 s1, v4
	s_mul_i32 s0, s0, s1
	s_mul_hi_u32 s0, s1, s0
	s_add_i32 s1, s1, s0
	s_mul_hi_u32 s0, s16, s1
	s_mul_i32 s5, s0, s9
	s_sub_i32 s5, s16, s5
	s_add_i32 s1, s0, 1
	s_sub_i32 s6, s5, s9
	s_cmp_ge_u32 s5, s9
	s_cselect_b32 s0, s1, s0
	s_cselect_b32 s5, s6, s5
	s_add_i32 s1, s0, 1
	s_cmp_ge_u32 s5, s9
	s_cselect_b32 s6, s1, s0
.LBB16_11:
	s_cmp_lg_u32 s10, s6
	s_mov_b64 s[16:17], -1
                                        ; implicit-def: $sgpr0_sgpr1
                                        ; implicit-def: $vgpr10
                                        ; implicit-def: $vgpr8
                                        ; implicit-def: $vgpr9
                                        ; implicit-def: $sgpr5
                                        ; implicit-def: $sgpr7
	s_cbranch_scc1 .LBB16_14
; %bb.12:
	s_andn2_b64 vcc, exec, s[16:17]
	s_cbranch_vccz .LBB16_17
.LBB16_13:
	s_andn2_b64 vcc, exec, s[0:1]
	s_cbranch_vccnz .LBB16_18
	s_branch .LBB16_22
.LBB16_14:
	s_add_i32 s0, s2, s25
	s_lshl_b32 s0, s0, 3
	s_add_i32 s0, s0, s8
	s_mov_b32 s1, s4
	s_lshl_b64 s[0:1], s[0:1], 3
	s_add_u32 s16, s18, s0
	s_mul_hi_u32 s0, s6, s12
	s_addc_u32 s17, s19, s1
	s_add_i32 s0, s0, s6
	s_lshr_b32 s5, s0, s13
	s_mul_i32 s0, s5, s14
	s_cmp_eq_u32 s0, s6
	s_cselect_b64 s[0:1], -1, 0
	s_cmp_lt_u32 s5, s11
	s_cselect_b64 s[26:27], -1, 0
	s_or_b64 s[26:27], s[26:27], s[0:1]
	s_mov_b64 s[0:1], -1
	s_and_b64 vcc, exec, s[26:27]
	s_mov_b32 s5, s25
	s_mov_b32 s7, s10
	s_cbranch_vccnz .LBB16_16
; %bb.15:
	s_add_i32 s5, s25, -1
	s_mov_b64 s[0:1], 0
	s_mov_b32 s7, s6
.LBB16_16:
	s_mul_i32 s6, s25, 0x380
	v_add_u32_e32 v8, s6, v0
	v_ashrrev_i32_e32 v9, 31, v8
	v_lshlrev_b64 v[8:9], 2, v[8:9]
	v_mov_b32_e32 v10, s20
	v_add_co_u32_e32 v8, vcc, s15, v8
	v_addc_co_u32_e32 v9, vcc, v10, v9, vcc
	global_load_dword v10, v[8:9], off
	s_load_dwordx2 s[16:17], s[16:17], 0x0
	v_max_f32_e32 v8, v7, v7
	s_waitcnt lgkmcnt(0)
	v_max_f32_e64 v9, s16, s16
	v_max_f32_e32 v8, v8, v9
	v_sub_f32_e32 v9, v7, v8
	v_sub_f32_e32 v11, s16, v8
	v_mul_f32_e32 v12, 0x3fb8aa3b, v9
	v_mul_f32_e32 v13, 0x3fb8aa3b, v11
	v_fma_f32 v14, v9, s21, -v12
	v_rndne_f32_e32 v15, v12
	v_fma_f32 v16, v11, s21, -v13
	v_rndne_f32_e32 v17, v13
	v_fmac_f32_e32 v14, 0x32a5705f, v9
	v_sub_f32_e32 v12, v12, v15
	v_fmac_f32_e32 v16, 0x32a5705f, v11
	v_sub_f32_e32 v13, v13, v17
	v_add_f32_e32 v12, v12, v14
	v_cvt_i32_f32_e32 v15, v15
	v_add_f32_e32 v13, v13, v16
	v_exp_f32_e32 v12, v12
	v_cvt_i32_f32_e32 v17, v17
	v_exp_f32_e32 v13, v13
	v_cmp_ngt_f32_e32 vcc, s22, v9
	v_ldexp_f32 v12, v12, v15
	v_cndmask_b32_e32 v12, 0, v12, vcc
	v_ldexp_f32 v13, v13, v17
	v_cmp_ngt_f32_e32 vcc, s22, v11
	v_cndmask_b32_e32 v13, 0, v13, vcc
	v_cmp_nlt_f32_e32 vcc, s23, v9
	v_cndmask_b32_e32 v12, v5, v12, vcc
	v_cmp_nlt_f32_e32 vcc, s23, v11
	v_cndmask_b32_e32 v13, v5, v13, vcc
	v_cmp_le_f32_e32 vcc, s24, v9
	v_cndmask_b32_e32 v12, 0, v12, vcc
	v_cmp_le_f32_e32 vcc, s24, v11
	v_cndmask_b32_e32 v11, 0, v13, vcc
	v_mul_f32_e32 v9, s17, v11
	v_fmac_f32_e32 v9, v6, v12
	s_waitcnt vmcnt(0)
	v_mul_f32_e32 v10, v10, v11
	v_fmac_f32_e32 v10, v3, v12
	s_cbranch_execnz .LBB16_13
.LBB16_17:
	s_add_i32 s5, s25, -1
	s_mov_b32 s7, s10
	v_mov_b32_e32 v9, v6
	v_mov_b32_e32 v8, v7
	s_waitcnt vmcnt(0)
	v_mov_b32_e32 v10, v3
	s_cbranch_execz .LBB16_22
.LBB16_18:
	s_mov_b32 s10, s7
	s_mov_b32 s25, s5
	v_mov_b32_e32 v6, v9
	v_mov_b32_e32 v7, v8
	s_waitcnt vmcnt(0)
	v_mov_b32_e32 v3, v10
	s_mul_hi_i32 s5, s25, s3
	s_cmp_lg_u64 s[4:5], 0
	s_mul_i32 s16, s25, s3
	s_cbranch_scc1 .LBB16_9
.LBB16_19:
                                        ; implicit-def: $sgpr6_sgpr7
	s_branch .LBB16_10
.LBB16_20:
                                        ; implicit-def: $sgpr10_sgpr11
	s_load_dwordx4 s[12:15], s[4:5], 0x44
	s_branch .LBB16_2
.LBB16_21:
                                        ; implicit-def: $sgpr18_sgpr19
	s_branch .LBB16_5
.LBB16_22:
	v_div_scale_f32 v0, s[0:1], v9, v9, v10
	s_waitcnt vmcnt(0)
	v_div_scale_f32 v3, vcc, v10, v9, v10
	v_rcp_f32_e32 v4, v0
	v_fma_f32 v5, -v0, v4, 1.0
	v_fmac_f32_e32 v4, v5, v4
	v_mul_f32_e32 v5, v3, v4
	v_fma_f32 v6, -v0, v5, v3
	v_fmac_f32_e32 v5, v6, v4
	v_fma_f32 v0, -v0, v5, v3
	v_div_fmas_f32 v0, v0, v4, v5
	v_div_fixup_f32 v0, v0, v9, v10
	global_store_dword v[1:2], v0, off
.LBB16_23:
	s_endpgm
	.section	.rodata,"a",@progbits
	.p2align	6, 0x0
	.amdhsa_kernel _ZL33flash_attn_stream_k_fixup_generalILi112ELi1ELi8EEvPfPK15HIP_vector_typeIfLj2EEiiiiS1_IjLj3EES5_S5_S5_
		.amdhsa_group_segment_fixed_size 0
		.amdhsa_private_segment_fixed_size 0
		.amdhsa_kernarg_size 336
		.amdhsa_user_sgpr_count 6
		.amdhsa_user_sgpr_private_segment_buffer 1
		.amdhsa_user_sgpr_dispatch_ptr 0
		.amdhsa_user_sgpr_queue_ptr 0
		.amdhsa_user_sgpr_kernarg_segment_ptr 1
		.amdhsa_user_sgpr_dispatch_id 0
		.amdhsa_user_sgpr_flat_scratch_init 0
		.amdhsa_user_sgpr_private_segment_size 0
		.amdhsa_uses_dynamic_stack 0
		.amdhsa_system_sgpr_private_segment_wavefront_offset 0
		.amdhsa_system_sgpr_workgroup_id_x 1
		.amdhsa_system_sgpr_workgroup_id_y 1
		.amdhsa_system_sgpr_workgroup_id_z 1
		.amdhsa_system_sgpr_workgroup_info 0
		.amdhsa_system_vgpr_workitem_id 0
		.amdhsa_next_free_vgpr 18
		.amdhsa_next_free_sgpr 37
		.amdhsa_reserve_vcc 1
		.amdhsa_reserve_flat_scratch 0
		.amdhsa_float_round_mode_32 0
		.amdhsa_float_round_mode_16_64 0
		.amdhsa_float_denorm_mode_32 3
		.amdhsa_float_denorm_mode_16_64 3
		.amdhsa_dx10_clamp 1
		.amdhsa_ieee_mode 1
		.amdhsa_fp16_overflow 0
		.amdhsa_exception_fp_ieee_invalid_op 0
		.amdhsa_exception_fp_denorm_src 0
		.amdhsa_exception_fp_ieee_div_zero 0
		.amdhsa_exception_fp_ieee_overflow 0
		.amdhsa_exception_fp_ieee_underflow 0
		.amdhsa_exception_fp_ieee_inexact 0
		.amdhsa_exception_int_div_zero 0
	.end_amdhsa_kernel
	.section	.text._ZL33flash_attn_stream_k_fixup_generalILi112ELi1ELi8EEvPfPK15HIP_vector_typeIfLj2EEiiiiS1_IjLj3EES5_S5_S5_,"axG",@progbits,_ZL33flash_attn_stream_k_fixup_generalILi112ELi1ELi8EEvPfPK15HIP_vector_typeIfLj2EEiiiiS1_IjLj3EES5_S5_S5_,comdat
.Lfunc_end16:
	.size	_ZL33flash_attn_stream_k_fixup_generalILi112ELi1ELi8EEvPfPK15HIP_vector_typeIfLj2EEiiiiS1_IjLj3EES5_S5_S5_, .Lfunc_end16-_ZL33flash_attn_stream_k_fixup_generalILi112ELi1ELi8EEvPfPK15HIP_vector_typeIfLj2EEiiiiS1_IjLj3EES5_S5_S5_
                                        ; -- End function
	.set _ZL33flash_attn_stream_k_fixup_generalILi112ELi1ELi8EEvPfPK15HIP_vector_typeIfLj2EEiiiiS1_IjLj3EES5_S5_S5_.num_vgpr, 18
	.set _ZL33flash_attn_stream_k_fixup_generalILi112ELi1ELi8EEvPfPK15HIP_vector_typeIfLj2EEiiiiS1_IjLj3EES5_S5_S5_.num_agpr, 0
	.set _ZL33flash_attn_stream_k_fixup_generalILi112ELi1ELi8EEvPfPK15HIP_vector_typeIfLj2EEiiiiS1_IjLj3EES5_S5_S5_.numbered_sgpr, 37
	.set _ZL33flash_attn_stream_k_fixup_generalILi112ELi1ELi8EEvPfPK15HIP_vector_typeIfLj2EEiiiiS1_IjLj3EES5_S5_S5_.num_named_barrier, 0
	.set _ZL33flash_attn_stream_k_fixup_generalILi112ELi1ELi8EEvPfPK15HIP_vector_typeIfLj2EEiiiiS1_IjLj3EES5_S5_S5_.private_seg_size, 0
	.set _ZL33flash_attn_stream_k_fixup_generalILi112ELi1ELi8EEvPfPK15HIP_vector_typeIfLj2EEiiiiS1_IjLj3EES5_S5_S5_.uses_vcc, 1
	.set _ZL33flash_attn_stream_k_fixup_generalILi112ELi1ELi8EEvPfPK15HIP_vector_typeIfLj2EEiiiiS1_IjLj3EES5_S5_S5_.uses_flat_scratch, 0
	.set _ZL33flash_attn_stream_k_fixup_generalILi112ELi1ELi8EEvPfPK15HIP_vector_typeIfLj2EEiiiiS1_IjLj3EES5_S5_S5_.has_dyn_sized_stack, 0
	.set _ZL33flash_attn_stream_k_fixup_generalILi112ELi1ELi8EEvPfPK15HIP_vector_typeIfLj2EEiiiiS1_IjLj3EES5_S5_S5_.has_recursion, 0
	.set _ZL33flash_attn_stream_k_fixup_generalILi112ELi1ELi8EEvPfPK15HIP_vector_typeIfLj2EEiiiiS1_IjLj3EES5_S5_S5_.has_indirect_call, 0
	.section	.AMDGPU.csdata,"",@progbits
; Kernel info:
; codeLenInByte = 2932
; TotalNumSgprs: 41
; NumVgprs: 18
; ScratchSize: 0
; MemoryBound: 0
; FloatMode: 240
; IeeeMode: 1
; LDSByteSize: 0 bytes/workgroup (compile time only)
; SGPRBlocks: 5
; VGPRBlocks: 4
; NumSGPRsForWavesPerEU: 41
; NumVGPRsForWavesPerEU: 18
; Occupancy: 10
; WaveLimiterHint : 0
; COMPUTE_PGM_RSRC2:SCRATCH_EN: 0
; COMPUTE_PGM_RSRC2:USER_SGPR: 6
; COMPUTE_PGM_RSRC2:TRAP_HANDLER: 0
; COMPUTE_PGM_RSRC2:TGID_X_EN: 1
; COMPUTE_PGM_RSRC2:TGID_Y_EN: 1
; COMPUTE_PGM_RSRC2:TGID_Z_EN: 1
; COMPUTE_PGM_RSRC2:TIDIG_COMP_CNT: 0
	.section	.text._ZL15flash_attn_tileILi112ELi112ELi16ELi4ELb0EEvPKcS1_S1_S1_S1_PKiPfP15HIP_vector_typeIfLj2EEffffjfiS5_IjLj3EEiiiiiiiiiiiliiliiiiil,"axG",@progbits,_ZL15flash_attn_tileILi112ELi112ELi16ELi4ELb0EEvPKcS1_S1_S1_S1_PKiPfP15HIP_vector_typeIfLj2EEffffjfiS5_IjLj3EEiiiiiiiiiiiliiliiiiil,comdat
	.globl	_ZL15flash_attn_tileILi112ELi112ELi16ELi4ELb0EEvPKcS1_S1_S1_S1_PKiPfP15HIP_vector_typeIfLj2EEffffjfiS5_IjLj3EEiiiiiiiiiiiliiliiiiil ; -- Begin function _ZL15flash_attn_tileILi112ELi112ELi16ELi4ELb0EEvPKcS1_S1_S1_S1_PKiPfP15HIP_vector_typeIfLj2EEffffjfiS5_IjLj3EEiiiiiiiiiiiliiliiiiil
	.p2align	8
	.type	_ZL15flash_attn_tileILi112ELi112ELi16ELi4ELb0EEvPKcS1_S1_S1_S1_PKiPfP15HIP_vector_typeIfLj2EEffffjfiS5_IjLj3EEiiiiiiiiiiiliiliiiiil,@function
_ZL15flash_attn_tileILi112ELi112ELi16ELi4ELb0EEvPKcS1_S1_S1_S1_PKiPfP15HIP_vector_typeIfLj2EEffffjfiS5_IjLj3EEiiiiiiiiiiiliiliiiiil: ; @_ZL15flash_attn_tileILi112ELi112ELi16ELi4ELb0EEvPKcS1_S1_S1_S1_PKiPfP15HIP_vector_typeIfLj2EEffffjfiS5_IjLj3EEiiiiiiiiiiiliiliiiiil
; %bb.0:
	s_mov_b64 s[86:87], s[2:3]
	s_mov_b64 s[84:85], s[0:1]
	s_add_u32 s84, s84, s9
	s_addc_u32 s85, s85, 0
	buffer_store_dword v0, off, s[84:87], 0 offset:176 ; 4-byte Folded Spill
	s_load_dwordx4 s[60:63], s[4:5], 0x5c
	s_load_dwordx2 s[66:67], s[4:5], 0x80
	s_load_dwordx16 s[44:59], s[4:5], 0x0
	v_mov_b32_e32 v3, v1
	s_mov_b64 s[68:69], 0
	s_waitcnt lgkmcnt(0)
	s_ashr_i32 s0, s63, 31
	s_lshr_b32 s0, s0, 30
	s_add_i32 s0, s63, s0
	s_ashr_i32 s0, s0, 2
	v_cvt_f32_u32_e32 v0, s0
	s_sub_i32 s1, 0, s0
	v_rcp_iflag_f32_e32 v0, v0
	v_mul_f32_e32 v0, 0x4f7ffffe, v0
	v_cvt_u32_f32_e32 v0, v0
	v_readfirstlane_b32 s2, v0
	s_mul_i32 s1, s1, s2
	s_mul_hi_u32 s1, s2, s1
	s_add_i32 s2, s2, s1
	s_mul_hi_u32 s1, s8, s2
	s_mul_i32 s2, s1, s0
	s_sub_i32 s2, s8, s2
	s_add_i32 s3, s1, 1
	s_sub_i32 s9, s2, s0
	s_cmp_ge_u32 s2, s0
	s_cselect_b32 s1, s3, s1
	s_cselect_b32 s2, s9, s2
	s_add_i32 s3, s1, 1
	s_cmp_ge_u32 s2, s0
	s_cselect_b32 s70, s3, s1
	s_abs_i32 s0, s67
	v_cvt_f32_u32_e32 v0, s0
	s_lshl_b32 s1, s8, 2
	s_mul_i32 s8, s70, s63
	s_sub_i32 s9, 0, s0
	v_rcp_iflag_f32_e32 v0, v0
	s_sub_i32 s64, s1, s8
	s_abs_i32 s3, s63
	s_xor_b32 s2, s63, s67
	v_mul_f32_e32 v0, 0x4f7ffffe, v0
	v_cvt_u32_f32_e32 v0, v0
	s_ashr_i32 s2, s2, 31
	v_readfirstlane_b32 s1, v0
	s_mul_i32 s9, s9, s1
	s_mul_hi_u32 s8, s1, s9
	s_add_i32 s1, s1, s8
	s_mul_hi_u32 s1, s3, s1
	s_mul_i32 s8, s1, s0
	s_sub_i32 s3, s3, s8
	s_add_i32 s9, s1, 1
	s_sub_i32 s8, s3, s0
	s_cmp_ge_u32 s3, s0
	s_cselect_b32 s1, s9, s1
	s_cselect_b32 s3, s8, s3
	s_add_i32 s8, s1, 1
	s_cmp_ge_u32 s3, s0
	s_cselect_b32 s0, s8, s1
	s_xor_b32 s0, s0, s2
	s_sub_i32 s15, s0, s2
	s_abs_i32 s14, s15
	v_cvt_f32_u32_e32 v0, s14
	s_load_dwordx2 s[2:3], s[4:5], 0xb8
	s_cmp_eq_u64 s[50:51], 0
	v_rcp_iflag_f32_e32 v0, v0
	v_mul_f32_e32 v0, 0x4f7ffffe, v0
	v_cvt_u32_f32_e32 v0, v0
	v_readfirstlane_b32 s16, v0
	s_cbranch_scc1 .LBB17_2
; %bb.1:
	s_waitcnt lgkmcnt(0)
	s_abs_i32 s2, s2
	v_cvt_f32_u32_e32 v0, s2
	s_sub_i32 s10, 0, s2
	s_abs_i32 s9, s70
	s_ashr_i32 s8, s70, 31
	v_rcp_iflag_f32_e32 v0, v0
	s_load_dwordx2 s[0:1], s[4:5], 0xc8
	v_mul_f32_e32 v0, 0x4f7ffffe, v0
	v_cvt_u32_f32_e32 v0, v0
	v_readfirstlane_b32 s11, v0
	s_mul_i32 s10, s10, s11
	s_mul_hi_u32 s10, s11, s10
	s_add_i32 s11, s11, s10
	s_mul_hi_u32 s10, s9, s11
	s_mul_i32 s10, s10, s2
	s_sub_i32 s9, s9, s10
	s_sub_i32 s10, s9, s2
	s_cmp_ge_u32 s9, s2
	s_cselect_b32 s9, s10, s9
	s_sub_i32 s10, s9, s2
	s_cmp_ge_u32 s9, s2
	s_cselect_b32 s2, s10, s9
	s_xor_b32 s2, s2, s8
	s_sub_i32 s2, s2, s8
	s_ashr_i32 s8, s2, 31
	s_waitcnt lgkmcnt(0)
	s_mul_hi_u32 s9, s0, s2
	s_mul_i32 s8, s0, s8
	s_mul_i32 s1, s1, s2
	s_add_i32 s8, s9, s8
	s_add_i32 s8, s8, s1
	s_mul_i32 s0, s0, s2
	s_add_u32 s68, s50, s0
	s_addc_u32 s69, s51, s8
.LBB17_2:
	s_load_dwordx4 s[8:11], s[4:5], 0x70
	s_waitcnt lgkmcnt(0)
	s_load_dword s2, s[4:5], 0x40
	buffer_load_dword v0, off, s[84:87], 0 offset:176 ; 4-byte Folded Reload
	s_lshl_b32 s33, s6, 4
	s_mul_i32 s0, s70, s10
	s_ashr_i32 s10, s0, 31
	s_mul_i32 s1, s64, s9
	s_add_u32 s0, s44, s0
	s_addc_u32 s10, s45, s10
	s_ashr_i32 s11, s1, 31
	s_add_u32 s17, s0, s1
	s_addc_u32 s18, s10, s11
	s_ashr_i32 s11, s9, 31
	s_mov_b32 s10, s9
	s_lshr_b64 s[10:11], s[10:11], 2
	s_ashr_i32 s9, s8, 31
	s_lshr_b64 s[8:9], s[8:9], 2
	s_mul_i32 s20, s11, 12
	s_mul_hi_u32 s21, s10, 12
	s_mul_i32 s19, s10, 12
	s_waitcnt vmcnt(0)
	v_lshlrev_b32_e32 v2, 2, v0
	v_cmp_gt_u32_e64 s[0:1], 28, v0
	v_lshlrev_b32_e32 v0, 3, v0
	v_mov_b32_e32 v1, v2
	buffer_store_dword v0, off, s[84:87], 0 offset:172 ; 4-byte Folded Spill
	buffer_store_dword v1, off, s[84:87], 0 offset:304 ; 4-byte Folded Spill
	s_nop 0
	buffer_store_dword v2, off, s[84:87], 0 offset:308 ; 4-byte Folded Spill
	v_lshl_add_u32 v0, v3, 1, s33
	v_lshlrev_b32_e32 v1, 2, v2
	s_mov_b64 s[12:13], exec
	s_and_b64 s[22:23], s[12:13], s[0:1]
	buffer_store_dword v3, off, s[84:87], 0 offset:300 ; 4-byte Folded Spill
	s_mov_b64 exec, s[22:23]
	s_cbranch_execz .LBB17_4
; %bb.3:
	v_mul_hi_u32 v2, v0, s60
	v_mov_b32_e32 v5, s18
	v_add_u32_e32 v2, v0, v2
	v_lshrrev_b32_e32 v2, s61, v2
	v_mul_lo_u32 v2, v2, s62
	v_sub_u32_e32 v4, v0, v2
	v_mad_u64_u32 v[2:3], s[22:23], s8, v4, 0
	s_lshl_b64 s[22:23], s[10:11], 2
	s_add_u32 s22, s17, s22
	v_mad_u64_u32 v[3:4], s[24:25], s9, v4, v[3:4]
	s_addc_u32 s23, s18, s23
	v_mov_b32_e32 v4, s23
	v_lshlrev_b64 v[14:15], 2, v[2:3]
	v_add_co_u32_e32 v2, vcc, s17, v14
	v_addc_co_u32_e32 v3, vcc, v5, v15, vcc
	v_add_co_u32_e32 v10, vcc, v2, v1
	v_addc_co_u32_e32 v11, vcc, 0, v3, vcc
	;; [unrolled: 2-line block ×3, first 2 shown]
	s_lshl_b64 s[22:23], s[10:11], 3
	v_add_co_u32_e32 v12, vcc, v2, v1
	s_add_u32 s22, s17, s22
	v_addc_co_u32_e32 v13, vcc, 0, v3, vcc
	s_addc_u32 s23, s18, s23
	global_load_dwordx4 v[2:5], v[10:11], off
	global_load_dwordx4 v[6:9], v[12:13], off
	v_mov_b32_e32 v10, s23
	v_add_co_u32_e32 v11, vcc, s22, v14
	v_addc_co_u32_e32 v12, vcc, v10, v15, vcc
	s_add_i32 s22, s21, s20
	v_add_co_u32_e32 v10, vcc, v11, v1
	s_add_u32 s23, s17, s19
	v_addc_co_u32_e32 v11, vcc, 0, v12, vcc
	s_addc_u32 s22, s18, s22
	v_mov_b32_e32 v16, s22
	v_add_co_u32_e32 v14, vcc, s23, v14
	v_addc_co_u32_e32 v15, vcc, v16, v15, vcc
	v_add_co_u32_e32 v14, vcc, v14, v1
	v_addc_co_u32_e32 v15, vcc, 0, v15, vcc
	global_load_dwordx4 v[10:13], v[10:11], off
	s_movk_i32 s22, 0x700
	global_load_dwordx4 v[14:17], v[14:15], off
	s_nop 0
	buffer_load_dword v18, off, s[84:87], 0 offset:300 ; 4-byte Folded Reload
	buffer_load_dword v19, off, s[84:87], 0 offset:172 ; 4-byte Folded Reload
	s_waitcnt vmcnt(5) lgkmcnt(0)
	v_fma_mixlo_f16 v2, s2, v2, 0
	v_fma_mixlo_f16 v3, s2, v3, 0
	;; [unrolled: 1-line block ×4, first 2 shown]
	s_waitcnt vmcnt(4)
	v_fma_mixlo_f16 v6, s2, v6, 0
	v_fma_mixlo_f16 v7, s2, v7, 0
	v_fma_mixlo_f16 v8, s2, v8, 0
	v_fma_mixlo_f16 v9, s2, v9, 0
	v_lshlrev_b32_e32 v3, 16, v3
	v_and_b32_e32 v2, 0xffff, v2
	v_lshlrev_b32_e32 v5, 16, v5
	v_and_b32_e32 v4, 0xffff, v4
	;; [unrolled: 2-line block ×4, first 2 shown]
	v_or_b32_e32 v2, v3, v2
	v_or3_b32 v3, v5, v4, 0
	v_or_b32_e32 v4, v7, v6
	v_or3_b32 v5, v9, v8, 0
	v_or3_b32 v2, 0, 0, v2
	v_or3_b32 v4, 0, 0, v4
	s_waitcnt vmcnt(3)
	v_fma_mixlo_f16 v10, s2, v10, 0
	v_fma_mixlo_f16 v11, s2, v11, 0
	s_waitcnt vmcnt(2)
	v_fma_mixlo_f16 v14, s2, v14, 0
	s_waitcnt vmcnt(0)
	v_mad_u32_u24 v18, v18, s22, v19
	ds_write2_b64 v18, v[2:3], v[4:5] offset1:28
	buffer_load_dword v3, off, s[84:87], 0 offset:300 ; 4-byte Folded Reload
	v_fma_mixlo_f16 v15, s2, v15, 0
	v_fma_mixlo_f16 v12, s2, v12, 0
	v_fma_mixlo_f16 v13, s2, v13, 0
	v_fma_mixlo_f16 v16, s2, v16, 0
	v_fma_mixlo_f16 v17, s2, v17, 0
	v_lshlrev_b32_e32 v11, 16, v11
	v_and_b32_e32 v10, 0xffff, v10
	v_lshlrev_b32_e32 v15, 16, v15
	v_and_b32_e32 v14, 0xffff, v14
	;; [unrolled: 2-line block ×4, first 2 shown]
	v_or_b32_e32 v6, v11, v10
	v_or_b32_e32 v8, v15, v14
	v_or3_b32 v7, v13, v12, 0
	v_or3_b32 v9, v17, v16, 0
	;; [unrolled: 1-line block ×4, first 2 shown]
	ds_write2_b64 v18, v[6:7], v[8:9] offset0:56 offset1:84
.LBB17_4:
	s_or_b64 exec, exec, s[12:13]
	s_waitcnt vmcnt(0)
	v_lshlrev_b32_e32 v2, 3, v3
	v_or_b32_e32 v3, 4, v2
	v_lshrrev_b32_e32 v4, 2, v3
	buffer_store_dword v4, off, s[84:87], 0 offset:312 ; 4-byte Folded Spill
	s_and_saveexec_b64 s[12:13], s[0:1]
	s_cbranch_execz .LBB17_6
; %bb.5:
	v_lshrrev_b32_e32 v4, 2, v3
	v_add_u32_e32 v4, s33, v4
	v_mul_hi_u32 v5, v4, s60
	buffer_load_dword v8, off, s[84:87], 0 offset:172 ; 4-byte Folded Reload
	v_add_u32_e32 v5, v4, v5
	v_lshrrev_b32_e32 v5, s61, v5
	v_mul_lo_u32 v5, v5, s62
	v_sub_u32_e32 v6, v4, v5
	v_mad_u64_u32 v[4:5], s[22:23], s8, v6, 0
	v_mad_u64_u32 v[5:6], s[22:23], s9, v6, v[5:6]
	v_mov_b32_e32 v6, s18
	s_movk_i32 s22, 0xe0
	v_lshlrev_b64 v[4:5], 2, v[4:5]
	v_add_co_u32_e32 v4, vcc, s17, v4
	v_addc_co_u32_e32 v5, vcc, v6, v5, vcc
	v_add_co_u32_e32 v4, vcc, v4, v1
	v_addc_co_u32_e32 v5, vcc, 0, v5, vcc
	global_load_dwordx4 v[4:7], v[4:5], off
	s_waitcnt vmcnt(1)
	v_mad_u32_u24 v8, v3, s22, v8
	s_waitcnt vmcnt(0) lgkmcnt(0)
	v_fma_mixlo_f16 v3, s2, v4, 0
	v_fma_mixlo_f16 v4, s2, v5, 0
	;; [unrolled: 1-line block ×4, first 2 shown]
	v_lshlrev_b32_e32 v4, 16, v4
	v_and_b32_e32 v3, 0xffff, v3
	v_lshlrev_b32_e32 v6, 16, v6
	v_and_b32_e32 v5, 0xffff, v5
	v_or_b32_e32 v3, v4, v3
	v_or3_b32 v4, v6, v5, 0
	v_or3_b32 v3, 0, 0, v3
	ds_write_b64 v8, v[3:4]
.LBB17_6:
	s_or_b64 exec, exec, s[12:13]
	v_or_b32_e32 v3, 5, v2
	buffer_store_dword v3, off, s[84:87], 0 offset:316 ; 4-byte Folded Spill
	s_and_saveexec_b64 s[12:13], s[0:1]
	s_cbranch_execz .LBB17_8
; %bb.7:
	v_or_b32_e32 v7, 5, v2
	v_lshrrev_b32_e32 v3, 2, v7
	v_add_u32_e32 v3, s33, v3
	v_mul_hi_u32 v4, v3, s60
	buffer_load_dword v8, off, s[84:87], 0 offset:172 ; 4-byte Folded Reload
	v_add_u32_e32 v4, v3, v4
	v_lshrrev_b32_e32 v4, s61, v4
	v_mul_lo_u32 v4, v4, s62
	v_sub_u32_e32 v5, v3, v4
	v_mad_u64_u32 v[3:4], s[22:23], s8, v5, 0
	s_lshl_b64 s[22:23], s[10:11], 2
	s_add_u32 s22, s17, s22
	v_mad_u64_u32 v[4:5], s[24:25], s9, v5, v[4:5]
	s_addc_u32 s23, s18, s23
	v_mov_b32_e32 v5, s23
	v_lshlrev_b64 v[3:4], 2, v[3:4]
	v_add_co_u32_e32 v3, vcc, s22, v3
	v_addc_co_u32_e32 v4, vcc, v5, v4, vcc
	v_add_co_u32_e32 v3, vcc, v3, v1
	v_addc_co_u32_e32 v4, vcc, 0, v4, vcc
	global_load_dwordx4 v[3:6], v[3:4], off
	s_movk_i32 s22, 0xe0
	s_waitcnt vmcnt(1)
	v_mad_u32_u24 v7, v7, s22, v8
	s_waitcnt vmcnt(0) lgkmcnt(0)
	v_fma_mixlo_f16 v3, s2, v3, 0
	v_fma_mixlo_f16 v4, s2, v4, 0
	v_fma_mixlo_f16 v5, s2, v5, 0
	v_fma_mixlo_f16 v6, s2, v6, 0
	v_lshlrev_b32_e32 v4, 16, v4
	v_and_b32_e32 v3, 0xffff, v3
	v_lshlrev_b32_e32 v6, 16, v6
	v_and_b32_e32 v5, 0xffff, v5
	v_or_b32_e32 v3, v4, v3
	v_or3_b32 v4, v6, v5, 0
	v_or3_b32 v3, 0, 0, v3
	ds_write_b64 v7, v[3:4]
.LBB17_8:
	s_or_b64 exec, exec, s[12:13]
	v_or_b32_e32 v3, 6, v2
	buffer_store_dword v3, off, s[84:87], 0 offset:320 ; 4-byte Folded Spill
	s_and_saveexec_b64 s[12:13], s[0:1]
	s_cbranch_execz .LBB17_10
; %bb.9:
	v_or_b32_e32 v7, 6, v2
	v_lshrrev_b32_e32 v3, 2, v7
	v_add_u32_e32 v3, s33, v3
	v_mul_hi_u32 v4, v3, s60
	s_lshl_b64 s[10:11], s[10:11], 3
	s_add_u32 s10, s17, s10
	s_addc_u32 s11, s18, s11
	v_add_u32_e32 v4, v3, v4
	v_lshrrev_b32_e32 v4, s61, v4
	v_mul_lo_u32 v4, v4, s62
	buffer_load_dword v8, off, s[84:87], 0 offset:172 ; 4-byte Folded Reload
	v_sub_u32_e32 v5, v3, v4
	v_mad_u64_u32 v[3:4], s[22:23], s8, v5, 0
	v_mad_u64_u32 v[4:5], s[22:23], s9, v5, v[4:5]
	v_mov_b32_e32 v5, s11
	v_lshlrev_b64 v[3:4], 2, v[3:4]
	v_add_co_u32_e32 v3, vcc, s10, v3
	v_addc_co_u32_e32 v4, vcc, v5, v4, vcc
	v_add_co_u32_e32 v3, vcc, v3, v1
	v_addc_co_u32_e32 v4, vcc, 0, v4, vcc
	global_load_dwordx4 v[3:6], v[3:4], off
	s_movk_i32 s10, 0xe0
	s_waitcnt vmcnt(1)
	v_mad_u32_u24 v7, v7, s10, v8
	s_waitcnt vmcnt(0) lgkmcnt(0)
	v_fma_mixlo_f16 v3, s2, v3, 0
	v_fma_mixlo_f16 v4, s2, v4, 0
	;; [unrolled: 1-line block ×4, first 2 shown]
	v_lshlrev_b32_e32 v4, 16, v4
	v_and_b32_e32 v3, 0xffff, v3
	v_lshlrev_b32_e32 v6, 16, v6
	v_and_b32_e32 v5, 0xffff, v5
	v_or_b32_e32 v3, v4, v3
	v_or3_b32 v4, v6, v5, 0
	v_or3_b32 v3, 0, 0, v3
	ds_write_b64 v7, v[3:4]
.LBB17_10:
	s_or_b64 exec, exec, s[12:13]
	v_or_b32_e32 v3, 7, v2
	buffer_store_dword v3, off, s[84:87], 0 offset:324 ; 4-byte Folded Spill
	s_and_saveexec_b64 s[10:11], s[0:1]
	s_cbranch_execz .LBB17_12
; %bb.11:
	v_or_b32_e32 v7, 7, v2
	v_lshrrev_b32_e32 v3, 2, v7
	v_add_u32_e32 v3, s33, v3
	v_mul_hi_u32 v4, v3, s60
	s_add_i32 s21, s21, s20
	v_add_u32_e32 v4, v3, v4
	v_lshrrev_b32_e32 v4, s61, v4
	v_mul_lo_u32 v4, v4, s62
	v_sub_u32_e32 v5, v3, v4
	v_mad_u64_u32 v[3:4], s[12:13], s8, v5, 0
	v_mad_u64_u32 v[4:5], s[8:9], s9, v5, v[4:5]
	s_add_u32 s8, s17, s19
	s_addc_u32 s9, s18, s21
	v_lshlrev_b64 v[3:4], 2, v[3:4]
	v_mov_b32_e32 v5, s9
	v_add_co_u32_e32 v3, vcc, s8, v3
	v_addc_co_u32_e32 v4, vcc, v5, v4, vcc
	v_add_co_u32_e32 v3, vcc, v3, v1
	v_addc_co_u32_e32 v4, vcc, 0, v4, vcc
	global_load_dwordx4 v[3:6], v[3:4], off
	s_movk_i32 s8, 0xe0
	buffer_load_dword v1, off, s[84:87], 0 offset:172 ; 4-byte Folded Reload
	s_waitcnt vmcnt(1) lgkmcnt(0)
	v_fma_mixlo_f16 v3, s2, v3, 0
	v_fma_mixlo_f16 v4, s2, v4, 0
	;; [unrolled: 1-line block ×4, first 2 shown]
	v_lshlrev_b32_e32 v4, 16, v4
	v_and_b32_e32 v3, 0xffff, v3
	v_lshlrev_b32_e32 v6, 16, v6
	v_and_b32_e32 v5, 0xffff, v5
	v_or_b32_e32 v3, v4, v3
	s_waitcnt vmcnt(0)
	v_mad_u32_u24 v1, v7, s8, v1
	v_or3_b32 v4, v6, v5, 0
	v_or3_b32 v3, 0, 0, v3
	ds_write_b64 v1, v[3:4]
.LBB17_12:
	s_or_b64 exec, exec, s[10:11]
	s_cmp_eq_u64 s[54:55], 0
	s_waitcnt vmcnt(0) lgkmcnt(0)
	s_barrier
	s_cbranch_scc1 .LBB17_14
; %bb.13:
	s_load_dword s2, s[4:5], 0xd0
	s_mov_b32 s9, 0
	s_waitcnt lgkmcnt(0)
	s_mul_i32 s2, s2, s70
	s_add_i32 s8, s2, s6
	s_lshl_b64 s[8:9], s[8:9], 2
	s_add_u32 s8, s54, s8
	s_addc_u32 s9, s55, s9
	s_load_dword s66, s[8:9], 0x0
.LBB17_14:
	s_lshl_b32 s6, s7, 5
	s_waitcnt lgkmcnt(0)
	s_cmp_lt_i32 s6, s66
	v_mbcnt_lo_u32_b32 v3, -1, 0
	s_cbranch_scc1 .LBB17_17
; %bb.15:
	v_mbcnt_hi_u32_b32 v4, -1, v3
	v_and_b32_e32 v1, 0x60, v4
	v_add_u32_e32 v1, 32, v1
	buffer_store_dword v1, off, s[84:87], 0 offset:184 ; 4-byte Folded Spill
	v_xor_b32_e32 v1, 16, v4
	buffer_store_dword v1, off, s[84:87], 0 offset:188 ; 4-byte Folded Spill
	v_xor_b32_e32 v1, 8, v4
	;; [unrolled: 2-line block ×4, first 2 shown]
	buffer_store_dword v1, off, s[84:87], 0 offset:200 ; 4-byte Folded Spill
	buffer_store_dword v4, off, s[84:87], 0 offset:180 ; 4-byte Folded Spill
	v_xor_b32_e32 v1, 1, v4
	buffer_store_dword v1, off, s[84:87], 0 offset:204 ; 4-byte Folded Spill
	s_cbranch_execz .LBB17_18
; %bb.16:
	v_mov_b32_e32 v68, 0
	v_mov_b32_e32 v101, 0
	v_mov_b32_e32 v47, 0xfeffffff
	v_mov_b32_e32 v46, 0xfeffffff
	v_mov_b32_e32 v45, 0xfeffffff
	v_mov_b32_e32 v44, 0xfeffffff
	v_mov_b32_e32 v43, 0xfeffffff
	v_mov_b32_e32 v42, 0xfeffffff
	v_mov_b32_e32 v41, 0xfeffffff
	v_mov_b32_e32 v40, 0xfeffffff
	v_mov_b32_e32 v102, 0
	v_mov_b32_e32 v99, 0
	v_mov_b32_e32 v100, 0
	v_mov_b32_e32 v125, 0
	v_mov_b32_e32 v127, 0
	v_mov_b32_e32 v126, 0
	v_mov_b32_e32 v124, 0
	v_mov_b32_e32 v69, 0
	v_mov_b32_e32 v66, 0
	v_mov_b32_e32 v67, 0
	v_mov_b32_e32 v64, 0
	v_mov_b32_e32 v65, 0
	v_mov_b32_e32 v62, 0
	v_mov_b32_e32 v63, 0
	v_mov_b32_e32 v60, 0
	v_mov_b32_e32 v61, 0
	v_mov_b32_e32 v58, 0
	v_mov_b32_e32 v59, 0
	v_mov_b32_e32 v56, 0
	v_mov_b32_e32 v57, 0
	v_mov_b32_e32 v55, 0
	v_mov_b32_e32 v54, 0
	s_branch .LBB17_46
.LBB17_17:
                                        ; implicit-def: $vgpr1
                                        ; kill: killed $vgpr1
                                        ; implicit-def: $vgpr1
                                        ; kill: killed $vgpr1
	;; [unrolled: 2-line block ×7, first 2 shown]
.LBB17_18:
	s_load_dwordx2 s[12:13], s[4:5], 0x8c
	s_load_dwordx4 s[8:11], s[4:5], 0x98
	buffer_load_dword v19, off, s[84:87], 0 offset:176 ; 4-byte Folded Reload
	buffer_load_dword v20, off, s[84:87], 0 offset:300 ; 4-byte Folded Reload
	s_sub_i32 s2, 0, s14
	s_mul_i32 s2, s2, s16
	s_waitcnt lgkmcnt(0)
	s_ashr_i32 s67, s12, 2
	s_ashr_i32 s65, s10, 2
	;; [unrolled: 1-line block ×4, first 2 shown]
	s_mul_hi_u32 s12, s8, s70
	s_mul_i32 s20, s8, s3
	s_mul_hi_u32 s2, s16, s2
	s_add_i32 s12, s12, s20
	s_mul_i32 s9, s9, s70
	s_abs_i32 s18, s64
	s_add_i32 s16, s16, s2
	s_ashr_i32 s19, s64, 31
	s_ashr_i32 s15, s15, 31
	s_add_i32 s12, s12, s9
	s_mul_i32 s8, s8, s70
	s_mul_hi_u32 s2, s18, s16
	s_add_u32 s8, s46, s8
	s_addc_u32 s9, s47, s12
	s_xor_b32 s12, s19, s15
	s_mul_i32 s15, s2, s14
	s_sub_i32 s15, s18, s15
	v_mul_hi_u32 v9, s60, v0
	s_add_i32 s18, s2, 1
	s_sub_i32 s19, s15, s14
	s_cmp_ge_u32 s15, s14
	s_cselect_b32 s2, s18, s2
	s_cselect_b32 s15, s19, s15
	s_add_i32 s18, s2, 1
	v_add_u32_e32 v10, 1, v0
	v_add_u32_e32 v9, v0, v9
	s_cmp_ge_u32 s15, s14
	v_mul_hi_u32 v14, s60, v10
	v_lshrrev_b32_e32 v9, s61, v9
	s_load_dwordx2 s[16:17], s[4:5], 0xa8
	s_cselect_b32 s2, s18, s2
	v_mul_lo_u32 v15, v9, s62
	s_xor_b32 s2, s2, s12
	s_sub_i32 s2, s2, s12
	s_mul_i32 s12, s2, s13
	v_add_u32_e32 v9, v10, v14
	s_ashr_i32 s13, s12, 31
	v_lshrrev_b32_e32 v9, s61, v9
	v_sub_u32_e32 v0, v0, v15
	s_add_u32 s71, s8, s12
	s_waitcnt lgkmcnt(0)
	s_mul_hi_u32 s8, s16, s70
	s_mul_i32 s3, s16, s3
	v_mul_lo_u32 v14, v9, s62
	v_mul_lo_u32 v0, v0, s10
	s_addc_u32 s72, s9, s13
	s_add_i32 s3, s8, s3
	s_mul_i32 s8, s17, s70
	s_add_i32 s3, s3, s8
	s_mul_i32 s8, s16, s70
	s_add_u32 s8, s48, s8
	s_mul_i32 s2, s2, s11
	s_addc_u32 s3, s49, s3
	s_ashr_i32 s9, s2, 31
	buffer_store_dword v0, off, s[84:87], 0 offset:220 ; 4-byte Folded Spill
	v_sub_u32_e32 v0, v10, v14
	v_mov_b32_e32 v10, 0x4840
	s_add_u32 s73, s8, s2
	s_addc_u32 s74, s3, s9
	v_mul_lo_u32 v0, v0, s10
	s_movk_i32 s15, 0x3880
	s_movk_i32 s14, 0x3800
	s_add_u32 s54, s4, 0xd0
	buffer_store_dword v0, off, s[84:87], 0 offset:224 ; 4-byte Folded Spill
	v_mov_b32_e32 v54, 0
	s_addc_u32 s55, s5, 0
	s_mov_b32 s75, 0x3fb8aa3b
	s_mov_b32 s76, 0xc2ce8ed0
	;; [unrolled: 1-line block ×4, first 2 shown]
	v_mov_b32_e32 v55, 0
	v_mov_b32_e32 v57, 0
	v_mov_b32_e32 v56, 0
	s_waitcnt vmcnt(3)
	v_lshrrev_b32_e32 v4, 1, v19
	v_lshlrev_b32_e32 v16, 2, v19
	s_waitcnt vmcnt(2)
	v_lshl_add_u32 v1, v20, 5, v19
	v_lshl_add_u32 v11, v20, 4, v4
	v_lshrrev_b32_e32 v4, 2, v19
	v_and_b32_e32 v18, 12, v16
	v_add_u32_e32 v2, v4, v2
	v_mul_lo_u32 v4, s67, v1
	v_and_b32_e32 v17, 4, v16
	v_lshlrev_b32_e32 v13, 2, v18
	v_lshlrev_b32_e32 v12, 2, v17
	v_lshl_or_b32 v8, v2, 7, v13
	v_lshl_add_u32 v107, v20, 9, v10
	v_lshrrev_b32_e32 v10, 3, v19
	v_cmp_gt_u32_e64 s[2:3], 32, v11
	v_lshlrev_b32_e32 v5, 7, v19
	v_mul_lo_u32 v6, s67, v11
	v_lshl_or_b32 v7, v11, 7, v12
	v_add_u32_e32 v8, 0x3800, v8
	v_cmp_gt_u32_e64 s[8:9], 16, v11
	v_lshl_add_u32 v15, v20, 2, v10
	v_mul_lo_u32 v10, s65, v11
	v_mul_u32_u24_e32 v11, 0xe0, v11
	v_cmp_gt_u32_e32 vcc, 32, v1
	v_cmp_gt_u32_e64 s[48:49], 32, v2
	v_add_u32_e32 v1, 0x3800, v5
	v_add_u32_e32 v5, 0x3860, v5
	buffer_store_dword v8, off, s[84:87], 0 offset:216 ; 4-byte Folded Spill
	v_mul_lo_u32 v8, s67, v2
	v_cmp_gt_u32_e64 s[10:11], 16, v2
	v_or_b32_e32 v11, v11, v12
	v_mul_lo_u32 v12, s65, v2
	v_mul_u32_u24_e32 v2, 0xe0, v2
	buffer_store_dword v5, off, s[84:87], 0 offset:208 ; 4-byte Folded Spill
	v_ashrrev_i32_e32 v5, 31, v4
	v_add3_u32 v2, v2, v13, s15
	v_and_b32_e32 v16, 28, v16
	v_cmp_gt_u32_e64 s[12:13], 16, v15
	buffer_store_dword v2, off, s[84:87], 0 offset:236 ; 4-byte Folded Spill
	v_mul_lo_u32 v14, s65, v15
	v_mul_u32_u24_e32 v2, 0xe0, v15
	v_lshlrev_b32_e32 v15, 2, v16
	v_lshlrev_b64 v[4:5], 2, v[4:5]
	v_add_u32_e32 v7, 0x3840, v7
	v_add_u32_e32 v11, 0x38c0, v11
	v_add3_u32 v2, v2, v15, s14
	buffer_store_dword v1, off, s[84:87], 0 ; 4-byte Folded Spill
	buffer_store_dword v7, off, s[84:87], 0 offset:212 ; 4-byte Folded Spill
	v_ashrrev_i32_e32 v7, 31, v6
	buffer_store_dword v11, off, s[84:87], 0 offset:232 ; 4-byte Folded Spill
	buffer_store_dword v16, off, s[84:87], 0 offset:240 ; 4-byte Folded Spill
	;; [unrolled: 1-line block ×4, first 2 shown]
	s_nop 0
	buffer_store_dword v5, off, s[84:87], 0 offset:252 ; 4-byte Folded Spill
	v_lshlrev_b64 v[4:5], 2, v[6:7]
	v_ashrrev_i32_e32 v9, 31, v8
	buffer_store_dword v4, off, s[84:87], 0 offset:256 ; 4-byte Folded Spill
	s_nop 0
	buffer_store_dword v5, off, s[84:87], 0 offset:260 ; 4-byte Folded Spill
	v_lshlrev_b32_e32 v0, 4, v19
	v_lshlrev_b64 v[4:5], 2, v[8:9]
	v_add_u32_e32 v0, v107, v0
	buffer_store_dword v4, off, s[84:87], 0 offset:264 ; 4-byte Folded Spill
	s_nop 0
	buffer_store_dword v5, off, s[84:87], 0 offset:268 ; 4-byte Folded Spill
	buffer_store_dword v0, off, s[84:87], 0 offset:272 ; 4-byte Folded Spill
	v_lshlrev_b32_e32 v0, 2, v17
	v_ashrrev_i32_e32 v11, 31, v10
	buffer_store_dword v0, off, s[84:87], 0 offset:4 ; 4-byte Folded Spill
	v_lshlrev_b32_e32 v0, 2, v18
	buffer_store_dword v0, off, s[84:87], 0 offset:8 ; 4-byte Folded Spill
	v_mbcnt_hi_u32_b32 v0, -1, v3
	v_lshlrev_b64 v[2:3], 2, v[10:11]
	v_ashrrev_i32_e32 v13, 31, v12
	buffer_store_dword v0, off, s[84:87], 0 offset:180 ; 4-byte Folded Spill
	buffer_store_dword v2, off, s[84:87], 0 offset:276 ; 4-byte Folded Spill
	s_nop 0
	buffer_store_dword v3, off, s[84:87], 0 offset:280 ; 4-byte Folded Spill
	v_lshlrev_b64 v[2:3], 2, v[12:13]
	v_ashrrev_i32_e32 v15, 31, v14
	buffer_store_dword v2, off, s[84:87], 0 offset:284 ; 4-byte Folded Spill
	s_nop 0
	buffer_store_dword v3, off, s[84:87], 0 offset:288 ; 4-byte Folded Spill
	v_lshlrev_b64 v[2:3], 2, v[14:15]
	v_mov_b32_e32 v0, 0
	buffer_store_dword v2, off, s[84:87], 0 offset:292 ; 4-byte Folded Spill
	s_nop 0
	buffer_store_dword v3, off, s[84:87], 0 offset:296 ; 4-byte Folded Spill
	buffer_store_dword v0, off, s[84:87], 0 offset:76 ; 4-byte Folded Spill
	v_mov_b32_e32 v0, 0
	buffer_store_dword v0, off, s[84:87], 0 offset:80 ; 4-byte Folded Spill
	v_mov_b32_e32 v0, 0
	;; [unrolled: 2-line block ×6, first 2 shown]
	v_mul_u32_u24_e32 v1, 0x700, v20
	v_mov_b32_e32 v16, 0xfeffffff
	v_mov_b32_e32 v59, 0
	;; [unrolled: 1-line block ×20, first 2 shown]
	buffer_store_dword v0, off, s[84:87], 0 offset:100 ; 4-byte Folded Spill
	v_mov_b32_e32 v0, 0
	buffer_store_dword v0, off, s[84:87], 0 offset:104 ; 4-byte Folded Spill
	buffer_store_dword v107, off, s[84:87], 0 offset:228 ; 4-byte Folded Spill
.LBB17_19:                              ; =>This Inner Loop Header: Depth=1
	s_mul_hi_i32 s15, s6, s67
	s_mul_i32 s14, s6, s67
	s_lshl_b64 s[14:15], s[14:15], 2
	s_add_u32 s18, s71, s14
	s_addc_u32 s19, s72, s15
	s_and_saveexec_b64 s[16:17], vcc
	s_cbranch_execnz .LBB17_41
; %bb.20:                               ;   in Loop: Header=BB17_19 Depth=1
	s_or_b64 exec, exec, s[16:17]
	s_and_saveexec_b64 s[16:17], s[2:3]
	s_cbranch_execnz .LBB17_42
.LBB17_21:                              ;   in Loop: Header=BB17_19 Depth=1
	s_or_b64 exec, exec, s[16:17]
	s_and_saveexec_b64 s[16:17], s[48:49]
	s_cbranch_execz .LBB17_23
.LBB17_22:                              ;   in Loop: Header=BB17_19 Depth=1
	buffer_load_dword v2, off, s[84:87], 0 offset:264 ; 4-byte Folded Reload
	buffer_load_dword v3, off, s[84:87], 0 offset:268 ; 4-byte Folded Reload
	v_mov_b32_e32 v0, s19
	s_waitcnt vmcnt(1)
	v_add_co_u32_e64 v2, s[14:15], s18, v2
	s_waitcnt vmcnt(0)
	v_addc_co_u32_e64 v0, s[14:15], v0, v3, s[14:15]
	buffer_load_dword v3, off, s[84:87], 0 offset:8 ; 4-byte Folded Reload
	s_waitcnt vmcnt(0)
	v_add_co_u32_e64 v2, s[14:15], v2, v3
	v_addc_co_u32_e64 v3, s[14:15], 0, v0, s[14:15]
	global_load_dwordx4 v[2:5], v[2:3], off
	s_nop 0
	buffer_load_dword v0, off, s[84:87], 0 offset:216 ; 4-byte Folded Reload
	s_waitcnt vmcnt(0)
	ds_write_b128 v0, v[2:5]
.LBB17_23:                              ;   in Loop: Header=BB17_19 Depth=1
	s_or_b64 exec, exec, s[16:17]
	s_waitcnt vmcnt(0) lgkmcnt(0)
	s_barrier
	buffer_load_dword v0, off, s[84:87], 0  ; 4-byte Folded Reload
	v_mov_b32_e32 v9, 0
	v_mov_b32_e32 v6, 0
	;; [unrolled: 1-line block ×4, first 2 shown]
	s_waitcnt vmcnt(0)
	ds_read_b128 v[18:21], v0
	ds_read_b128 v[2:5], v1
	ds_read_b128 v[22:25], v1 offset:224
	ds_read_b128 v[26:29], v1 offset:448
	;; [unrolled: 1-line block ×7, first 2 shown]
	s_waitcnt lgkmcnt(7)
	;;#ASMSTART
	v_dot2_f32_f16 v9, v18, v2, v9
	;;#ASMEND
	;;#ASMSTART
	v_dot2_f32_f16 v9, v19, v3, v9
	;;#ASMEND
	;; [unrolled: 3-line block ×4, first 2 shown]
	s_waitcnt lgkmcnt(6)
	;;#ASMSTART
	v_dot2_f32_f16 v6, v18, v22, v6
	;;#ASMEND
	;;#ASMSTART
	v_dot2_f32_f16 v6, v19, v23, v6
	;;#ASMEND
	;;#ASMSTART
	v_dot2_f32_f16 v6, v20, v24, v6
	;;#ASMEND
	v_mov_b32_e32 v2, 0
	;;#ASMSTART
	v_dot2_f32_f16 v6, v21, v25, v6
	;;#ASMEND
	s_waitcnt lgkmcnt(5)
	;;#ASMSTART
	v_dot2_f32_f16 v2, v18, v26, v2
	;;#ASMEND
	;;#ASMSTART
	v_dot2_f32_f16 v2, v19, v27, v2
	;;#ASMEND
	;;#ASMSTART
	v_dot2_f32_f16 v2, v20, v28, v2
	;;#ASMEND
	v_mov_b32_e32 v4, 0
	;;#ASMSTART
	v_dot2_f32_f16 v2, v21, v29, v2
	;;#ASMEND
	;; [unrolled: 14-line block ×4, first 2 shown]
	s_waitcnt lgkmcnt(2)
	;;#ASMSTART
	v_dot2_f32_f16 v5, v18, v38, v5
	;;#ASMEND
	;;#ASMSTART
	v_dot2_f32_f16 v5, v19, v39, v5
	;;#ASMEND
	;;#ASMSTART
	v_dot2_f32_f16 v5, v20, v40, v5
	;;#ASMEND
	;;#ASMSTART
	v_dot2_f32_f16 v5, v21, v41, v5
	;;#ASMEND
	s_waitcnt lgkmcnt(1)
	;;#ASMSTART
	v_dot2_f32_f16 v8, v18, v42, v8
	;;#ASMEND
	;;#ASMSTART
	v_dot2_f32_f16 v8, v19, v43, v8
	;;#ASMEND
	;;#ASMSTART
	v_dot2_f32_f16 v8, v20, v44, v8
	;;#ASMEND
	;;#ASMSTART
	v_dot2_f32_f16 v8, v21, v45, v8
	;;#ASMEND
	;; [unrolled: 13-line block ×3, first 2 shown]
	ds_read_b128 v[18:21], v0 offset:16
	ds_read_b128 v[22:25], v1 offset:16
	;; [unrolled: 1-line block ×9, first 2 shown]
	s_waitcnt lgkmcnt(7)
	;;#ASMSTART
	v_dot2_f32_f16 v9, v18, v22, v9
	;;#ASMEND
	;;#ASMSTART
	v_dot2_f32_f16 v9, v19, v23, v9
	;;#ASMEND
	;;#ASMSTART
	v_dot2_f32_f16 v9, v20, v24, v9
	;;#ASMEND
	;;#ASMSTART
	v_dot2_f32_f16 v9, v21, v25, v9
	;;#ASMEND
	s_waitcnt lgkmcnt(6)
	;;#ASMSTART
	v_dot2_f32_f16 v6, v18, v26, v6
	;;#ASMEND
	;;#ASMSTART
	v_dot2_f32_f16 v6, v19, v27, v6
	;;#ASMEND
	;;#ASMSTART
	v_dot2_f32_f16 v6, v20, v28, v6
	;;#ASMEND
	;;#ASMSTART
	v_dot2_f32_f16 v6, v21, v29, v6
	;;#ASMEND
	;; [unrolled: 13-line block ×8, first 2 shown]
	ds_read_b128 v[18:21], v0 offset:32
	ds_read_b128 v[22:25], v1 offset:32
	;; [unrolled: 1-line block ×9, first 2 shown]
	s_waitcnt lgkmcnt(7)
	;;#ASMSTART
	v_dot2_f32_f16 v9, v18, v22, v9
	;;#ASMEND
	;;#ASMSTART
	v_dot2_f32_f16 v9, v19, v23, v9
	;;#ASMEND
	;;#ASMSTART
	v_dot2_f32_f16 v9, v20, v24, v9
	;;#ASMEND
	;;#ASMSTART
	v_dot2_f32_f16 v9, v21, v25, v9
	;;#ASMEND
	s_waitcnt lgkmcnt(6)
	;;#ASMSTART
	v_dot2_f32_f16 v6, v18, v26, v6
	;;#ASMEND
	;;#ASMSTART
	v_dot2_f32_f16 v6, v19, v27, v6
	;;#ASMEND
	;;#ASMSTART
	v_dot2_f32_f16 v6, v20, v28, v6
	;;#ASMEND
	;;#ASMSTART
	v_dot2_f32_f16 v6, v21, v29, v6
	;;#ASMEND
	;; [unrolled: 13-line block ×8, first 2 shown]
	ds_read_b128 v[18:21], v0 offset:48
	ds_read_b128 v[22:25], v1 offset:48
	;; [unrolled: 1-line block ×9, first 2 shown]
	s_waitcnt lgkmcnt(7)
	;;#ASMSTART
	v_dot2_f32_f16 v9, v18, v22, v9
	;;#ASMEND
	;;#ASMSTART
	v_dot2_f32_f16 v9, v19, v23, v9
	;;#ASMEND
	;;#ASMSTART
	v_dot2_f32_f16 v9, v20, v24, v9
	;;#ASMEND
	;;#ASMSTART
	v_dot2_f32_f16 v9, v21, v25, v9
	;;#ASMEND
	s_waitcnt lgkmcnt(6)
	;;#ASMSTART
	v_dot2_f32_f16 v6, v18, v26, v6
	;;#ASMEND
	;;#ASMSTART
	v_dot2_f32_f16 v6, v19, v27, v6
	;;#ASMEND
	;;#ASMSTART
	v_dot2_f32_f16 v6, v20, v28, v6
	;;#ASMEND
	;;#ASMSTART
	v_dot2_f32_f16 v6, v21, v29, v6
	;;#ASMEND
	s_waitcnt lgkmcnt(5)
	;;#ASMSTART
	v_dot2_f32_f16 v2, v18, v30, v2
	;;#ASMEND
	;;#ASMSTART
	v_dot2_f32_f16 v2, v19, v31, v2
	;;#ASMEND
	;;#ASMSTART
	v_dot2_f32_f16 v2, v20, v32, v2
	;;#ASMEND
	;;#ASMSTART
	v_dot2_f32_f16 v2, v21, v33, v2
	;;#ASMEND
	s_waitcnt lgkmcnt(4)
	;;#ASMSTART
	v_dot2_f32_f16 v4, v18, v34, v4
	;;#ASMEND
	;;#ASMSTART
	v_dot2_f32_f16 v4, v19, v35, v4
	;;#ASMEND
	;;#ASMSTART
	v_dot2_f32_f16 v4, v20, v36, v4
	;;#ASMEND
	;;#ASMSTART
	v_dot2_f32_f16 v4, v21, v37, v4
	;;#ASMEND
	s_waitcnt lgkmcnt(3)
	;;#ASMSTART
	v_dot2_f32_f16 v3, v18, v38, v3
	;;#ASMEND
	;;#ASMSTART
	v_dot2_f32_f16 v3, v19, v39, v3
	;;#ASMEND
	;;#ASMSTART
	v_dot2_f32_f16 v3, v20, v40, v3
	;;#ASMEND
	;;#ASMSTART
	v_dot2_f32_f16 v3, v21, v41, v3
	;;#ASMEND
	s_waitcnt lgkmcnt(2)
	;;#ASMSTART
	v_dot2_f32_f16 v5, v18, v42, v5
	;;#ASMEND
	;;#ASMSTART
	v_dot2_f32_f16 v5, v19, v43, v5
	;;#ASMEND
	;;#ASMSTART
	v_dot2_f32_f16 v5, v20, v44, v5
	;;#ASMEND
	;;#ASMSTART
	v_dot2_f32_f16 v5, v21, v45, v5
	;;#ASMEND
	s_waitcnt lgkmcnt(1)
	;;#ASMSTART
	v_dot2_f32_f16 v8, v18, v46, v8
	;;#ASMEND
	;;#ASMSTART
	v_dot2_f32_f16 v8, v19, v47, v8
	;;#ASMEND
	;;#ASMSTART
	v_dot2_f32_f16 v8, v20, v48, v8
	;;#ASMEND
	;;#ASMSTART
	v_dot2_f32_f16 v8, v21, v49, v8
	;;#ASMEND
	s_waitcnt lgkmcnt(0)
	;;#ASMSTART
	v_dot2_f32_f16 v7, v18, v50, v7
	;;#ASMEND
	;;#ASMSTART
	v_dot2_f32_f16 v7, v19, v51, v7
	;;#ASMEND
	;;#ASMSTART
	v_dot2_f32_f16 v7, v20, v52, v7
	;;#ASMEND
	;;#ASMSTART
	v_dot2_f32_f16 v7, v21, v53, v7
	;;#ASMEND
	ds_read_b128 v[18:21], v0 offset:64
	ds_read_b128 v[22:25], v1 offset:64
	;; [unrolled: 1-line block ×9, first 2 shown]
	s_waitcnt lgkmcnt(7)
	;;#ASMSTART
	v_dot2_f32_f16 v9, v18, v22, v9
	;;#ASMEND
	;;#ASMSTART
	v_dot2_f32_f16 v9, v19, v23, v9
	;;#ASMEND
	;;#ASMSTART
	v_dot2_f32_f16 v9, v20, v24, v9
	;;#ASMEND
	;;#ASMSTART
	v_dot2_f32_f16 v9, v21, v25, v9
	;;#ASMEND
	s_waitcnt lgkmcnt(6)
	;;#ASMSTART
	v_dot2_f32_f16 v6, v18, v26, v6
	;;#ASMEND
	;;#ASMSTART
	v_dot2_f32_f16 v6, v19, v27, v6
	;;#ASMEND
	;;#ASMSTART
	v_dot2_f32_f16 v6, v20, v28, v6
	;;#ASMEND
	;;#ASMSTART
	v_dot2_f32_f16 v6, v21, v29, v6
	;;#ASMEND
	;; [unrolled: 13-line block ×8, first 2 shown]
	ds_read_b128 v[18:21], v0 offset:80
	ds_read_b128 v[22:25], v1 offset:80
	;; [unrolled: 1-line block ×9, first 2 shown]
	s_waitcnt lgkmcnt(7)
	;;#ASMSTART
	v_dot2_f32_f16 v9, v18, v22, v9
	;;#ASMEND
	;;#ASMSTART
	v_dot2_f32_f16 v9, v19, v23, v9
	;;#ASMEND
	;;#ASMSTART
	v_dot2_f32_f16 v9, v20, v24, v9
	;;#ASMEND
	;;#ASMSTART
	v_dot2_f32_f16 v9, v21, v25, v9
	;;#ASMEND
	s_waitcnt lgkmcnt(6)
	;;#ASMSTART
	v_dot2_f32_f16 v6, v18, v26, v6
	;;#ASMEND
	;;#ASMSTART
	v_dot2_f32_f16 v6, v19, v27, v6
	;;#ASMEND
	;;#ASMSTART
	v_dot2_f32_f16 v6, v20, v28, v6
	;;#ASMEND
	;;#ASMSTART
	v_dot2_f32_f16 v6, v21, v29, v6
	;;#ASMEND
	;; [unrolled: 13-line block ×8, first 2 shown]
	ds_read_b128 v[18:21], v0 offset:96
	ds_read_b128 v[22:25], v1 offset:96
	ds_read_b128 v[26:29], v1 offset:320
	ds_read_b128 v[30:33], v1 offset:544
	ds_read_b128 v[34:37], v1 offset:768
	ds_read_b128 v[38:41], v1 offset:992
	ds_read_b128 v[42:45], v1 offset:1216
	ds_read_b128 v[46:49], v1 offset:1440
	ds_read_b128 v[50:53], v1 offset:1664
	s_waitcnt lgkmcnt(7)
	;;#ASMSTART
	v_dot2_f32_f16 v9, v18, v22, v9
	;;#ASMEND
	;;#ASMSTART
	v_dot2_f32_f16 v9, v19, v23, v9
	;;#ASMEND
	;;#ASMSTART
	v_dot2_f32_f16 v9, v20, v24, v9
	;;#ASMEND
	;;#ASMSTART
	v_dot2_f32_f16 v9, v21, v25, v9
	;;#ASMEND
	s_waitcnt lgkmcnt(6)
	;;#ASMSTART
	v_dot2_f32_f16 v6, v18, v26, v6
	;;#ASMEND
	;;#ASMSTART
	v_dot2_f32_f16 v6, v19, v27, v6
	;;#ASMEND
	;;#ASMSTART
	v_dot2_f32_f16 v6, v20, v28, v6
	;;#ASMEND
	;;#ASMSTART
	v_dot2_f32_f16 v6, v21, v29, v6
	;;#ASMEND
	;; [unrolled: 13-line block ×8, first 2 shown]
	s_barrier
	s_and_saveexec_b64 s[16:17], vcc
	s_cbranch_execnz .LBB17_43
; %bb.24:                               ;   in Loop: Header=BB17_19 Depth=1
	s_or_b64 exec, exec, s[16:17]
	s_and_saveexec_b64 s[16:17], s[2:3]
	s_cbranch_execnz .LBB17_44
.LBB17_25:                              ;   in Loop: Header=BB17_19 Depth=1
	s_or_b64 exec, exec, s[16:17]
	s_and_saveexec_b64 s[16:17], s[48:49]
	s_cbranch_execz .LBB17_27
.LBB17_26:                              ;   in Loop: Header=BB17_19 Depth=1
	buffer_load_dword v18, off, s[84:87], 0 offset:264 ; 4-byte Folded Reload
	buffer_load_dword v19, off, s[84:87], 0 offset:268 ; 4-byte Folded Reload
	v_mov_b32_e32 v0, s19
	s_waitcnt vmcnt(1)
	v_add_co_u32_e64 v18, s[14:15], s18, v18
	s_waitcnt vmcnt(0)
	v_addc_co_u32_e64 v0, s[14:15], v0, v19, s[14:15]
	buffer_load_dword v19, off, s[84:87], 0 offset:8 ; 4-byte Folded Reload
	s_waitcnt vmcnt(0)
	v_add_co_u32_e64 v18, s[14:15], v18, v19
	v_addc_co_u32_e64 v19, s[14:15], 0, v0, s[14:15]
	global_load_dwordx4 v[18:21], v[18:19], off offset:112
	s_nop 0
	buffer_load_dword v0, off, s[84:87], 0 offset:216 ; 4-byte Folded Reload
	s_waitcnt vmcnt(0)
	ds_write_b128 v0, v[18:21]
.LBB17_27:                              ;   in Loop: Header=BB17_19 Depth=1
	s_or_b64 exec, exec, s[16:17]
	s_waitcnt lgkmcnt(0)
	s_barrier
	buffer_load_dword v0, off, s[84:87], 0  ; 4-byte Folded Reload
	s_mul_hi_i32 s51, s6, s65
	s_mul_i32 s50, s6, s65
	s_lshl_b64 s[50:51], s[50:51], 2
	s_add_u32 s79, s73, s50
	s_addc_u32 s80, s74, s51
	s_waitcnt vmcnt(0)
	ds_read_b128 v[18:21], v0
	ds_read_b128 v[22:25], v1 offset:112
	ds_read_b128 v[26:29], v1 offset:336
	;; [unrolled: 1-line block ×8, first 2 shown]
	s_waitcnt lgkmcnt(7)
	;;#ASMSTART
	v_dot2_f32_f16 v9, v18, v22, v9
	;;#ASMEND
	;;#ASMSTART
	v_dot2_f32_f16 v9, v19, v23, v9
	;;#ASMEND
	;;#ASMSTART
	v_dot2_f32_f16 v9, v20, v24, v9
	;;#ASMEND
	;;#ASMSTART
	v_dot2_f32_f16 v9, v21, v25, v9
	;;#ASMEND
	s_waitcnt lgkmcnt(6)
	;;#ASMSTART
	v_dot2_f32_f16 v6, v18, v26, v6
	;;#ASMEND
	;;#ASMSTART
	v_dot2_f32_f16 v6, v19, v27, v6
	;;#ASMEND
	;;#ASMSTART
	v_dot2_f32_f16 v6, v20, v28, v6
	;;#ASMEND
	;;#ASMSTART
	v_dot2_f32_f16 v6, v21, v29, v6
	;;#ASMEND
	;; [unrolled: 13-line block ×8, first 2 shown]
	ds_read_b128 v[18:21], v0 offset:16
	ds_read_b128 v[22:25], v1 offset:128
	;; [unrolled: 1-line block ×9, first 2 shown]
	s_waitcnt lgkmcnt(7)
	;;#ASMSTART
	v_dot2_f32_f16 v9, v18, v22, v9
	;;#ASMEND
	;;#ASMSTART
	v_dot2_f32_f16 v9, v19, v23, v9
	;;#ASMEND
	;;#ASMSTART
	v_dot2_f32_f16 v9, v20, v24, v9
	;;#ASMEND
	;;#ASMSTART
	v_dot2_f32_f16 v9, v21, v25, v9
	;;#ASMEND
	s_waitcnt lgkmcnt(6)
	;;#ASMSTART
	v_dot2_f32_f16 v6, v18, v26, v6
	;;#ASMEND
	;;#ASMSTART
	v_dot2_f32_f16 v6, v19, v27, v6
	;;#ASMEND
	;;#ASMSTART
	v_dot2_f32_f16 v6, v20, v28, v6
	;;#ASMEND
	;;#ASMSTART
	v_dot2_f32_f16 v6, v21, v29, v6
	;;#ASMEND
	;; [unrolled: 13-line block ×8, first 2 shown]
	ds_read_b128 v[18:21], v0 offset:32
	ds_read_b128 v[22:25], v1 offset:144
	;; [unrolled: 1-line block ×9, first 2 shown]
	s_waitcnt lgkmcnt(7)
	;;#ASMSTART
	v_dot2_f32_f16 v9, v18, v22, v9
	;;#ASMEND
	;;#ASMSTART
	v_dot2_f32_f16 v9, v19, v23, v9
	;;#ASMEND
	;;#ASMSTART
	v_dot2_f32_f16 v9, v20, v24, v9
	;;#ASMEND
	;;#ASMSTART
	v_dot2_f32_f16 v9, v21, v25, v9
	;;#ASMEND
	s_waitcnt lgkmcnt(6)
	;;#ASMSTART
	v_dot2_f32_f16 v6, v18, v26, v6
	;;#ASMEND
	;;#ASMSTART
	v_dot2_f32_f16 v6, v19, v27, v6
	;;#ASMEND
	;;#ASMSTART
	v_dot2_f32_f16 v6, v20, v28, v6
	;;#ASMEND
	;;#ASMSTART
	v_dot2_f32_f16 v6, v21, v29, v6
	;;#ASMEND
	;; [unrolled: 13-line block ×8, first 2 shown]
	ds_read_b128 v[18:21], v0 offset:48
	ds_read_b128 v[22:25], v1 offset:160
	;; [unrolled: 1-line block ×9, first 2 shown]
	s_waitcnt lgkmcnt(7)
	;;#ASMSTART
	v_dot2_f32_f16 v9, v18, v22, v9
	;;#ASMEND
	;;#ASMSTART
	v_dot2_f32_f16 v9, v19, v23, v9
	;;#ASMEND
	;;#ASMSTART
	v_dot2_f32_f16 v9, v20, v24, v9
	;;#ASMEND
	;;#ASMSTART
	v_dot2_f32_f16 v9, v21, v25, v9
	;;#ASMEND
	s_waitcnt lgkmcnt(6)
	;;#ASMSTART
	v_dot2_f32_f16 v6, v18, v26, v6
	;;#ASMEND
	;;#ASMSTART
	v_dot2_f32_f16 v6, v19, v27, v6
	;;#ASMEND
	;;#ASMSTART
	v_dot2_f32_f16 v6, v20, v28, v6
	;;#ASMEND
	;;#ASMSTART
	v_dot2_f32_f16 v6, v21, v29, v6
	;;#ASMEND
	;; [unrolled: 13-line block ×8, first 2 shown]
	ds_read_b128 v[18:21], v0 offset:64
	ds_read_b128 v[22:25], v1 offset:176
	ds_read_b128 v[26:29], v1 offset:400
	ds_read_b128 v[30:33], v1 offset:624
	ds_read_b128 v[34:37], v1 offset:848
	ds_read_b128 v[38:41], v1 offset:1072
	ds_read_b128 v[42:45], v1 offset:1296
	ds_read_b128 v[46:49], v1 offset:1520
	ds_read_b128 v[50:53], v1 offset:1744
	s_waitcnt lgkmcnt(7)
	;;#ASMSTART
	v_dot2_f32_f16 v9, v18, v22, v9
	;;#ASMEND
	;;#ASMSTART
	v_dot2_f32_f16 v9, v19, v23, v9
	;;#ASMEND
	;;#ASMSTART
	v_dot2_f32_f16 v9, v20, v24, v9
	;;#ASMEND
	;;#ASMSTART
	v_dot2_f32_f16 v9, v21, v25, v9
	;;#ASMEND
	s_waitcnt lgkmcnt(6)
	;;#ASMSTART
	v_dot2_f32_f16 v6, v18, v26, v6
	;;#ASMEND
	;;#ASMSTART
	v_dot2_f32_f16 v6, v19, v27, v6
	;;#ASMEND
	;;#ASMSTART
	v_dot2_f32_f16 v6, v20, v28, v6
	;;#ASMEND
	;;#ASMSTART
	v_dot2_f32_f16 v6, v21, v29, v6
	;;#ASMEND
	;; [unrolled: 13-line block ×8, first 2 shown]
	ds_read_b128 v[18:21], v0 offset:80
	ds_read_b128 v[22:25], v1 offset:192
	;; [unrolled: 1-line block ×9, first 2 shown]
	s_waitcnt lgkmcnt(7)
	;;#ASMSTART
	v_dot2_f32_f16 v9, v18, v22, v9
	;;#ASMEND
	;;#ASMSTART
	v_dot2_f32_f16 v9, v19, v23, v9
	;;#ASMEND
	;;#ASMSTART
	v_dot2_f32_f16 v9, v20, v24, v9
	;;#ASMEND
	;;#ASMSTART
	v_dot2_f32_f16 v9, v21, v25, v9
	;;#ASMEND
	s_waitcnt lgkmcnt(6)
	;;#ASMSTART
	v_dot2_f32_f16 v6, v18, v26, v6
	;;#ASMEND
	;;#ASMSTART
	v_dot2_f32_f16 v6, v19, v27, v6
	;;#ASMEND
	;;#ASMSTART
	v_dot2_f32_f16 v6, v20, v28, v6
	;;#ASMEND
	;;#ASMSTART
	v_dot2_f32_f16 v6, v21, v29, v6
	;;#ASMEND
	;; [unrolled: 13-line block ×8, first 2 shown]
	ds_read_b128 v[18:21], v0 offset:96
	ds_read_b128 v[22:25], v1 offset:208
	;; [unrolled: 1-line block ×9, first 2 shown]
	s_waitcnt lgkmcnt(7)
	;;#ASMSTART
	v_dot2_f32_f16 v9, v18, v22, v9
	;;#ASMEND
	;;#ASMSTART
	v_dot2_f32_f16 v9, v19, v23, v9
	;;#ASMEND
	;;#ASMSTART
	v_dot2_f32_f16 v9, v20, v24, v9
	;;#ASMEND
	;;#ASMSTART
	v_dot2_f32_f16 v9, v21, v25, v9
	;;#ASMEND
	s_waitcnt lgkmcnt(6)
	;;#ASMSTART
	v_dot2_f32_f16 v6, v18, v26, v6
	;;#ASMEND
	;;#ASMSTART
	v_dot2_f32_f16 v6, v19, v27, v6
	;;#ASMEND
	;;#ASMSTART
	v_dot2_f32_f16 v6, v20, v28, v6
	;;#ASMEND
	;;#ASMSTART
	v_dot2_f32_f16 v6, v21, v29, v6
	;;#ASMEND
	;; [unrolled: 13-line block ×8, first 2 shown]
	buffer_load_dword v0, off, s[84:87], 0 offset:176 ; 4-byte Folded Reload
	buffer_load_dword v18, off, s[84:87], 0 offset:220 ; 4-byte Folded Reload
	;; [unrolled: 1-line block ×3, first 2 shown]
	v_mov_b32_e32 v20, s69
	v_max_f32_e32 v26, v17, v17
	s_waitcnt vmcnt(2)
	v_add_u32_e32 v0, s6, v0
	s_waitcnt vmcnt(1)
	v_add_u32_e32 v18, v0, v18
	v_ashrrev_i32_e32 v19, 31, v18
	v_lshlrev_b64 v[18:19], 1, v[18:19]
	s_waitcnt vmcnt(0)
	v_xor_b32_e32 v23, 4, v27
	v_add_co_u32_e64 v18, s[14:15], s68, v18
	v_addc_co_u32_e64 v19, s[14:15], v20, v19, s[14:15]
	global_load_ushort v21, v[18:19], off
	v_and_b32_e32 v18, 0x60, v27
	v_add_u32_e32 v28, 32, v18
	v_xor_b32_e32 v18, 16, v27
	v_cmp_lt_i32_e64 s[14:15], v18, v28
	buffer_store_dword v18, off, s[84:87], 0 offset:188 ; 4-byte Folded Spill
	v_cndmask_b32_e64 v22, v27, v18, s[14:15]
	buffer_load_dword v18, off, s[84:87], 0 offset:224 ; 4-byte Folded Reload
	v_xor_b32_e32 v24, 2, v27
	buffer_store_dword v23, off, s[84:87], 0 offset:192 ; 4-byte Folded Spill
	buffer_store_dword v24, off, s[84:87], 0 offset:200 ; 4-byte Folded Spill
	v_xor_b32_e32 v29, 1, v27
	buffer_store_dword v28, off, s[84:87], 0 offset:184 ; 4-byte Folded Spill
	buffer_store_dword v29, off, s[84:87], 0 offset:204 ; 4-byte Folded Spill
	s_waitcnt vmcnt(4)
	v_add_u32_e32 v18, v0, v18
	v_ashrrev_i32_e32 v19, 31, v18
	v_lshlrev_b64 v[18:19], 1, v[18:19]
	v_add_co_u32_e64 v18, s[14:15], s68, v18
	v_addc_co_u32_e64 v19, s[14:15], v20, v19, s[14:15]
	global_load_ushort v0, v[18:19], off
	v_cvt_f32_f16_e32 v19, v21
	v_lshlrev_b32_e32 v18, 2, v22
	v_max_f32_e32 v22, v16, v16
	v_xor_b32_e32 v20, 8, v27
	v_add_f32_e32 v21, v9, v19
	v_add_f32_e32 v9, 0x40051340, v21
	v_max_f32_e32 v9, v22, v9
	ds_bpermute_b32 v22, v18, v9
	v_cmp_lt_i32_e64 s[14:15], v20, v28
	buffer_store_dword v20, off, s[84:87], 0 offset:196 ; 4-byte Folded Spill
	v_cndmask_b32_e64 v20, v27, v20, s[14:15]
	v_lshlrev_b32_e32 v20, 2, v20
	s_waitcnt lgkmcnt(0)
	v_max_f32_e32 v22, v22, v22
	v_max_f32_e32 v9, v9, v22
	ds_bpermute_b32 v22, v20, v9
	v_cmp_lt_i32_e64 s[14:15], v23, v28
	v_cndmask_b32_e64 v23, v27, v23, s[14:15]
	v_add_f32_e32 v25, v6, v19
	v_lshlrev_b32_e32 v23, 2, v23
	s_waitcnt lgkmcnt(0)
	v_max_f32_e32 v22, v22, v22
	v_max_f32_e32 v9, v9, v22
	v_add_f32_e32 v6, 0x40051340, v25
	ds_bpermute_b32 v22, v23, v9
	v_max_f32_e32 v6, v26, v6
	ds_bpermute_b32 v26, v18, v6
	v_cmp_lt_i32_e64 s[14:15], v24, v28
	v_cndmask_b32_e64 v24, v27, v24, s[14:15]
	s_waitcnt lgkmcnt(1)
	v_max_f32_e32 v22, v22, v22
	v_lshlrev_b32_e32 v24, 2, v24
	v_max_f32_e32 v9, v9, v22
	s_waitcnt lgkmcnt(0)
	v_max_f32_e32 v26, v26, v26
	ds_bpermute_b32 v22, v24, v9
	v_max_f32_e32 v6, v6, v26
	ds_bpermute_b32 v26, v20, v6
	v_cmp_lt_i32_e64 s[14:15], v29, v28
	v_max_f32_e32 v28, v15, v15
	s_waitcnt lgkmcnt(1)
	v_max_f32_e32 v22, v22, v22
	v_max_f32_e32 v9, v9, v22
	s_waitcnt lgkmcnt(0)
	v_max_f32_e32 v22, v26, v26
	v_add_f32_e32 v26, v2, v19
	v_max_f32_e32 v6, v6, v22
	v_add_f32_e32 v2, 0x40051340, v26
	ds_bpermute_b32 v22, v23, v6
	v_max_f32_e32 v2, v28, v2
	ds_bpermute_b32 v28, v18, v2
	v_cndmask_b32_e64 v27, v27, v29, s[14:15]
	v_lshlrev_b32_e32 v27, 2, v27
	s_waitcnt lgkmcnt(1)
	v_max_f32_e32 v22, v22, v22
	ds_bpermute_b32 v29, v27, v9
	v_max_f32_e32 v6, v6, v22
	s_waitcnt lgkmcnt(1)
	v_max_f32_e32 v28, v28, v28
	ds_bpermute_b32 v22, v24, v6
	v_max_f32_e32 v28, v2, v28
	ds_bpermute_b32 v30, v20, v28
	s_waitcnt lgkmcnt(2)
	v_max_f32_e32 v2, v29, v29
	v_max_f32_e32 v34, v9, v2
	s_waitcnt lgkmcnt(1)
	v_max_f32_e32 v9, v22, v22
	v_max_f32_e32 v6, v6, v9
	s_waitcnt lgkmcnt(0)
	v_max_f32_e32 v9, v30, v30
	v_add_f32_e32 v19, v4, v19
	v_max_f32_e32 v9, v28, v9
	v_add_f32_e32 v4, 0x40051340, v19
	v_max_f32_e32 v28, v14, v14
	ds_bpermute_b32 v22, v23, v9
	v_max_f32_e32 v4, v28, v4
	ds_bpermute_b32 v28, v18, v4
	v_max_f32_e32 v30, v13, v13
	ds_bpermute_b32 v29, v27, v6
	s_waitcnt lgkmcnt(2)
	v_max_f32_e32 v22, v22, v22
	v_max_f32_e32 v9, v9, v22
	s_waitcnt lgkmcnt(1)
	v_max_f32_e32 v28, v28, v28
	ds_bpermute_b32 v22, v24, v9
	v_max_f32_e32 v4, v4, v28
	ds_bpermute_b32 v28, v20, v4
	s_waitcnt lgkmcnt(2)
	v_max_f32_e32 v29, v29, v29
	v_max_f32_e32 v35, v6, v29
	s_waitcnt lgkmcnt(1)
	v_max_f32_e32 v22, v22, v22
	v_max_f32_e32 v9, v9, v22
	s_waitcnt lgkmcnt(0)
	v_max_f32_e32 v22, v28, v28
	s_waitcnt vmcnt(1)
	v_cvt_f32_f16_e32 v0, v0
	v_max_f32_e32 v4, v4, v22
	ds_bpermute_b32 v22, v23, v4
	ds_bpermute_b32 v31, v27, v9
	v_add_f32_e32 v28, v3, v0
	v_add_f32_e32 v3, 0x40051340, v28
	v_max_f32_e32 v3, v30, v3
	ds_bpermute_b32 v30, v18, v3
	s_waitcnt lgkmcnt(2)
	v_max_f32_e32 v22, v22, v22
	v_max_f32_e32 v22, v4, v22
	ds_bpermute_b32 v32, v24, v22
	v_sub_f32_e32 v114, v16, v34
	s_waitcnt lgkmcnt(1)
	v_max_f32_e32 v4, v30, v30
	v_max_f32_e32 v30, v3, v4
	ds_bpermute_b32 v33, v20, v30
	v_max_f32_e32 v4, v31, v31
	v_max_f32_e32 v36, v9, v4
	;; [unrolled: 1-line block ×3, first 2 shown]
	s_waitcnt lgkmcnt(1)
	v_max_f32_e32 v6, v32, v32
	s_waitcnt lgkmcnt(0)
	v_max_f32_e32 v9, v33, v33
	v_max_f32_e32 v9, v30, v9
	v_add_f32_e32 v30, v5, v0
	v_add_f32_e32 v5, 0x40051340, v30
	ds_bpermute_b32 v29, v23, v9
	v_max_f32_e32 v5, v31, v5
	ds_bpermute_b32 v31, v18, v5
	v_max_f32_e32 v6, v22, v6
	v_mov_b32_e32 v2, 0x7f800000
	s_waitcnt lgkmcnt(1)
	v_max_f32_e32 v22, v29, v29
	v_max_f32_e32 v9, v9, v22
	s_waitcnt lgkmcnt(0)
	v_max_f32_e32 v29, v31, v31
	ds_bpermute_b32 v22, v24, v9
	v_max_f32_e32 v5, v5, v29
	ds_bpermute_b32 v29, v20, v5
	ds_bpermute_b32 v31, v27, v6
	s_waitcnt lgkmcnt(0)
	v_max_f32_e32 v22, v22, v22
	v_max_f32_e32 v9, v9, v22
	;; [unrolled: 1-line block ×3, first 2 shown]
	ds_bpermute_b32 v22, v27, v9
	v_max_f32_e32 v29, v5, v29
	ds_bpermute_b32 v32, v23, v29
	v_max_f32_e32 v5, v31, v31
	v_max_f32_e32 v37, v6, v5
	s_waitcnt lgkmcnt(1)
	v_max_f32_e32 v6, v22, v22
	v_max_f32_e32 v38, v9, v6
	s_waitcnt lgkmcnt(0)
	v_max_f32_e32 v9, v32, v32
	v_add_f32_e32 v22, v8, v0
	v_max_f32_e32 v9, v29, v9
	v_add_f32_e32 v8, 0x40051340, v22
	;; [unrolled: 2-line block ×4, first 2 shown]
	v_max_f32_e32 v7, v10, v10
	ds_bpermute_b32 v29, v18, v8
	v_max_f32_e32 v0, v7, v0
	ds_bpermute_b32 v7, v18, v0
	ds_bpermute_b32 v18, v24, v9
	s_waitcnt vmcnt(0) lgkmcnt(0)
	s_barrier
	v_max_f32_e32 v29, v29, v29
	v_max_f32_e32 v8, v8, v29
	;; [unrolled: 1-line block ×3, first 2 shown]
	ds_bpermute_b32 v29, v20, v8
	v_max_f32_e32 v0, v0, v7
	ds_bpermute_b32 v7, v20, v0
	v_max_f32_e32 v18, v18, v18
	v_max_f32_e32 v9, v9, v18
	s_waitcnt lgkmcnt(1)
	v_max_f32_e32 v20, v29, v29
	v_max_f32_e32 v8, v8, v20
	s_waitcnt lgkmcnt(0)
	v_max_f32_e32 v7, v7, v7
	ds_bpermute_b32 v20, v23, v8
	v_max_f32_e32 v0, v0, v7
	ds_bpermute_b32 v7, v23, v0
	s_waitcnt lgkmcnt(0)
	v_sub_f32_e32 v115, v15, v36
	v_max_f32_e32 v18, v20, v20
	v_max_f32_e32 v8, v8, v18
	;; [unrolled: 1-line block ×3, first 2 shown]
	ds_bpermute_b32 v18, v24, v8
	v_max_f32_e32 v0, v0, v7
	ds_bpermute_b32 v7, v24, v0
	ds_bpermute_b32 v20, v27, v9
	v_sub_f32_e32 v116, v14, v37
	s_waitcnt lgkmcnt(2)
	v_max_f32_e32 v18, v18, v18
	v_max_f32_e32 v8, v8, v18
	s_waitcnt lgkmcnt(1)
	v_max_f32_e32 v7, v7, v7
	ds_bpermute_b32 v18, v27, v8
	v_max_f32_e32 v0, v0, v7
	ds_bpermute_b32 v23, v27, v0
	s_waitcnt lgkmcnt(2)
	v_max_f32_e32 v7, v20, v20
	v_max_f32_e32 v39, v9, v7
	s_waitcnt lgkmcnt(1)
	v_max_f32_e32 v9, v18, v18
	v_max_f32_e32 v40, v8, v9
	;; [unrolled: 3-line block ×3, first 2 shown]
	v_sub_f32_e32 v0, v21, v34
	v_mul_f32_e32 v18, 0x3fb8aa3b, v0
	v_fma_f32 v20, v0, s75, -v18
	v_rndne_f32_e32 v21, v18
	v_fmac_f32_e32 v20, 0x32a5705f, v0
	v_sub_f32_e32 v18, v18, v21
	v_add_f32_e32 v18, v18, v20
	v_exp_f32_e32 v18, v18
	v_cvt_i32_f32_e32 v20, v21
	v_cmp_ngt_f32_e64 s[14:15], s76, v0
	v_sub_f32_e32 v117, v13, v38
	v_sub_f32_e32 v124, v12, v39
	v_ldexp_f32 v16, v18, v20
	v_cndmask_b32_e64 v16, 0, v16, s[14:15]
	v_cmp_nlt_f32_e64 s[14:15], s77, v0
	v_cndmask_b32_e64 v0, v2, v16, s[14:15]
	v_sub_f32_e32 v18, v25, v35
	buffer_store_dword v0, off, s[84:87], 0 offset:112 ; 4-byte Folded Spill
	v_cvt_f16_f32_e32 v16, v0
	v_mul_f32_e32 v0, 0x3fb8aa3b, v18
	v_fma_f32 v20, v18, s75, -v0
	v_rndne_f32_e32 v21, v0
	v_fmac_f32_e32 v20, 0x32a5705f, v18
	v_sub_f32_e32 v0, v0, v21
	v_add_f32_e32 v0, v0, v20
	v_exp_f32_e32 v20, v0
	v_cvt_i32_f32_e32 v21, v21
	v_sub_f32_e32 v0, v17, v35
	v_cmp_ngt_f32_e64 s[18:19], s76, v18
	v_sub_f32_e32 v125, v11, v40
	v_ldexp_f32 v17, v20, v21
	v_cndmask_b32_e64 v17, 0, v17, s[18:19]
	v_cmp_nlt_f32_e64 s[18:19], s77, v18
	v_sub_f32_e32 v18, v26, v36
	v_mul_f32_e32 v20, 0x3fb8aa3b, v18
	v_fma_f32 v21, v18, s75, -v20
	v_rndne_f32_e32 v23, v20
	v_fmac_f32_e32 v21, 0x32a5705f, v18
	v_sub_f32_e32 v20, v20, v23
	v_add_f32_e32 v20, v20, v21
	v_exp_f32_e32 v20, v20
	v_cvt_i32_f32_e32 v21, v23
	v_cmp_ngt_f32_e64 s[22:23], s76, v18
	v_cndmask_b32_e64 v3, v2, v17, s[18:19]
	buffer_store_dword v3, off, s[84:87], 0 offset:120 ; 4-byte Folded Spill
	v_ldexp_f32 v15, v20, v21
	v_cndmask_b32_e64 v15, 0, v15, s[22:23]
	v_cmp_nlt_f32_e64 s[22:23], s77, v18
	v_sub_f32_e32 v18, v19, v37
	v_mul_f32_e32 v19, 0x3fb8aa3b, v18
	v_fma_f32 v20, v18, s75, -v19
	v_rndne_f32_e32 v21, v19
	v_fmac_f32_e32 v20, 0x32a5705f, v18
	v_sub_f32_e32 v19, v19, v21
	v_add_f32_e32 v19, v19, v20
	v_exp_f32_e32 v19, v19
	v_cvt_i32_f32_e32 v20, v21
	v_cmp_ngt_f32_e64 s[26:27], s76, v18
	v_cvt_f16_f32_e32 v17, v3
	v_cndmask_b32_e64 v109, v2, v15, s[22:23]
	v_ldexp_f32 v14, v19, v20
	v_cndmask_b32_e64 v14, 0, v14, s[26:27]
	v_cmp_nlt_f32_e64 s[26:27], s77, v18
	v_sub_f32_e32 v18, v28, v38
	v_mul_f32_e32 v19, 0x3fb8aa3b, v18
	v_fma_f32 v20, v18, s75, -v19
	v_rndne_f32_e32 v21, v19
	v_fmac_f32_e32 v20, 0x32a5705f, v18
	v_sub_f32_e32 v19, v19, v21
	v_add_f32_e32 v19, v19, v20
	v_exp_f32_e32 v19, v19
	v_cvt_i32_f32_e32 v20, v21
	v_cmp_ngt_f32_e64 s[30:31], s76, v18
	v_cndmask_b32_e64 v3, v2, v14, s[26:27]
	buffer_store_dword v3, off, s[84:87], 0 offset:116 ; 4-byte Folded Spill
	v_ldexp_f32 v13, v19, v20
	v_cndmask_b32_e64 v13, 0, v13, s[30:31]
	v_cmp_nlt_f32_e64 s[30:31], s77, v18
	v_cvt_f16_f32_e32 v14, v3
	v_cndmask_b32_e64 v3, v2, v13, s[30:31]
	v_sub_f32_e32 v13, v30, v39
	v_mul_f32_e32 v19, 0x3fb8aa3b, v13
	v_fma_f32 v20, v13, s75, -v19
	v_rndne_f32_e32 v21, v19
	v_fmac_f32_e32 v20, 0x32a5705f, v13
	v_sub_f32_e32 v19, v19, v21
	v_add_f32_e32 v19, v19, v20
	v_exp_f32_e32 v19, v19
	v_cvt_i32_f32_e32 v20, v21
	v_cmp_ngt_f32_e64 s[36:37], s76, v13
	buffer_store_dword v3, off, s[84:87], 0 offset:128 ; 4-byte Folded Spill
	v_cvt_f16_f32_e32 v18, v3
	v_ldexp_f32 v12, v19, v20
	v_cndmask_b32_e64 v12, 0, v12, s[36:37]
	v_cmp_nlt_f32_e64 s[36:37], s77, v13
	v_sub_f32_e32 v13, v22, v40
	v_mul_f32_e32 v19, 0x3fb8aa3b, v13
	v_fma_f32 v20, v13, s75, -v19
	v_rndne_f32_e32 v21, v19
	v_fmac_f32_e32 v20, 0x32a5705f, v13
	v_sub_f32_e32 v19, v19, v21
	v_add_f32_e32 v19, v19, v20
	v_exp_f32_e32 v19, v19
	v_cvt_i32_f32_e32 v20, v21
	v_cmp_ngt_f32_e64 s[44:45], s76, v13
	v_cndmask_b32_e64 v3, v2, v12, s[36:37]
	buffer_store_dword v3, off, s[84:87], 0 offset:108 ; 4-byte Folded Spill
	v_ldexp_f32 v11, v19, v20
	v_sub_f32_e32 v19, v31, v41
	v_mul_f32_e32 v20, 0x3fb8aa3b, v19
	v_fma_f32 v21, v19, s75, -v20
	v_rndne_f32_e32 v22, v20
	v_fmac_f32_e32 v21, 0x32a5705f, v19
	v_sub_f32_e32 v20, v20, v22
	v_add_f32_e32 v20, v20, v21
	v_exp_f32_e32 v20, v20
	v_cvt_i32_f32_e32 v21, v22
	v_cndmask_b32_e64 v11, 0, v11, s[44:45]
	v_cmp_nlt_f32_e64 s[44:45], s77, v13
	v_cvt_f16_f32_e32 v12, v3
	v_cndmask_b32_e64 v3, v2, v11, s[44:45]
	v_ldexp_f32 v13, v20, v21
	v_cmp_ngt_f32_e64 s[44:45], s76, v19
	buffer_store_dword v3, off, s[84:87], 0 offset:136 ; 4-byte Folded Spill
	v_cndmask_b32_e64 v13, 0, v13, s[44:45]
	v_cmp_nlt_f32_e64 s[44:45], s77, v19
	buffer_store_dword v34, off, s[84:87], 0 offset:44 ; 4-byte Folded Spill
	s_nop 0
	buffer_store_dword v35, off, s[84:87], 0 offset:48 ; 4-byte Folded Spill
	buffer_store_dword v36, off, s[84:87], 0 offset:52 ; 4-byte Folded Spill
	;; [unrolled: 1-line block ×7, first 2 shown]
	v_cndmask_b32_e64 v30, v2, v13, s[44:45]
	buffer_load_dword v2, off, s[84:87], 0 offset:272 ; 4-byte Folded Reload
	v_cvt_f16_f32_e32 v15, v109
	v_cvt_f16_f32_e32 v11, v3
	;; [unrolled: 1-line block ×3, first 2 shown]
	v_cmp_ngt_f32_e64 s[40:41], s76, v114
	v_cmp_nlt_f32_e64 s[42:43], s77, v114
	v_cmp_ngt_f32_e64 s[14:15], s76, v0
	v_cmp_nlt_f32_e64 s[16:17], s77, v0
	v_cmp_ngt_f32_e64 s[18:19], s76, v115
	v_cmp_nlt_f32_e64 s[20:21], s77, v115
	v_cmp_ngt_f32_e64 s[22:23], s76, v116
	v_cmp_nlt_f32_e64 s[24:25], s77, v116
	v_cmp_ngt_f32_e64 s[26:27], s76, v117
	v_cmp_nlt_f32_e64 s[28:29], s77, v117
	v_cmp_ngt_f32_e64 s[30:31], s76, v124
	v_cmp_nlt_f32_e64 s[34:35], s77, v124
	v_cmp_ngt_f32_e64 s[36:37], s76, v125
	v_cmp_nlt_f32_e64 s[38:39], s77, v125
	v_pack_b32_f16 v13, v11, v13
	v_pack_b32_f16 v12, v18, v12
	;; [unrolled: 1-line block ×3, first 2 shown]
	v_sub_f32_e32 v126, v10, v41
	v_cmp_ngt_f32_e64 s[44:45], s76, v126
	v_cmp_nlt_f32_e64 s[46:47], s77, v126
	v_pack_b32_f16 v10, v16, v17
	s_waitcnt vmcnt(0)
	ds_write_b128 v2, v[10:13]
	s_and_saveexec_b64 s[60:61], s[8:9]
	s_cbranch_execz .LBB17_29
; %bb.28:                               ;   in Loop: Header=BB17_19 Depth=1
	buffer_load_dword v2, off, s[84:87], 0 offset:276 ; 4-byte Folded Reload
	buffer_load_dword v3, off, s[84:87], 0 offset:280 ; 4-byte Folded Reload
	v_mov_b32_e32 v10, s80
	s_waitcnt vmcnt(1)
	v_add_co_u32_e64 v11, s[50:51], s79, v2
	buffer_load_dword v2, off, s[84:87], 0 offset:4 ; 4-byte Folded Reload
	s_waitcnt vmcnt(1)
	v_addc_co_u32_e64 v12, s[50:51], v10, v3, s[50:51]
	s_waitcnt vmcnt(0)
	v_add_co_u32_e64 v10, s[50:51], v11, v2
	v_addc_co_u32_e64 v11, s[50:51], 0, v12, s[50:51]
	global_load_dwordx4 v[10:13], v[10:11], off offset:192
	s_nop 0
	buffer_load_dword v2, off, s[84:87], 0 offset:232 ; 4-byte Folded Reload
	s_waitcnt vmcnt(0)
	ds_write_b128 v2, v[10:13]
.LBB17_29:                              ;   in Loop: Header=BB17_19 Depth=1
	s_or_b64 exec, exec, s[60:61]
	s_and_saveexec_b64 s[60:61], s[10:11]
	s_cbranch_execz .LBB17_31
; %bb.30:                               ;   in Loop: Header=BB17_19 Depth=1
	buffer_load_dword v2, off, s[84:87], 0 offset:284 ; 4-byte Folded Reload
	buffer_load_dword v3, off, s[84:87], 0 offset:288 ; 4-byte Folded Reload
	v_mov_b32_e32 v10, s80
	s_waitcnt vmcnt(1)
	v_add_co_u32_e64 v11, s[50:51], s79, v2
	buffer_load_dword v2, off, s[84:87], 0 offset:8 ; 4-byte Folded Reload
	s_waitcnt vmcnt(1)
	v_addc_co_u32_e64 v12, s[50:51], v10, v3, s[50:51]
	s_waitcnt vmcnt(0)
	v_add_co_u32_e64 v10, s[50:51], v11, v2
	v_addc_co_u32_e64 v11, s[50:51], 0, v12, s[50:51]
	global_load_dwordx4 v[10:13], v[10:11], off offset:128
	s_nop 0
	buffer_load_dword v2, off, s[84:87], 0 offset:236 ; 4-byte Folded Reload
	s_waitcnt vmcnt(0)
	ds_write_b128 v2, v[10:13]
.LBB17_31:                              ;   in Loop: Header=BB17_19 Depth=1
	s_or_b64 exec, exec, s[60:61]
	buffer_load_dword v2, off, s[84:87], 0 offset:240 ; 4-byte Folded Reload
	s_waitcnt vmcnt(0)
	v_lshlrev_b32_e32 v106, 2, v2
	s_and_saveexec_b64 s[60:61], s[12:13]
	s_cbranch_execz .LBB17_33
; %bb.32:                               ;   in Loop: Header=BB17_19 Depth=1
	buffer_load_dword v2, off, s[84:87], 0 offset:292 ; 4-byte Folded Reload
	buffer_load_dword v3, off, s[84:87], 0 offset:296 ; 4-byte Folded Reload
	v_mov_b32_e32 v10, s80
	s_waitcnt vmcnt(1)
	v_add_co_u32_e64 v11, s[50:51], s79, v2
	s_waitcnt vmcnt(0)
	v_addc_co_u32_e64 v12, s[50:51], v10, v3, s[50:51]
	v_add_co_u32_e64 v10, s[50:51], v11, v106
	v_addc_co_u32_e64 v11, s[50:51], 0, v12, s[50:51]
	global_load_dwordx4 v[10:13], v[10:11], off
	s_nop 0
	buffer_load_dword v2, off, s[84:87], 0 offset:244 ; 4-byte Folded Reload
	s_waitcnt vmcnt(0)
	ds_write_b128 v2, v[10:13]
.LBB17_33:                              ;   in Loop: Header=BB17_19 Depth=1
	s_or_b64 exec, exec, s[60:61]
	buffer_store_dword v61, off, s[84:87], 0 offset:36 ; 4-byte Folded Spill
	buffer_store_dword v60, off, s[84:87], 0 offset:40 ; 4-byte Folded Spill
	;; [unrolled: 1-line block ×8, first 2 shown]
	s_waitcnt vmcnt(0) lgkmcnt(0)
	s_barrier
	buffer_load_dword v2, off, s[84:87], 0 offset:172 ; 4-byte Folded Reload
	v_mov_b32_e32 v4, v69
	v_mov_b32_e32 v5, v68
	;; [unrolled: 1-line block ×8, first 2 shown]
	s_or_b32 s50, s6, 16
	s_mul_hi_i32 s51, s50, s65
	s_mul_i32 s50, s50, s65
	s_lshl_b64 s[50:51], s[50:51], 2
	s_add_u32 s79, s73, s50
	s_addc_u32 s80, s74, s51
	s_waitcnt vmcnt(0)
	v_add_u32_e32 v10, 0x3800, v2
	ds_read2_b64 v[94:97], v10 offset1:28
	ds_read_b128 v[102:105], v107
	ds_read_b128 v[98:101], v107 offset:16
	ds_read_b128 v[90:93], v107 offset:32
	;; [unrolled: 1-line block ×3, first 2 shown]
	ds_read2_b64 v[82:85], v10 offset0:56 offset1:84
	ds_read2_b64 v[58:61], v10 offset0:112 offset1:140
	ds_read_b128 v[78:81], v107 offset:64
	ds_read_b128 v[74:77], v107 offset:80
	ds_read2_b64 v[26:29], v10 offset0:168 offset1:196
	ds_read_b128 v[70:73], v107 offset:96
	ds_read_b128 v[66:69], v107 offset:112
	buffer_store_dword v10, off, s[84:87], 0 offset:144 ; 4-byte Folded Spill
	v_add_u32_e32 v2, 0x4000, v2
	ds_read2_b64 v[22:25], v10 offset0:224 offset1:252
	ds_read_b128 v[62:65], v107 offset:128
	ds_read_b128 v[54:57], v107 offset:144
	ds_read2_b64 v[18:21], v2 offset0:24 offset1:52
	ds_read_b128 v[50:53], v107 offset:160
	ds_read_b128 v[46:49], v107 offset:176
	;; [unrolled: 3-line block ×3, first 2 shown]
	buffer_store_dword v2, off, s[84:87], 0 offset:140 ; 4-byte Folded Spill
	ds_read2_b64 v[10:13], v2 offset0:136 offset1:164
	ds_read_b128 v[34:37], v107 offset:224
	ds_read_b128 v[110:113], v107 offset:240
	s_waitcnt lgkmcnt(0)
	buffer_store_dword v110, off, s[84:87], 0 offset:148 ; 4-byte Folded Spill
	s_nop 0
	buffer_store_dword v111, off, s[84:87], 0 offset:152 ; 4-byte Folded Spill
	buffer_store_dword v112, off, s[84:87], 0 offset:156 ; 4-byte Folded Spill
	;; [unrolled: 1-line block ×3, first 2 shown]
	s_waitcnt vmcnt(0)
	s_barrier
	s_and_saveexec_b64 s[60:61], s[8:9]
	s_cbranch_execz .LBB17_35
; %bb.34:                               ;   in Loop: Header=BB17_19 Depth=1
	buffer_load_dword v32, off, s[84:87], 0 offset:276 ; 4-byte Folded Reload
	buffer_load_dword v33, off, s[84:87], 0 offset:280 ; 4-byte Folded Reload
	;; [unrolled: 1-line block ×3, first 2 shown]
	v_mov_b32_e32 v107, s80
	s_waitcnt vmcnt(2)
	v_add_co_u32_e64 v108, s[50:51], s79, v32
	s_waitcnt vmcnt(1)
	v_addc_co_u32_e64 v110, s[50:51], v107, v33, s[50:51]
	s_waitcnt vmcnt(0)
	v_add_co_u32_e64 v107, s[50:51], v108, v2
	v_addc_co_u32_e64 v108, s[50:51], 0, v110, s[50:51]
	global_load_dwordx4 v[110:113], v[107:108], off offset:192
	buffer_load_dword v2, off, s[84:87], 0 offset:232 ; 4-byte Folded Reload
	s_waitcnt vmcnt(0)
	ds_write_b128 v2, v[110:113]
.LBB17_35:                              ;   in Loop: Header=BB17_19 Depth=1
	s_or_b64 exec, exec, s[60:61]
	s_and_saveexec_b64 s[60:61], s[10:11]
	s_cbranch_execz .LBB17_37
; %bb.36:                               ;   in Loop: Header=BB17_19 Depth=1
	buffer_load_dword v32, off, s[84:87], 0 offset:284 ; 4-byte Folded Reload
	buffer_load_dword v33, off, s[84:87], 0 offset:288 ; 4-byte Folded Reload
	;; [unrolled: 1-line block ×3, first 2 shown]
	v_mov_b32_e32 v107, s80
	s_waitcnt vmcnt(2)
	v_add_co_u32_e64 v108, s[50:51], s79, v32
	s_waitcnt vmcnt(1)
	v_addc_co_u32_e64 v110, s[50:51], v107, v33, s[50:51]
	s_waitcnt vmcnt(0)
	v_add_co_u32_e64 v107, s[50:51], v108, v2
	v_addc_co_u32_e64 v108, s[50:51], 0, v110, s[50:51]
	global_load_dwordx4 v[110:113], v[107:108], off offset:128
	buffer_load_dword v2, off, s[84:87], 0 offset:236 ; 4-byte Folded Reload
	s_waitcnt vmcnt(0)
	ds_write_b128 v2, v[110:113]
.LBB17_37:                              ;   in Loop: Header=BB17_19 Depth=1
	s_or_b64 exec, exec, s[60:61]
	buffer_store_dword v30, off, s[84:87], 0 offset:132 ; 4-byte Folded Spill
	buffer_store_dword v109, off, s[84:87], 0 offset:124 ; 4-byte Folded Spill
	s_and_saveexec_b64 s[60:61], s[12:13]
	s_cbranch_execz .LBB17_39
; %bb.38:                               ;   in Loop: Header=BB17_19 Depth=1
	buffer_load_dword v32, off, s[84:87], 0 offset:292 ; 4-byte Folded Reload
	buffer_load_dword v33, off, s[84:87], 0 offset:296 ; 4-byte Folded Reload
	v_mov_b32_e32 v107, s80
	buffer_load_dword v2, off, s[84:87], 0 offset:244 ; 4-byte Folded Reload
	s_waitcnt vmcnt(2)
	v_add_co_u32_e64 v108, s[50:51], s79, v32
	s_waitcnt vmcnt(1)
	v_addc_co_u32_e64 v107, s[50:51], v107, v33, s[50:51]
	v_add_co_u32_e64 v106, s[50:51], v108, v106
	v_addc_co_u32_e64 v107, s[50:51], 0, v107, s[50:51]
	global_load_dwordx4 v[110:113], v[106:107], off
	s_waitcnt vmcnt(0)
	ds_write_b128 v2, v[110:113]
.LBB17_39:                              ;   in Loop: Header=BB17_19 Depth=1
	s_or_b64 exec, exec, s[60:61]
	v_mul_u32_u24_sdwa v127, v98, s78 dst_sel:DWORD dst_unused:UNUSED_PAD src0_sel:WORD_0 src1_sel:DWORD
	v_mul_u32_u24_sdwa v113, v98, s78 dst_sel:DWORD dst_unused:UNUSED_PAD src0_sel:WORD_1 src1_sel:DWORD
	v_mul_f32_e32 v98, 0x3fb8aa3b, v114
	v_mul_u32_u24_sdwa v123, v99, s78 dst_sel:DWORD dst_unused:UNUSED_PAD src0_sel:WORD_0 src1_sel:DWORD
	v_mul_u32_u24_sdwa v118, v99, s78 dst_sel:DWORD dst_unused:UNUSED_PAD src0_sel:WORD_1 src1_sel:DWORD
	v_mul_u32_u24_sdwa v121, v100, s78 dst_sel:DWORD dst_unused:UNUSED_PAD src0_sel:WORD_0 src1_sel:DWORD
	v_mul_u32_u24_sdwa v111, v100, s78 dst_sel:DWORD dst_unused:UNUSED_PAD src0_sel:WORD_1 src1_sel:DWORD
	v_fma_f32 v99, v114, s75, -v98
	v_rndne_f32_e32 v100, v98
	v_fmac_f32_e32 v99, 0x32a5705f, v114
	v_sub_f32_e32 v98, v98, v100
	v_add_f32_e32 v98, v98, v99
	v_exp_f32_e32 v98, v98
	v_cvt_i32_f32_e32 v99, v100
	v_mul_u32_u24_sdwa v120, v105, s78 dst_sel:DWORD dst_unused:UNUSED_PAD src0_sel:WORD_0 src1_sel:DWORD
	v_mul_u32_u24_sdwa v119, v105, s78 dst_sel:DWORD dst_unused:UNUSED_PAD src0_sel:WORD_1 src1_sel:DWORD
	v_mul_u32_u24_sdwa v112, v101, s78 dst_sel:DWORD dst_unused:UNUSED_PAD src0_sel:WORD_0 src1_sel:DWORD
	v_ldexp_f32 v98, v98, v99
	v_mul_f32_e32 v99, 0x3fb8aa3b, v0
	v_fma_f32 v100, v0, s75, -v99
	v_fmac_f32_e32 v100, 0x32a5705f, v0
	v_rndne_f32_e32 v0, v99
	v_sub_f32_e32 v99, v99, v0
	v_add_f32_e32 v99, v99, v100
	v_exp_f32_e32 v99, v99
	v_cvt_i32_f32_e32 v0, v0
	v_mul_u32_u24_sdwa v105, v101, s78 dst_sel:DWORD dst_unused:UNUSED_PAD src0_sel:WORD_1 src1_sel:DWORD
	v_mul_u32_u24_sdwa v109, v102, s78 dst_sel:DWORD dst_unused:UNUSED_PAD src0_sel:WORD_0 src1_sel:DWORD
	v_mul_u32_u24_sdwa v110, v102, s78 dst_sel:DWORD dst_unused:UNUSED_PAD src0_sel:WORD_1 src1_sel:DWORD
	v_ldexp_f32 v99, v99, v0
	v_mul_f32_e32 v0, 0x3fb8aa3b, v115
	v_fma_f32 v100, v115, s75, -v0
	v_rndne_f32_e32 v101, v0
	v_fmac_f32_e32 v100, 0x32a5705f, v115
	v_sub_f32_e32 v0, v0, v101
	v_add_f32_e32 v0, v0, v100
	v_exp_f32_e32 v0, v0
	v_cvt_i32_f32_e32 v100, v101
	v_mul_u32_u24_sdwa v108, v103, s78 dst_sel:DWORD dst_unused:UNUSED_PAD src0_sel:WORD_0 src1_sel:DWORD
	v_mul_u32_u24_sdwa v107, v103, s78 dst_sel:DWORD dst_unused:UNUSED_PAD src0_sel:WORD_1 src1_sel:DWORD
	v_mul_u32_u24_sdwa v106, v104, s78 dst_sel:DWORD dst_unused:UNUSED_PAD src0_sel:WORD_0 src1_sel:DWORD
	v_ldexp_f32 v100, v0, v100
	v_mul_f32_e32 v0, 0x3fb8aa3b, v116
	v_fma_f32 v101, v116, s75, -v0
	v_rndne_f32_e32 v102, v0
	v_fmac_f32_e32 v101, 0x32a5705f, v116
	v_sub_f32_e32 v0, v0, v102
	v_add_f32_e32 v0, v0, v101
	v_exp_f32_e32 v0, v0
	v_cvt_i32_f32_e32 v101, v102
	v_mul_u32_u24_sdwa v122, v104, s78 dst_sel:DWORD dst_unused:UNUSED_PAD src0_sel:WORD_1 src1_sel:DWORD
	v_mov_b32_e32 v30, 0x7f800000
	v_ldexp_f32 v101, v0, v101
	v_mul_f32_e32 v0, 0x3fb8aa3b, v117
	v_fma_f32 v102, v117, s75, -v0
	v_rndne_f32_e32 v103, v0
	v_fmac_f32_e32 v102, 0x32a5705f, v117
	v_sub_f32_e32 v0, v0, v103
	v_add_f32_e32 v0, v0, v102
	v_exp_f32_e32 v0, v0
	v_cvt_i32_f32_e32 v102, v103
	v_ldexp_f32 v102, v0, v102
	v_mul_f32_e32 v0, 0x3fb8aa3b, v124
	v_fma_f32 v103, v124, s75, -v0
	v_rndne_f32_e32 v104, v0
	v_fmac_f32_e32 v103, 0x32a5705f, v124
	v_sub_f32_e32 v0, v0, v104
	v_add_f32_e32 v0, v0, v103
	v_exp_f32_e32 v0, v0
	v_cvt_i32_f32_e32 v103, v104
	;; [unrolled: 9-line block ×4, first 2 shown]
	v_ldexp_f32 v114, v0, v114
	v_cndmask_b32_e64 v0, 0, v98, s[40:41]
	v_cndmask_b32_e64 v0, v30, v0, s[42:43]
	v_cvt_f16_f32_e32 v98, v0
	buffer_store_dword v0, off, s[84:87], 0 offset:164 ; 4-byte Folded Spill
	v_mul_u32_u24_e32 v98, 0x10001, v98
	v_pk_mul_f16 v115, v5, v98
	v_pk_mul_f16 v116, v4, v98
	v_cndmask_b32_e64 v98, 0, v99, s[14:15]
	v_cndmask_b32_e64 v0, v30, v98, s[16:17]
	v_cvt_f16_f32_e32 v99, v0
	buffer_load_dword v4, off, s[84:87], 0 offset:40 ; 4-byte Folded Reload
	buffer_load_dword v5, off, s[84:87], 0 offset:36 ; 4-byte Folded Reload
	;; [unrolled: 1-line block ×3, first 2 shown]
	v_mul_u32_u24_e32 v99, 0x10001, v99
	v_pk_mul_f16 v117, v7, v99
	v_pk_mul_f16 v124, v6, v99
	v_cndmask_b32_e64 v99, 0, v100, s[18:19]
	v_cndmask_b32_e64 v99, v30, v99, s[20:21]
	v_cvt_f16_f32_e32 v100, v99
	buffer_load_dword v6, off, s[84:87], 0 offset:32 ; 4-byte Folded Reload
	buffer_load_dword v7, off, s[84:87], 0 offset:28 ; 4-byte Folded Reload
	v_pk_fma_f16 v115, v94, v109, v115
	v_mul_u32_u24_e32 v100, 0x10001, v100
	v_pk_mul_f16 v125, v31, v100
	v_pk_mul_f16 v126, v8, v100
	v_cndmask_b32_e64 v100, 0, v101, s[22:23]
	v_cndmask_b32_e64 v100, v30, v100, s[24:25]
	v_cvt_f16_f32_e32 v101, v100
	buffer_load_dword v8, off, s[84:87], 0 offset:24 ; 4-byte Folded Reload
	v_pk_fma_f16 v109, v95, v109, v116
	buffer_store_dword v0, off, s[84:87], 0 offset:168 ; 4-byte Folded Spill
	v_mul_u32_u24_e32 v101, 0x10001, v101
	v_pk_mul_f16 v2, v9, v101
	buffer_load_dword v9, off, s[84:87], 0 offset:20 ; 4-byte Folded Reload
	v_pk_mul_f16 v0, v3, v101
	v_cndmask_b32_e64 v3, 0, v102, s[26:27]
	v_cndmask_b32_e64 v101, v30, v3, s[28:29]
	v_cvt_f16_f32_e32 v3, v101
	v_pk_fma_f16 v116, v94, v110, v117
	v_pk_fma_f16 v110, v95, v110, v124
	;; [unrolled: 1-line block ×3, first 2 shown]
	v_mul_u32_u24_e32 v3, 0x10001, v3
	v_pk_fma_f16 v108, v95, v108, v126
	v_pk_fma_f16 v2, v95, v107, v2
	;; [unrolled: 1-line block ×7, first 2 shown]
	v_mul_u32_u24_sdwa v116, v34, s78 dst_sel:DWORD dst_unused:UNUSED_PAD src0_sel:WORD_0 src1_sel:DWORD
	v_mul_u32_u24_sdwa v34, v34, s78 dst_sel:DWORD dst_unused:UNUSED_PAD src0_sel:WORD_1 src1_sel:DWORD
	v_mul_u32_u24_sdwa v118, v36, s78 dst_sel:DWORD dst_unused:UNUSED_PAD src0_sel:WORD_0 src1_sel:DWORD
	v_mul_u32_u24_sdwa v36, v36, s78 dst_sel:DWORD dst_unused:UNUSED_PAD src0_sel:WORD_1 src1_sel:DWORD
	s_waitcnt vmcnt(7)
	v_pk_mul_f16 v4, v4, v3
	s_waitcnt vmcnt(6)
	v_pk_mul_f16 v3, v5, v3
	v_cndmask_b32_e64 v5, 0, v103, s[30:31]
	v_cndmask_b32_e64 v102, v30, v5, s[34:35]
	v_cvt_f16_f32_e32 v5, v102
	v_pk_fma_f16 v4, v94, v106, v4
	v_pk_fma_f16 v3, v95, v106, v3
	;; [unrolled: 1-line block ×3, first 2 shown]
	v_mul_u32_u24_e32 v5, 0x10001, v5
	s_waitcnt vmcnt(4)
	v_pk_mul_f16 v6, v6, v5
	s_waitcnt vmcnt(3)
	v_pk_mul_f16 v5, v7, v5
	v_cndmask_b32_e64 v7, 0, v104, s[36:37]
	v_cndmask_b32_e64 v103, v30, v7, s[38:39]
	v_cvt_f16_f32_e32 v7, v103
	v_pk_fma_f16 v5, v95, v122, v5
	v_pk_fma_f16 v6, v94, v122, v6
	;; [unrolled: 1-line block ×3, first 2 shown]
	v_mul_u32_u24_e32 v7, 0x10001, v7
	s_waitcnt vmcnt(2)
	v_pk_mul_f16 v8, v8, v7
	v_pk_fma_f16 v8, v94, v120, v8
	v_pk_fma_f16 v110, v96, v123, v117
	;; [unrolled: 1-line block ×4, first 2 shown]
	s_waitcnt vmcnt(0)
	v_pk_mul_f16 v7, v9, v7
	v_cndmask_b32_e64 v9, 0, v114, s[44:45]
	v_cndmask_b32_e64 v104, v30, v9, s[46:47]
	v_cvt_f16_f32_e32 v9, v104
	v_pk_fma_f16 v7, v95, v120, v7
	v_pk_fma_f16 v6, v96, v111, v6
	;; [unrolled: 1-line block ×3, first 2 shown]
	v_mul_u32_u24_e32 v9, 0x10001, v9
	v_pk_mul_f16 v114, v98, v9
	buffer_load_dword v98, off, s[84:87], 0 offset:12 ; 4-byte Folded Reload
	buffer_load_dword v30, off, s[84:87], 0 offset:148 ; 4-byte Folded Reload
	;; [unrolled: 1-line block ×5, first 2 shown]
	v_pk_fma_f16 v94, v94, v119, v114
	v_pk_fma_f16 v8, v96, v112, v8
	;; [unrolled: 1-line block ×4, first 2 shown]
	v_mul_u32_u24_sdwa v111, v93, s78 dst_sel:DWORD dst_unused:UNUSED_PAD src0_sel:WORD_0 src1_sel:DWORD
	v_mul_u32_u24_sdwa v93, v93, s78 dst_sel:DWORD dst_unused:UNUSED_PAD src0_sel:WORD_1 src1_sel:DWORD
	v_mul_u32_u24_sdwa v112, v86, s78 dst_sel:DWORD dst_unused:UNUSED_PAD src0_sel:WORD_0 src1_sel:DWORD
	v_mul_u32_u24_sdwa v86, v86, s78 dst_sel:DWORD dst_unused:UNUSED_PAD src0_sel:WORD_1 src1_sel:DWORD
	;; [unrolled: 2-line block ×4, first 2 shown]
	v_pk_fma_f16 v8, v82, v111, v8
	v_pk_fma_f16 v7, v83, v111, v7
	v_mul_u32_u24_sdwa v111, v69, s78 dst_sel:DWORD dst_unused:UNUSED_PAD src0_sel:WORD_0 src1_sel:DWORD
	v_mul_u32_u24_sdwa v69, v69, s78 dst_sel:DWORD dst_unused:UNUSED_PAD src0_sel:WORD_1 src1_sel:DWORD
	v_mul_u32_u24_sdwa v117, v35, s78 dst_sel:DWORD dst_unused:UNUSED_PAD src0_sel:WORD_0 src1_sel:DWORD
	v_mul_u32_u24_sdwa v35, v35, s78 dst_sel:DWORD dst_unused:UNUSED_PAD src0_sel:WORD_1 src1_sel:DWORD
	s_waitcnt vmcnt(3)
	v_mul_u32_u24_sdwa v120, v30, s78 dst_sel:DWORD dst_unused:UNUSED_PAD src0_sel:WORD_0 src1_sel:DWORD
	v_mul_u32_u24_sdwa v30, v30, s78 dst_sel:DWORD dst_unused:UNUSED_PAD src0_sel:WORD_1 src1_sel:DWORD
	v_pk_mul_f16 v9, v98, v9
	buffer_load_dword v98, off, s[84:87], 0 offset:76 ; 4-byte Folded Reload
	buffer_load_dword v124, off, s[84:87], 0 offset:112 ; 4-byte Folded Reload
	;; [unrolled: 1-line block ×3, first 2 shown]
	v_pk_fma_f16 v9, v95, v119, v9
	v_pk_fma_f16 v95, v96, v127, v115
	;; [unrolled: 1-line block ×3, first 2 shown]
	v_mul_u32_u24_sdwa v96, v90, s78 dst_sel:DWORD dst_unused:UNUSED_PAD src0_sel:WORD_0 src1_sel:DWORD
	v_mul_u32_u24_sdwa v90, v90, s78 dst_sel:DWORD dst_unused:UNUSED_PAD src0_sel:WORD_1 src1_sel:DWORD
	v_mul_u32_u24_sdwa v97, v91, s78 dst_sel:DWORD dst_unused:UNUSED_PAD src0_sel:WORD_0 src1_sel:DWORD
	v_mul_u32_u24_sdwa v91, v91, s78 dst_sel:DWORD dst_unused:UNUSED_PAD src0_sel:WORD_1 src1_sel:DWORD
	;; [unrolled: 2-line block ×4, first 2 shown]
	v_pk_fma_f16 v95, v82, v96, v95
	v_pk_fma_f16 v96, v83, v96, v106
	;; [unrolled: 1-line block ×24, first 2 shown]
	v_mul_u32_u24_sdwa v87, v78, s78 dst_sel:DWORD dst_unused:UNUSED_PAD src0_sel:WORD_0 src1_sel:DWORD
	v_pk_fma_f16 v6, v84, v88, v6
	v_pk_fma_f16 v5, v85, v88, v5
	v_mul_u32_u24_sdwa v78, v78, s78 dst_sel:DWORD dst_unused:UNUSED_PAD src0_sel:WORD_1 src1_sel:DWORD
	v_pk_fma_f16 v8, v84, v115, v8
	v_pk_fma_f16 v7, v85, v115, v7
	v_mul_u32_u24_sdwa v88, v79, s78 dst_sel:DWORD dst_unused:UNUSED_PAD src0_sel:WORD_0 src1_sel:DWORD
	v_pk_fma_f16 v82, v84, v89, v82
	v_pk_fma_f16 v9, v85, v89, v9
	v_mul_u32_u24_sdwa v79, v79, s78 dst_sel:DWORD dst_unused:UNUSED_PAD src0_sel:WORD_1 src1_sel:DWORD
	v_mul_u32_u24_sdwa v84, v80, s78 dst_sel:DWORD dst_unused:UNUSED_PAD src0_sel:WORD_0 src1_sel:DWORD
	v_mul_u32_u24_sdwa v80, v80, s78 dst_sel:DWORD dst_unused:UNUSED_PAD src0_sel:WORD_1 src1_sel:DWORD
	v_mul_u32_u24_sdwa v85, v81, s78 dst_sel:DWORD dst_unused:UNUSED_PAD src0_sel:WORD_0 src1_sel:DWORD
	;; [unrolled: 2-line block ×6, first 2 shown]
	v_mul_u32_u24_sdwa v77, v77, s78 dst_sel:DWORD dst_unused:UNUSED_PAD src0_sel:WORD_1 src1_sel:DWORD
	v_pk_fma_f16 v83, v58, v87, v83
	v_pk_fma_f16 v87, v59, v87, v91
	;; [unrolled: 1-line block ×11, first 2 shown]
	v_mul_u32_u24_sdwa v97, v70, s78 dst_sel:DWORD dst_unused:UNUSED_PAD src0_sel:WORD_0 src1_sel:DWORD
	v_mul_u32_u24_sdwa v70, v70, s78 dst_sel:DWORD dst_unused:UNUSED_PAD src0_sel:WORD_1 src1_sel:DWORD
	v_mul_u32_u24_sdwa v105, v71, s78 dst_sel:DWORD dst_unused:UNUSED_PAD src0_sel:WORD_0 src1_sel:DWORD
	v_mul_u32_u24_sdwa v71, v71, s78 dst_sel:DWORD dst_unused:UNUSED_PAD src0_sel:WORD_1 src1_sel:DWORD
	;; [unrolled: 2-line block ×4, first 2 shown]
	v_pk_fma_f16 v88, v59, v88, v93
	v_pk_fma_f16 v2, v59, v79, v2
	;; [unrolled: 1-line block ×3, first 2 shown]
	s_waitcnt vmcnt(0)
	v_fmac_f32_e32 v124, v98, v125
	buffer_load_dword v98, off, s[84:87], 0 offset:80 ; 4-byte Folded Reload
	buffer_load_dword v126, off, s[84:87], 0 offset:120 ; 4-byte Folded Reload
	;; [unrolled: 1-line block ×3, first 2 shown]
	v_pk_fma_f16 v5, v59, v80, v5
	v_pk_fma_f16 v7, v59, v85, v7
	;; [unrolled: 1-line block ×12, first 2 shown]
	v_mul_u32_u24_sdwa v108, v66, s78 dst_sel:DWORD dst_unused:UNUSED_PAD src0_sel:WORD_0 src1_sel:DWORD
	v_mul_u32_u24_sdwa v66, v66, s78 dst_sel:DWORD dst_unused:UNUSED_PAD src0_sel:WORD_1 src1_sel:DWORD
	v_mul_u32_u24_sdwa v109, v67, s78 dst_sel:DWORD dst_unused:UNUSED_PAD src0_sel:WORD_0 src1_sel:DWORD
	v_mul_u32_u24_sdwa v67, v67, s78 dst_sel:DWORD dst_unused:UNUSED_PAD src0_sel:WORD_1 src1_sel:DWORD
	v_mul_u32_u24_sdwa v110, v68, s78 dst_sel:DWORD dst_unused:UNUSED_PAD src0_sel:WORD_0 src1_sel:DWORD
	v_mul_u32_u24_sdwa v68, v68, s78 dst_sel:DWORD dst_unused:UNUSED_PAD src0_sel:WORD_1 src1_sel:DWORD
	v_pk_fma_f16 v79, v61, v89, v87
	v_pk_fma_f16 v81, v61, v94, v88
	;; [unrolled: 1-line block ×16, first 2 shown]
	v_mul_u32_u24_sdwa v112, v62, s78 dst_sel:DWORD dst_unused:UNUSED_PAD src0_sel:WORD_0 src1_sel:DWORD
	v_mul_u32_u24_sdwa v62, v62, s78 dst_sel:DWORD dst_unused:UNUSED_PAD src0_sel:WORD_1 src1_sel:DWORD
	v_mul_u32_u24_sdwa v113, v63, s78 dst_sel:DWORD dst_unused:UNUSED_PAD src0_sel:WORD_0 src1_sel:DWORD
	v_mul_u32_u24_sdwa v63, v63, s78 dst_sel:DWORD dst_unused:UNUSED_PAD src0_sel:WORD_1 src1_sel:DWORD
	;; [unrolled: 2-line block ×4, first 2 shown]
	v_pk_fma_f16 v79, v27, v97, v79
	v_pk_fma_f16 v78, v27, v105, v81
	;; [unrolled: 1-line block ×15, first 2 shown]
	v_mul_u32_u24_sdwa v75, v54, s78 dst_sel:DWORD dst_unused:UNUSED_PAD src0_sel:WORD_0 src1_sel:DWORD
	v_mul_u32_u24_sdwa v54, v54, s78 dst_sel:DWORD dst_unused:UNUSED_PAD src0_sel:WORD_1 src1_sel:DWORD
	v_mul_u32_u24_sdwa v76, v55, s78 dst_sel:DWORD dst_unused:UNUSED_PAD src0_sel:WORD_0 src1_sel:DWORD
	v_mul_u32_u24_sdwa v55, v55, s78 dst_sel:DWORD dst_unused:UNUSED_PAD src0_sel:WORD_1 src1_sel:DWORD
	;; [unrolled: 2-line block ×4, first 2 shown]
	v_pk_fma_f16 v28, v29, v108, v79
	v_pk_fma_f16 v66, v29, v66, v70
	;; [unrolled: 1-line block ×14, first 2 shown]
	s_waitcnt vmcnt(0)
	v_fmac_f32_e32 v126, v98, v125
	buffer_load_dword v98, off, s[84:87], 0 offset:84 ; 4-byte Folded Reload
	buffer_load_dword v127, off, s[84:87], 0 offset:124 ; 4-byte Folded Reload
	v_pk_fma_f16 v22, v22, v65, v26
	v_pk_fma_f16 v9, v23, v65, v9
	v_mul_u32_u24_sdwa v77, v50, s78 dst_sel:DWORD dst_unused:UNUSED_PAD src0_sel:WORD_0 src1_sel:DWORD
	v_mul_u32_u24_sdwa v50, v50, s78 dst_sel:DWORD dst_unused:UNUSED_PAD src0_sel:WORD_1 src1_sel:DWORD
	v_mul_u32_u24_sdwa v82, v51, s78 dst_sel:DWORD dst_unused:UNUSED_PAD src0_sel:WORD_0 src1_sel:DWORD
	v_mul_u32_u24_sdwa v51, v51, s78 dst_sel:DWORD dst_unused:UNUSED_PAD src0_sel:WORD_1 src1_sel:DWORD
	v_mul_u32_u24_sdwa v83, v52, s78 dst_sel:DWORD dst_unused:UNUSED_PAD src0_sel:WORD_0 src1_sel:DWORD
	v_mul_u32_u24_sdwa v52, v52, s78 dst_sel:DWORD dst_unused:UNUSED_PAD src0_sel:WORD_1 src1_sel:DWORD
	v_mul_u32_u24_sdwa v84, v53, s78 dst_sel:DWORD dst_unused:UNUSED_PAD src0_sel:WORD_0 src1_sel:DWORD
	v_mul_u32_u24_sdwa v53, v53, s78 dst_sel:DWORD dst_unused:UNUSED_PAD src0_sel:WORD_1 src1_sel:DWORD
	v_pk_fma_f16 v26, v23, v112, v28
	v_pk_fma_f16 v28, v23, v62, v66
	v_pk_fma_f16 v59, v23, v113, v70
	v_pk_fma_f16 v2, v23, v63, v2
	v_pk_fma_f16 v3, v23, v114, v3
	v_pk_fma_f16 v5, v23, v64, v5
	v_pk_fma_f16 v7, v23, v115, v7
	v_pk_fma_f16 v23, v24, v75, v27
	v_pk_fma_f16 v27, v24, v54, v29
	v_pk_fma_f16 v29, v24, v76, v58
	v_pk_fma_f16 v0, v24, v55, v0
	v_pk_fma_f16 v4, v24, v60, v4
	v_pk_fma_f16 v6, v24, v56, v6
	v_pk_fma_f16 v8, v24, v61, v8
	v_pk_fma_f16 v22, v24, v57, v22
	v_pk_fma_f16 v9, v25, v57, v9
	v_mul_u32_u24_sdwa v85, v46, s78 dst_sel:DWORD dst_unused:UNUSED_PAD src0_sel:WORD_0 src1_sel:DWORD
	v_mul_u32_u24_sdwa v46, v46, s78 dst_sel:DWORD dst_unused:UNUSED_PAD src0_sel:WORD_1 src1_sel:DWORD
	v_mul_u32_u24_sdwa v86, v47, s78 dst_sel:DWORD dst_unused:UNUSED_PAD src0_sel:WORD_0 src1_sel:DWORD
	v_mul_u32_u24_sdwa v47, v47, s78 dst_sel:DWORD dst_unused:UNUSED_PAD src0_sel:WORD_1 src1_sel:DWORD
	v_mul_u32_u24_sdwa v87, v48, s78 dst_sel:DWORD dst_unused:UNUSED_PAD src0_sel:WORD_0 src1_sel:DWORD
	v_mul_u32_u24_sdwa v48, v48, s78 dst_sel:DWORD dst_unused:UNUSED_PAD src0_sel:WORD_1 src1_sel:DWORD
	v_mul_u32_u24_sdwa v88, v49, s78 dst_sel:DWORD dst_unused:UNUSED_PAD src0_sel:WORD_0 src1_sel:DWORD
	v_mul_u32_u24_sdwa v49, v49, s78 dst_sel:DWORD dst_unused:UNUSED_PAD src0_sel:WORD_1 src1_sel:DWORD
	v_pk_fma_f16 v24, v25, v75, v26
	v_pk_fma_f16 v26, v25, v54, v28
	v_pk_fma_f16 v28, v25, v76, v59
	v_pk_fma_f16 v2, v25, v55, v2
	v_pk_fma_f16 v3, v25, v60, v3
	v_pk_fma_f16 v5, v25, v56, v5
	v_pk_fma_f16 v7, v25, v61, v7
	v_pk_fma_f16 v23, v18, v77, v23
	v_pk_fma_f16 v25, v18, v50, v27
	v_pk_fma_f16 v27, v18, v82, v29
	v_pk_fma_f16 v0, v18, v51, v0
	v_pk_fma_f16 v4, v18, v83, v4
	v_pk_fma_f16 v6, v18, v52, v6
	v_pk_fma_f16 v8, v18, v84, v8
	;; [unrolled: 24-line block ×3, first 2 shown]
	v_pk_fma_f16 v18, v20, v49, v18
	v_pk_fma_f16 v9, v21, v49, v9
	v_mul_u32_u24_sdwa v96, v41, s78 dst_sel:DWORD dst_unused:UNUSED_PAD src0_sel:WORD_0 src1_sel:DWORD
	v_mul_u32_u24_sdwa v41, v41, s78 dst_sel:DWORD dst_unused:UNUSED_PAD src0_sel:WORD_1 src1_sel:DWORD
	v_pk_fma_f16 v20, v21, v85, v22
	v_pk_fma_f16 v22, v21, v46, v24
	;; [unrolled: 1-line block ×3, first 2 shown]
	s_waitcnt vmcnt(0)
	v_fmac_f32_e32 v127, v98, v99
	buffer_load_dword v98, off, s[84:87], 0 offset:88 ; 4-byte Folded Reload
	buffer_load_dword v125, off, s[84:87], 0 offset:116 ; 4-byte Folded Reload
	v_pk_fma_f16 v2, v21, v47, v2
	v_pk_fma_f16 v3, v21, v87, v3
	;; [unrolled: 1-line block ×15, first 2 shown]
	v_mul_u32_u24_sdwa v93, v38, s78 dst_sel:DWORD dst_unused:UNUSED_PAD src0_sel:WORD_0 src1_sel:DWORD
	v_mul_u32_u24_sdwa v38, v38, s78 dst_sel:DWORD dst_unused:UNUSED_PAD src0_sel:WORD_1 src1_sel:DWORD
	v_mul_u32_u24_sdwa v94, v39, s78 dst_sel:DWORD dst_unused:UNUSED_PAD src0_sel:WORD_0 src1_sel:DWORD
	v_mul_u32_u24_sdwa v39, v39, s78 dst_sel:DWORD dst_unused:UNUSED_PAD src0_sel:WORD_1 src1_sel:DWORD
	;; [unrolled: 2-line block ×3, first 2 shown]
	v_pk_fma_f16 v18, v15, v89, v20
	v_pk_fma_f16 v20, v15, v42, v22
	;; [unrolled: 1-line block ×7, first 2 shown]
	v_mul_u32_u24_sdwa v119, v37, s78 dst_sel:DWORD dst_unused:UNUSED_PAD src0_sel:WORD_0 src1_sel:DWORD
	v_mul_u32_u24_sdwa v37, v37, s78 dst_sel:DWORD dst_unused:UNUSED_PAD src0_sel:WORD_1 src1_sel:DWORD
	v_pk_fma_f16 v15, v16, v93, v19
	v_pk_fma_f16 v19, v16, v38, v21
	;; [unrolled: 1-line block ×14, first 2 shown]
	v_mul_u32_u24_sdwa v121, v31, s78 dst_sel:DWORD dst_unused:UNUSED_PAD src0_sel:WORD_0 src1_sel:DWORD
	v_mul_u32_u24_sdwa v31, v31, s78 dst_sel:DWORD dst_unused:UNUSED_PAD src0_sel:WORD_1 src1_sel:DWORD
	v_mul_u32_u24_sdwa v122, v32, s78 dst_sel:DWORD dst_unused:UNUSED_PAD src0_sel:WORD_0 src1_sel:DWORD
	v_mul_u32_u24_sdwa v32, v32, s78 dst_sel:DWORD dst_unused:UNUSED_PAD src0_sel:WORD_1 src1_sel:DWORD
	;; [unrolled: 2-line block ×3, first 2 shown]
	v_pk_fma_f16 v15, v10, v116, v15
	v_pk_fma_f16 v17, v10, v34, v19
	;; [unrolled: 1-line block ×29, first 2 shown]
	s_waitcnt vmcnt(0)
	v_fmac_f32_e32 v125, v98, v100
	buffer_load_dword v98, off, s[84:87], 0 offset:92 ; 4-byte Folded Reload
	buffer_load_dword v100, off, s[84:87], 0 offset:128 ; 4-byte Folded Reload
	v_pk_fma_f16 v5, v13, v32, v5
	v_pk_fma_f16 v7, v13, v123, v7
	;; [unrolled: 1-line block ×3, first 2 shown]
	s_waitcnt vmcnt(0)
	v_fmac_f32_e32 v100, v98, v101
	buffer_load_dword v98, off, s[84:87], 0 offset:96 ; 4-byte Folded Reload
	buffer_load_dword v99, off, s[84:87], 0 offset:108 ; 4-byte Folded Reload
	s_waitcnt vmcnt(0)
	v_fmac_f32_e32 v99, v98, v102
	buffer_load_dword v98, off, s[84:87], 0 offset:100 ; 4-byte Folded Reload
	buffer_load_dword v102, off, s[84:87], 0 offset:136 ; 4-byte Folded Reload
	;; [unrolled: 4-line block ×3, first 2 shown]
	s_waitcnt vmcnt(0) lgkmcnt(0)
	s_barrier
	buffer_load_dword v107, off, s[84:87], 0 offset:228 ; 4-byte Folded Reload
	buffer_load_dword v41, off, s[84:87], 0 offset:144 ; 4-byte Folded Reload
	v_fmac_f32_e32 v101, v98, v104
	s_waitcnt vmcnt(1)
	ds_read_b128 v[10:13], v107 offset:256
	s_waitcnt vmcnt(0)
	ds_read2_b64 v[14:17], v41 offset1:28
	ds_read_b128 v[18:21], v107 offset:272
	ds_read_b128 v[22:25], v107 offset:288
	;; [unrolled: 1-line block ×3, first 2 shown]
	s_waitcnt lgkmcnt(4)
	v_mul_u32_u24_sdwa v31, v10, s78 dst_sel:DWORD dst_unused:UNUSED_PAD src0_sel:WORD_0 src1_sel:DWORD
	v_mul_u32_u24_sdwa v10, v10, s78 dst_sel:DWORD dst_unused:UNUSED_PAD src0_sel:WORD_1 src1_sel:DWORD
	v_mul_u32_u24_sdwa v32, v11, s78 dst_sel:DWORD dst_unused:UNUSED_PAD src0_sel:WORD_0 src1_sel:DWORD
	v_mul_u32_u24_sdwa v11, v11, s78 dst_sel:DWORD dst_unused:UNUSED_PAD src0_sel:WORD_1 src1_sel:DWORD
	;; [unrolled: 2-line block ×4, first 2 shown]
	s_waitcnt lgkmcnt(3)
	v_pk_fma_f16 v34, v14, v31, v34
	v_pk_fma_f16 v35, v14, v10, v35
	;; [unrolled: 1-line block ×16, first 2 shown]
	s_waitcnt lgkmcnt(2)
	v_mul_u32_u24_sdwa v11, v18, s78 dst_sel:DWORD dst_unused:UNUSED_PAD src0_sel:WORD_0 src1_sel:DWORD
	v_mul_u32_u24_sdwa v12, v18, s78 dst_sel:DWORD dst_unused:UNUSED_PAD src0_sel:WORD_1 src1_sel:DWORD
	v_mul_u32_u24_sdwa v13, v19, s78 dst_sel:DWORD dst_unused:UNUSED_PAD src0_sel:WORD_0 src1_sel:DWORD
	v_mul_u32_u24_sdwa v15, v19, s78 dst_sel:DWORD dst_unused:UNUSED_PAD src0_sel:WORD_1 src1_sel:DWORD
	;; [unrolled: 2-line block ×4, first 2 shown]
	v_pk_fma_f16 v32, v16, v11, v34
	v_pk_fma_f16 v33, v16, v12, v35
	v_pk_fma_f16 v34, v16, v13, v36
	v_pk_fma_f16 v0, v16, v15, v0
	v_pk_fma_f16 v4, v16, v18, v4
	v_pk_fma_f16 v6, v16, v19, v6
	v_pk_fma_f16 v8, v16, v20, v8
	v_pk_fma_f16 v14, v16, v21, v14
	v_pk_fma_f16 v16, v17, v11, v31
	v_pk_fma_f16 v31, v17, v12, v10
	v_pk_fma_f16 v30, v17, v13, v30
	ds_read2_b64 v[10:13], v41 offset0:56 offset1:84
	v_pk_fma_f16 v2, v17, v15, v2
	v_pk_fma_f16 v3, v17, v18, v3
	;; [unrolled: 1-line block ×5, first 2 shown]
	s_waitcnt lgkmcnt(2)
	v_mul_u32_u24_sdwa v15, v22, s78 dst_sel:DWORD dst_unused:UNUSED_PAD src0_sel:WORD_0 src1_sel:DWORD
	v_mul_u32_u24_sdwa v17, v22, s78 dst_sel:DWORD dst_unused:UNUSED_PAD src0_sel:WORD_1 src1_sel:DWORD
	v_mul_u32_u24_sdwa v18, v23, s78 dst_sel:DWORD dst_unused:UNUSED_PAD src0_sel:WORD_0 src1_sel:DWORD
	v_mul_u32_u24_sdwa v19, v23, s78 dst_sel:DWORD dst_unused:UNUSED_PAD src0_sel:WORD_1 src1_sel:DWORD
	;; [unrolled: 2-line block ×4, first 2 shown]
	s_waitcnt lgkmcnt(0)
	v_pk_fma_f16 v24, v10, v15, v32
	v_pk_fma_f16 v25, v10, v17, v33
	;; [unrolled: 1-line block ×16, first 2 shown]
	v_mul_u32_u24_sdwa v11, v26, s78 dst_sel:DWORD dst_unused:UNUSED_PAD src0_sel:WORD_0 src1_sel:DWORD
	v_mul_u32_u24_sdwa v17, v26, s78 dst_sel:DWORD dst_unused:UNUSED_PAD src0_sel:WORD_1 src1_sel:DWORD
	v_mul_u32_u24_sdwa v18, v27, s78 dst_sel:DWORD dst_unused:UNUSED_PAD src0_sel:WORD_0 src1_sel:DWORD
	v_mul_u32_u24_sdwa v19, v27, s78 dst_sel:DWORD dst_unused:UNUSED_PAD src0_sel:WORD_1 src1_sel:DWORD
	;; [unrolled: 2-line block ×4, first 2 shown]
	v_pk_fma_f16 v25, v12, v17, v25
	v_pk_fma_f16 v28, v13, v11, v14
	;; [unrolled: 1-line block ×4, first 2 shown]
	ds_read_b128 v[14:17], v107 offset:320
	v_pk_fma_f16 v24, v12, v11, v24
	v_pk_fma_f16 v26, v12, v18, v32
	;; [unrolled: 1-line block ×12, first 2 shown]
	ds_read2_b64 v[10:13], v41 offset0:112 offset1:140
	ds_read_b128 v[18:21], v107 offset:336
	s_waitcnt lgkmcnt(2)
	v_mul_u32_u24_sdwa v22, v14, s78 dst_sel:DWORD dst_unused:UNUSED_PAD src0_sel:WORD_0 src1_sel:DWORD
	v_mul_u32_u24_sdwa v14, v14, s78 dst_sel:DWORD dst_unused:UNUSED_PAD src0_sel:WORD_1 src1_sel:DWORD
	v_mul_u32_u24_sdwa v23, v15, s78 dst_sel:DWORD dst_unused:UNUSED_PAD src0_sel:WORD_0 src1_sel:DWORD
	v_mul_u32_u24_sdwa v15, v15, s78 dst_sel:DWORD dst_unused:UNUSED_PAD src0_sel:WORD_1 src1_sel:DWORD
	;; [unrolled: 2-line block ×4, first 2 shown]
	s_waitcnt lgkmcnt(1)
	v_pk_fma_f16 v24, v10, v22, v24
	v_pk_fma_f16 v25, v10, v14, v25
	;; [unrolled: 1-line block ×13, first 2 shown]
	s_waitcnt lgkmcnt(0)
	v_mul_u32_u24_sdwa v15, v18, s78 dst_sel:DWORD dst_unused:UNUSED_PAD src0_sel:WORD_1 src1_sel:DWORD
	v_mul_u32_u24_sdwa v16, v19, s78 dst_sel:DWORD dst_unused:UNUSED_PAD src0_sel:WORD_0 src1_sel:DWORD
	v_mul_u32_u24_sdwa v17, v19, s78 dst_sel:DWORD dst_unused:UNUSED_PAD src0_sel:WORD_1 src1_sel:DWORD
	v_pk_fma_f16 v22, v11, v22, v28
	v_pk_fma_f16 v3, v11, v31, v3
	;; [unrolled: 1-line block ×3, first 2 shown]
	v_mul_u32_u24_sdwa v11, v18, s78 dst_sel:DWORD dst_unused:UNUSED_PAD src0_sel:WORD_0 src1_sel:DWORD
	v_mul_u32_u24_sdwa v18, v20, s78 dst_sel:DWORD dst_unused:UNUSED_PAD src0_sel:WORD_0 src1_sel:DWORD
	v_mul_u32_u24_sdwa v19, v20, s78 dst_sel:DWORD dst_unused:UNUSED_PAD src0_sel:WORD_1 src1_sel:DWORD
	v_mul_u32_u24_sdwa v20, v21, s78 dst_sel:DWORD dst_unused:UNUSED_PAD src0_sel:WORD_0 src1_sel:DWORD
	v_mul_u32_u24_sdwa v21, v21, s78 dst_sel:DWORD dst_unused:UNUSED_PAD src0_sel:WORD_1 src1_sel:DWORD
	v_pk_fma_f16 v25, v12, v15, v25
	v_pk_fma_f16 v26, v12, v16, v26
	;; [unrolled: 1-line block ×6, first 2 shown]
	ds_read_b128 v[14:17], v107 offset:352
	v_pk_fma_f16 v24, v12, v11, v24
	v_pk_fma_f16 v4, v12, v18, v4
	v_pk_fma_f16 v6, v12, v19, v6
	v_pk_fma_f16 v8, v12, v20, v8
	v_pk_fma_f16 v27, v12, v21, v10
	v_pk_fma_f16 v22, v13, v11, v22
	v_pk_fma_f16 v3, v13, v18, v3
	v_pk_fma_f16 v5, v13, v19, v5
	v_pk_fma_f16 v7, v13, v20, v7
	v_pk_fma_f16 v9, v13, v21, v9
	ds_read2_b64 v[10:13], v41 offset0:168 offset1:196
	ds_read_b128 v[18:21], v107 offset:368
	s_waitcnt lgkmcnt(2)
	v_mul_u32_u24_sdwa v29, v14, s78 dst_sel:DWORD dst_unused:UNUSED_PAD src0_sel:WORD_0 src1_sel:DWORD
	v_mul_u32_u24_sdwa v14, v14, s78 dst_sel:DWORD dst_unused:UNUSED_PAD src0_sel:WORD_1 src1_sel:DWORD
	v_mul_u32_u24_sdwa v30, v15, s78 dst_sel:DWORD dst_unused:UNUSED_PAD src0_sel:WORD_0 src1_sel:DWORD
	v_mul_u32_u24_sdwa v15, v15, s78 dst_sel:DWORD dst_unused:UNUSED_PAD src0_sel:WORD_1 src1_sel:DWORD
	;; [unrolled: 2-line block ×4, first 2 shown]
	s_waitcnt lgkmcnt(1)
	v_pk_fma_f16 v24, v10, v29, v24
	v_pk_fma_f16 v25, v10, v14, v25
	;; [unrolled: 1-line block ×16, first 2 shown]
	s_waitcnt lgkmcnt(0)
	v_mul_u32_u24_sdwa v11, v18, s78 dst_sel:DWORD dst_unused:UNUSED_PAD src0_sel:WORD_0 src1_sel:DWORD
	v_mul_u32_u24_sdwa v15, v18, s78 dst_sel:DWORD dst_unused:UNUSED_PAD src0_sel:WORD_1 src1_sel:DWORD
	v_mul_u32_u24_sdwa v16, v19, s78 dst_sel:DWORD dst_unused:UNUSED_PAD src0_sel:WORD_0 src1_sel:DWORD
	v_mul_u32_u24_sdwa v17, v19, s78 dst_sel:DWORD dst_unused:UNUSED_PAD src0_sel:WORD_1 src1_sel:DWORD
	;; [unrolled: 2-line block ×4, first 2 shown]
	v_pk_fma_f16 v24, v12, v11, v24
	v_pk_fma_f16 v25, v12, v15, v25
	;; [unrolled: 1-line block ×14, first 2 shown]
	ds_read_b128 v[14:17], v107 offset:384
	v_pk_fma_f16 v7, v13, v20, v7
	v_pk_fma_f16 v9, v13, v21, v9
	ds_read2_b64 v[10:13], v41 offset0:224 offset1:252
	ds_read_b128 v[18:21], v107 offset:400
	buffer_load_dword v33, off, s[84:87], 0 offset:140 ; 4-byte Folded Reload
	s_waitcnt lgkmcnt(2)
	v_mul_u32_u24_sdwa v29, v14, s78 dst_sel:DWORD dst_unused:UNUSED_PAD src0_sel:WORD_0 src1_sel:DWORD
	v_mul_u32_u24_sdwa v14, v14, s78 dst_sel:DWORD dst_unused:UNUSED_PAD src0_sel:WORD_1 src1_sel:DWORD
	v_mul_u32_u24_sdwa v30, v15, s78 dst_sel:DWORD dst_unused:UNUSED_PAD src0_sel:WORD_0 src1_sel:DWORD
	v_mul_u32_u24_sdwa v15, v15, s78 dst_sel:DWORD dst_unused:UNUSED_PAD src0_sel:WORD_1 src1_sel:DWORD
	v_mul_u32_u24_sdwa v31, v16, s78 dst_sel:DWORD dst_unused:UNUSED_PAD src0_sel:WORD_0 src1_sel:DWORD
	v_mul_u32_u24_sdwa v16, v16, s78 dst_sel:DWORD dst_unused:UNUSED_PAD src0_sel:WORD_1 src1_sel:DWORD
	v_mul_u32_u24_sdwa v32, v17, s78 dst_sel:DWORD dst_unused:UNUSED_PAD src0_sel:WORD_0 src1_sel:DWORD
	v_mul_u32_u24_sdwa v17, v17, s78 dst_sel:DWORD dst_unused:UNUSED_PAD src0_sel:WORD_1 src1_sel:DWORD
	s_waitcnt lgkmcnt(1)
	v_pk_fma_f16 v24, v10, v29, v24
	v_pk_fma_f16 v25, v10, v14, v25
	;; [unrolled: 1-line block ×13, first 2 shown]
	s_waitcnt lgkmcnt(0)
	v_mul_u32_u24_sdwa v15, v18, s78 dst_sel:DWORD dst_unused:UNUSED_PAD src0_sel:WORD_1 src1_sel:DWORD
	v_mul_u32_u24_sdwa v16, v19, s78 dst_sel:DWORD dst_unused:UNUSED_PAD src0_sel:WORD_0 src1_sel:DWORD
	v_mul_u32_u24_sdwa v17, v19, s78 dst_sel:DWORD dst_unused:UNUSED_PAD src0_sel:WORD_1 src1_sel:DWORD
	v_pk_fma_f16 v22, v11, v29, v22
	v_pk_fma_f16 v3, v11, v31, v3
	v_pk_fma_f16 v7, v11, v32, v7
	v_mul_u32_u24_sdwa v11, v18, s78 dst_sel:DWORD dst_unused:UNUSED_PAD src0_sel:WORD_0 src1_sel:DWORD
	v_mul_u32_u24_sdwa v18, v20, s78 dst_sel:DWORD dst_unused:UNUSED_PAD src0_sel:WORD_0 src1_sel:DWORD
	v_mul_u32_u24_sdwa v19, v20, s78 dst_sel:DWORD dst_unused:UNUSED_PAD src0_sel:WORD_1 src1_sel:DWORD
	v_mul_u32_u24_sdwa v20, v21, s78 dst_sel:DWORD dst_unused:UNUSED_PAD src0_sel:WORD_0 src1_sel:DWORD
	v_mul_u32_u24_sdwa v21, v21, s78 dst_sel:DWORD dst_unused:UNUSED_PAD src0_sel:WORD_1 src1_sel:DWORD
	v_pk_fma_f16 v25, v12, v15, v25
	v_pk_fma_f16 v26, v12, v16, v26
	;; [unrolled: 1-line block ×6, first 2 shown]
	ds_read_b128 v[14:17], v107 offset:416
	v_pk_fma_f16 v24, v12, v11, v24
	v_pk_fma_f16 v4, v12, v18, v4
	;; [unrolled: 1-line block ×10, first 2 shown]
	s_waitcnt vmcnt(0)
	ds_read2_b64 v[10:13], v33 offset0:24 offset1:52
	ds_read_b128 v[18:21], v107 offset:432
	s_waitcnt lgkmcnt(2)
	v_mul_u32_u24_sdwa v29, v14, s78 dst_sel:DWORD dst_unused:UNUSED_PAD src0_sel:WORD_0 src1_sel:DWORD
	v_mul_u32_u24_sdwa v14, v14, s78 dst_sel:DWORD dst_unused:UNUSED_PAD src0_sel:WORD_1 src1_sel:DWORD
	v_mul_u32_u24_sdwa v30, v15, s78 dst_sel:DWORD dst_unused:UNUSED_PAD src0_sel:WORD_0 src1_sel:DWORD
	v_mul_u32_u24_sdwa v15, v15, s78 dst_sel:DWORD dst_unused:UNUSED_PAD src0_sel:WORD_1 src1_sel:DWORD
	;; [unrolled: 2-line block ×4, first 2 shown]
	s_waitcnt lgkmcnt(1)
	v_pk_fma_f16 v24, v10, v29, v24
	v_pk_fma_f16 v25, v10, v14, v25
	;; [unrolled: 1-line block ×13, first 2 shown]
	s_waitcnt lgkmcnt(0)
	v_mul_u32_u24_sdwa v15, v18, s78 dst_sel:DWORD dst_unused:UNUSED_PAD src0_sel:WORD_1 src1_sel:DWORD
	v_mul_u32_u24_sdwa v16, v19, s78 dst_sel:DWORD dst_unused:UNUSED_PAD src0_sel:WORD_0 src1_sel:DWORD
	v_mul_u32_u24_sdwa v17, v19, s78 dst_sel:DWORD dst_unused:UNUSED_PAD src0_sel:WORD_1 src1_sel:DWORD
	v_pk_fma_f16 v22, v11, v29, v22
	v_pk_fma_f16 v3, v11, v31, v3
	;; [unrolled: 1-line block ×3, first 2 shown]
	v_mul_u32_u24_sdwa v11, v18, s78 dst_sel:DWORD dst_unused:UNUSED_PAD src0_sel:WORD_0 src1_sel:DWORD
	v_mul_u32_u24_sdwa v18, v20, s78 dst_sel:DWORD dst_unused:UNUSED_PAD src0_sel:WORD_0 src1_sel:DWORD
	v_mul_u32_u24_sdwa v19, v20, s78 dst_sel:DWORD dst_unused:UNUSED_PAD src0_sel:WORD_1 src1_sel:DWORD
	v_mul_u32_u24_sdwa v20, v21, s78 dst_sel:DWORD dst_unused:UNUSED_PAD src0_sel:WORD_0 src1_sel:DWORD
	v_mul_u32_u24_sdwa v21, v21, s78 dst_sel:DWORD dst_unused:UNUSED_PAD src0_sel:WORD_1 src1_sel:DWORD
	v_pk_fma_f16 v25, v12, v15, v25
	v_pk_fma_f16 v26, v12, v16, v26
	;; [unrolled: 1-line block ×6, first 2 shown]
	ds_read_b128 v[14:17], v107 offset:448
	v_pk_fma_f16 v24, v12, v11, v24
	v_pk_fma_f16 v4, v12, v18, v4
	v_pk_fma_f16 v6, v12, v19, v6
	v_pk_fma_f16 v8, v12, v20, v8
	v_pk_fma_f16 v27, v12, v21, v10
	v_pk_fma_f16 v22, v13, v11, v22
	v_pk_fma_f16 v3, v13, v18, v3
	v_pk_fma_f16 v5, v13, v19, v5
	v_pk_fma_f16 v7, v13, v20, v7
	v_pk_fma_f16 v9, v13, v21, v9
	ds_read2_b64 v[10:13], v33 offset0:80 offset1:108
	ds_read_b128 v[18:21], v107 offset:464
	s_waitcnt lgkmcnt(2)
	v_mul_u32_u24_sdwa v29, v14, s78 dst_sel:DWORD dst_unused:UNUSED_PAD src0_sel:WORD_0 src1_sel:DWORD
	v_mul_u32_u24_sdwa v14, v14, s78 dst_sel:DWORD dst_unused:UNUSED_PAD src0_sel:WORD_1 src1_sel:DWORD
	v_mul_u32_u24_sdwa v30, v15, s78 dst_sel:DWORD dst_unused:UNUSED_PAD src0_sel:WORD_0 src1_sel:DWORD
	v_mul_u32_u24_sdwa v15, v15, s78 dst_sel:DWORD dst_unused:UNUSED_PAD src0_sel:WORD_1 src1_sel:DWORD
	;; [unrolled: 2-line block ×4, first 2 shown]
	s_waitcnt lgkmcnt(1)
	v_pk_fma_f16 v24, v10, v29, v24
	v_pk_fma_f16 v25, v10, v14, v25
	;; [unrolled: 1-line block ×16, first 2 shown]
	s_waitcnt lgkmcnt(0)
	v_mul_u32_u24_sdwa v11, v18, s78 dst_sel:DWORD dst_unused:UNUSED_PAD src0_sel:WORD_0 src1_sel:DWORD
	v_mul_u32_u24_sdwa v15, v18, s78 dst_sel:DWORD dst_unused:UNUSED_PAD src0_sel:WORD_1 src1_sel:DWORD
	v_mul_u32_u24_sdwa v16, v19, s78 dst_sel:DWORD dst_unused:UNUSED_PAD src0_sel:WORD_0 src1_sel:DWORD
	v_mul_u32_u24_sdwa v17, v19, s78 dst_sel:DWORD dst_unused:UNUSED_PAD src0_sel:WORD_1 src1_sel:DWORD
	;; [unrolled: 2-line block ×4, first 2 shown]
	v_pk_fma_f16 v24, v12, v11, v24
	v_pk_fma_f16 v25, v12, v15, v25
	;; [unrolled: 1-line block ×14, first 2 shown]
	ds_read_b128 v[14:17], v107 offset:480
	v_pk_fma_f16 v7, v13, v20, v7
	v_pk_fma_f16 v9, v13, v21, v9
	ds_read2_b64 v[10:13], v33 offset0:136 offset1:164
	ds_read_b128 v[18:21], v107 offset:496
	s_waitcnt lgkmcnt(0)
	s_barrier
	s_load_dword s14, s[54:55], 0x4
	v_mul_u32_u24_sdwa v29, v14, s78 dst_sel:DWORD dst_unused:UNUSED_PAD src0_sel:WORD_0 src1_sel:DWORD
	v_mul_u32_u24_sdwa v14, v14, s78 dst_sel:DWORD dst_unused:UNUSED_PAD src0_sel:WORD_1 src1_sel:DWORD
	v_mul_u32_u24_sdwa v30, v15, s78 dst_sel:DWORD dst_unused:UNUSED_PAD src0_sel:WORD_0 src1_sel:DWORD
	v_mul_u32_u24_sdwa v15, v15, s78 dst_sel:DWORD dst_unused:UNUSED_PAD src0_sel:WORD_1 src1_sel:DWORD
	;; [unrolled: 2-line block ×4, first 2 shown]
	s_waitcnt lgkmcnt(0)
	s_lshl_b32 s14, s14, 5
	v_pk_fma_f16 v24, v10, v29, v24
	v_pk_fma_f16 v25, v10, v14, v25
	;; [unrolled: 1-line block ×16, first 2 shown]
	v_mul_u32_u24_sdwa v11, v18, s78 dst_sel:DWORD dst_unused:UNUSED_PAD src0_sel:WORD_0 src1_sel:DWORD
	v_mul_u32_u24_sdwa v15, v18, s78 dst_sel:DWORD dst_unused:UNUSED_PAD src0_sel:WORD_1 src1_sel:DWORD
	v_mul_u32_u24_sdwa v16, v19, s78 dst_sel:DWORD dst_unused:UNUSED_PAD src0_sel:WORD_0 src1_sel:DWORD
	v_mul_u32_u24_sdwa v17, v19, s78 dst_sel:DWORD dst_unused:UNUSED_PAD src0_sel:WORD_1 src1_sel:DWORD
	;; [unrolled: 2-line block ×4, first 2 shown]
	s_add_i32 s6, s14, s6
	v_pk_fma_f16 v68, v12, v11, v24
	v_pk_fma_f16 v66, v12, v15, v25
	;; [unrolled: 1-line block ×15, first 2 shown]
	s_cmp_ge_i32 s6, s66
	v_pk_fma_f16 v54, v13, v21, v9
	s_cbranch_scc1 .LBB17_45
; %bb.40:                               ;   in Loop: Header=BB17_19 Depth=1
	buffer_load_dword v2, off, s[84:87], 0 offset:44 ; 4-byte Folded Reload
	buffer_load_dword v3, off, s[84:87], 0 offset:48 ; 4-byte Folded Reload
	;; [unrolled: 1-line block ×8, first 2 shown]
	s_nop 0
	buffer_store_dword v124, off, s[84:87], 0 offset:76 ; 4-byte Folded Spill
	buffer_store_dword v126, off, s[84:87], 0 offset:80 ; 4-byte Folded Spill
	;; [unrolled: 1-line block ×8, first 2 shown]
	s_waitcnt vmcnt(15)
	v_mov_b32_e32 v16, v2
	s_waitcnt vmcnt(14)
	v_mov_b32_e32 v17, v3
	;; [unrolled: 2-line block ×8, first 2 shown]
	s_branch .LBB17_19
.LBB17_41:                              ;   in Loop: Header=BB17_19 Depth=1
	buffer_load_dword v2, off, s[84:87], 0 offset:248 ; 4-byte Folded Reload
	buffer_load_dword v3, off, s[84:87], 0 offset:252 ; 4-byte Folded Reload
	v_mov_b32_e32 v0, s19
	s_waitcnt vmcnt(1)
	v_add_co_u32_e64 v2, s[14:15], s18, v2
	s_waitcnt vmcnt(0)
	v_addc_co_u32_e64 v3, s[14:15], v0, v3, s[14:15]
	global_load_dwordx4 v[2:5], v[2:3], off offset:96
	s_nop 0
	buffer_load_dword v0, off, s[84:87], 0 offset:208 ; 4-byte Folded Reload
	s_waitcnt vmcnt(0)
	ds_write_b128 v0, v[2:5]
	s_or_b64 exec, exec, s[16:17]
	s_and_saveexec_b64 s[16:17], s[2:3]
	s_cbranch_execz .LBB17_21
.LBB17_42:                              ;   in Loop: Header=BB17_19 Depth=1
	buffer_load_dword v2, off, s[84:87], 0 offset:256 ; 4-byte Folded Reload
	buffer_load_dword v3, off, s[84:87], 0 offset:260 ; 4-byte Folded Reload
	v_mov_b32_e32 v0, s19
	s_waitcnt vmcnt(1)
	v_add_co_u32_e64 v2, s[14:15], s18, v2
	s_waitcnt vmcnt(0)
	v_addc_co_u32_e64 v0, s[14:15], v0, v3, s[14:15]
	buffer_load_dword v3, off, s[84:87], 0 offset:4 ; 4-byte Folded Reload
	s_waitcnt vmcnt(0)
	v_add_co_u32_e64 v2, s[14:15], v2, v3
	v_addc_co_u32_e64 v3, s[14:15], 0, v0, s[14:15]
	global_load_dwordx4 v[2:5], v[2:3], off offset:64
	s_nop 0
	buffer_load_dword v0, off, s[84:87], 0 offset:212 ; 4-byte Folded Reload
	s_waitcnt vmcnt(0)
	ds_write_b128 v0, v[2:5]
	s_or_b64 exec, exec, s[16:17]
	s_and_saveexec_b64 s[16:17], s[48:49]
	s_cbranch_execnz .LBB17_22
	s_branch .LBB17_23
.LBB17_43:                              ;   in Loop: Header=BB17_19 Depth=1
	buffer_load_dword v18, off, s[84:87], 0 offset:248 ; 4-byte Folded Reload
	buffer_load_dword v19, off, s[84:87], 0 offset:252 ; 4-byte Folded Reload
	v_mov_b32_e32 v0, s19
	s_waitcnt vmcnt(1)
	v_add_co_u32_e64 v18, s[14:15], s18, v18
	s_waitcnt vmcnt(0)
	v_addc_co_u32_e64 v19, s[14:15], v0, v19, s[14:15]
	global_load_dwordx4 v[18:21], v[18:19], off offset:208
	s_nop 0
	buffer_load_dword v0, off, s[84:87], 0 offset:208 ; 4-byte Folded Reload
	s_waitcnt vmcnt(0)
	ds_write_b128 v0, v[18:21]
	s_or_b64 exec, exec, s[16:17]
	s_and_saveexec_b64 s[16:17], s[2:3]
	s_cbranch_execz .LBB17_25
.LBB17_44:                              ;   in Loop: Header=BB17_19 Depth=1
	buffer_load_dword v18, off, s[84:87], 0 offset:256 ; 4-byte Folded Reload
	buffer_load_dword v19, off, s[84:87], 0 offset:260 ; 4-byte Folded Reload
	v_mov_b32_e32 v0, s19
	s_waitcnt vmcnt(1)
	v_add_co_u32_e64 v18, s[14:15], s18, v18
	s_waitcnt vmcnt(0)
	v_addc_co_u32_e64 v0, s[14:15], v0, v19, s[14:15]
	buffer_load_dword v19, off, s[84:87], 0 offset:4 ; 4-byte Folded Reload
	s_waitcnt vmcnt(0)
	v_add_co_u32_e64 v18, s[14:15], v18, v19
	v_addc_co_u32_e64 v19, s[14:15], 0, v0, s[14:15]
	global_load_dwordx4 v[18:21], v[18:19], off offset:176
	s_nop 0
	buffer_load_dword v0, off, s[84:87], 0 offset:212 ; 4-byte Folded Reload
	s_waitcnt vmcnt(0)
	ds_write_b128 v0, v[18:21]
	s_or_b64 exec, exec, s[16:17]
	s_and_saveexec_b64 s[16:17], s[48:49]
	s_cbranch_execnz .LBB17_26
	s_branch .LBB17_27
.LBB17_45:
	buffer_load_dword v40, off, s[84:87], 0 offset:44 ; 4-byte Folded Reload
	buffer_load_dword v41, off, s[84:87], 0 offset:48 ; 4-byte Folded Reload
	;; [unrolled: 1-line block ×8, first 2 shown]
.LBB17_46:
	buffer_load_dword v3, off, s[84:87], 0 offset:184 ; 4-byte Folded Reload
	buffer_load_dword v0, off, s[84:87], 0 offset:188 ; 4-byte Folded Reload
	;; [unrolled: 1-line block ×5, first 2 shown]
	s_cmp_lg_u64 s[52:53], 0
	s_cselect_b64 s[2:3], -1, 0
	s_cmp_eq_u32 s7, 0
	s_cselect_b64 s[8:9], -1, 0
	s_and_b64 s[2:3], s[8:9], s[2:3]
	s_waitcnt vmcnt(3)
	v_cmp_lt_i32_e32 vcc, v0, v3
	s_waitcnt vmcnt(2)
	v_cndmask_b32_e32 v0, v2, v0, vcc
	s_waitcnt vmcnt(1)
	v_cmp_lt_i32_e32 vcc, v1, v3
	v_cndmask_b32_e32 v1, v2, v1, vcc
	s_waitcnt vmcnt(0)
	v_cmp_lt_i32_e32 vcc, v4, v3
	v_cndmask_b32_e32 v11, v2, v4, vcc
	buffer_load_dword v4, off, s[84:87], 0 offset:200 ; 4-byte Folded Reload
	v_lshlrev_b32_e32 v13, 2, v11
	v_lshlrev_b32_e32 v0, 2, v0
	ds_bpermute_b32 v10, v0, v124
	v_lshlrev_b32_e32 v1, 2, v1
	ds_bpermute_b32 v17, v0, v127
	ds_bpermute_b32 v19, v0, v125
	s_waitcnt lgkmcnt(2)
	v_add_f32_e32 v10, v124, v10
	ds_bpermute_b32 v12, v1, v10
	s_waitcnt lgkmcnt(2)
	v_add_f32_e32 v17, v127, v17
	;; [unrolled: 3-line block ×5, first 2 shown]
	s_waitcnt vmcnt(0)
	v_cmp_lt_i32_e32 vcc, v4, v3
	v_cndmask_b32_e32 v11, v2, v4, vcc
	buffer_load_dword v4, off, s[84:87], 0 offset:204 ; 4-byte Folded Reload
	v_lshlrev_b32_e32 v14, 2, v11
	ds_bpermute_b32 v11, v0, v126
	ds_bpermute_b32 v12, v14, v10
	s_waitcnt lgkmcnt(1)
	v_add_f32_e32 v11, v126, v11
	ds_bpermute_b32 v16, v1, v11
	s_waitcnt lgkmcnt(1)
	v_add_f32_e32 v10, v10, v12
	s_waitcnt lgkmcnt(0)
	v_add_f32_e32 v11, v11, v16
	ds_bpermute_b32 v16, v13, v11
	s_waitcnt lgkmcnt(0)
	v_add_f32_e32 v11, v11, v16
	ds_bpermute_b32 v16, v14, v11
	s_waitcnt lgkmcnt(0)
	v_add_f32_e32 v11, v11, v16
	v_add_f32_e32 v16, v17, v18
	;; [unrolled: 1-line block ×3, first 2 shown]
	ds_bpermute_b32 v18, v1, v17
	ds_bpermute_b32 v19, v14, v16
	s_waitcnt lgkmcnt(1)
	v_add_f32_e32 v17, v17, v18
	ds_bpermute_b32 v18, v13, v17
	s_waitcnt lgkmcnt(1)
	v_add_f32_e32 v16, v16, v19
	s_waitcnt lgkmcnt(0)
	v_add_f32_e32 v17, v17, v18
	ds_bpermute_b32 v18, v14, v17
	s_waitcnt vmcnt(0)
	v_cmp_lt_i32_e32 vcc, v4, v3
	v_cndmask_b32_e32 v15, v2, v4, vcc
	v_lshlrev_b32_e32 v15, 2, v15
	ds_bpermute_b32 v12, v15, v10
	ds_bpermute_b32 v21, v15, v11
	s_and_b64 vcc, exec, s[2:3]
	s_waitcnt lgkmcnt(1)
	v_add_f32_e32 v10, v10, v12
	ds_bpermute_b32 v12, v0, v100
	s_waitcnt lgkmcnt(1)
	v_add_f32_e32 v11, v11, v21
	s_waitcnt lgkmcnt(0)
	v_add_f32_e32 v12, v100, v12
	ds_bpermute_b32 v20, v1, v12
	s_waitcnt lgkmcnt(0)
	v_add_f32_e32 v12, v12, v20
	ds_bpermute_b32 v19, v13, v12
	ds_bpermute_b32 v20, v15, v16
	s_waitcnt lgkmcnt(1)
	v_add_f32_e32 v19, v12, v19
	s_waitcnt lgkmcnt(0)
	v_add_f32_e32 v12, v16, v20
	v_add_f32_e32 v16, v17, v18
	ds_bpermute_b32 v18, v0, v99
	ds_bpermute_b32 v20, v0, v102
	;; [unrolled: 1-line block ×5, first 2 shown]
	s_waitcnt lgkmcnt(4)
	v_add_f32_e32 v18, v99, v18
	s_waitcnt lgkmcnt(3)
	v_add_f32_e32 v20, v102, v20
	;; [unrolled: 2-line block ×3, first 2 shown]
	ds_bpermute_b32 v22, v1, v18
	ds_bpermute_b32 v23, v1, v20
	;; [unrolled: 1-line block ×3, first 2 shown]
	s_waitcnt lgkmcnt(4)
	v_add_f32_e32 v19, v19, v21
	ds_bpermute_b32 v21, v15, v19
	s_waitcnt lgkmcnt(3)
	v_add_f32_e32 v18, v18, v22
	s_waitcnt lgkmcnt(2)
	v_add_f32_e32 v20, v20, v23
	s_waitcnt lgkmcnt(1)
	v_add_f32_e32 v0, v0, v1
	ds_bpermute_b32 v22, v13, v18
	ds_bpermute_b32 v23, v13, v20
	;; [unrolled: 1-line block ×3, first 2 shown]
	s_waitcnt lgkmcnt(2)
	v_add_f32_e32 v13, v18, v22
	s_waitcnt lgkmcnt(1)
	v_add_f32_e32 v20, v20, v23
	;; [unrolled: 2-line block ×3, first 2 shown]
	ds_bpermute_b32 v18, v14, v13
	ds_bpermute_b32 v22, v14, v20
	;; [unrolled: 1-line block ×3, first 2 shown]
	v_add_f32_e32 v14, v19, v21
	s_waitcnt lgkmcnt(2)
	v_add_f32_e32 v18, v13, v18
	s_waitcnt lgkmcnt(1)
	;; [unrolled: 2-line block ×3, first 2 shown]
	v_add_f32_e32 v0, v0, v1
	ds_bpermute_b32 v23, v15, v18
	ds_bpermute_b32 v22, v15, v20
	;; [unrolled: 1-line block ×3, first 2 shown]
	v_add_f32_e32 v13, v16, v17
	s_waitcnt lgkmcnt(2)
	v_add_f32_e32 v15, v18, v23
	s_waitcnt lgkmcnt(1)
	;; [unrolled: 2-line block ×3, first 2 shown]
	v_add_f32_e32 v17, v0, v1
	s_cbranch_vccz .LBB17_48
; %bb.47:
	s_ashr_i32 s65, s64, 31
	s_lshl_b64 s[2:3], s[64:65], 2
	s_add_u32 s2, s52, s2
	s_addc_u32 s3, s53, s3
	v_mov_b32_e32 v0, 0
	global_load_dwordx4 v[22:25], v0, s[2:3]
	v_max_f32_e32 v2, v40, v40
	v_max_f32_e32 v3, v41, v41
	s_mov_b32 s6, 0x3fb8aa3b
	v_max_f32_e32 v4, v42, v42
	s_mov_b32 s3, 0xc2ce8ed0
	s_mov_b32 s2, 0x42b17218
	v_mov_b32_e32 v0, 0x7f800000
	s_waitcnt vmcnt(0)
	v_max_f32_e32 v5, v22, v22
	v_max_f32_e32 v26, v2, v5
	;; [unrolled: 1-line block ×3, first 2 shown]
	v_sub_f32_e32 v2, v40, v26
	v_max_f32_e32 v1, v24, v24
	v_max_f32_e32 v27, v3, v6
	v_sub_f32_e32 v3, v22, v26
	v_mul_f32_e32 v18, 0x3fb8aa3b, v2
	v_max_f32_e32 v28, v4, v1
	v_sub_f32_e32 v4, v41, v27
	v_mul_f32_e32 v19, 0x3fb8aa3b, v3
	v_fma_f32 v31, v2, s6, -v18
	v_rndne_f32_e32 v32, v18
	v_sub_f32_e32 v7, v23, v27
	v_mul_f32_e32 v20, 0x3fb8aa3b, v4
	v_fma_f32 v33, v3, s6, -v19
	v_rndne_f32_e32 v34, v19
	v_fmac_f32_e32 v31, 0x32a5705f, v2
	v_sub_f32_e32 v18, v18, v32
	v_mul_f32_e32 v21, 0x3fb8aa3b, v7
	v_fma_f32 v35, v4, s6, -v20
	v_rndne_f32_e32 v36, v20
	v_fmac_f32_e32 v33, 0x32a5705f, v3
	v_sub_f32_e32 v19, v19, v34
	v_add_f32_e32 v18, v18, v31
	v_fma_f32 v37, v7, s6, -v21
	v_rndne_f32_e32 v38, v21
	v_cvt_i32_f32_e32 v32, v32
	v_fmac_f32_e32 v35, 0x32a5705f, v4
	v_sub_f32_e32 v20, v20, v36
	v_add_f32_e32 v19, v19, v33
	v_exp_f32_e32 v18, v18
	v_cvt_i32_f32_e32 v34, v34
	v_fmac_f32_e32 v37, 0x32a5705f, v7
	v_sub_f32_e32 v21, v21, v38
	v_add_f32_e32 v20, v20, v35
	v_exp_f32_e32 v19, v19
	v_cvt_i32_f32_e32 v36, v36
	v_add_f32_e32 v21, v21, v37
	v_exp_f32_e32 v20, v20
	v_cvt_i32_f32_e32 v38, v38
	v_exp_f32_e32 v21, v21
	v_ldexp_f32 v18, v18, v32
	v_cmp_ngt_f32_e32 vcc, s3, v2
	v_ldexp_f32 v19, v19, v34
	v_cndmask_b32_e32 v18, 0, v18, vcc
	v_cmp_ngt_f32_e32 vcc, s3, v3
	v_sub_f32_e32 v8, v42, v28
	v_ldexp_f32 v20, v20, v36
	v_cndmask_b32_e32 v19, 0, v19, vcc
	v_cmp_ngt_f32_e32 vcc, s3, v4
	v_mul_f32_e32 v29, 0x3fb8aa3b, v8
	v_ldexp_f32 v21, v21, v38
	v_cndmask_b32_e32 v20, 0, v20, vcc
	v_cmp_ngt_f32_e32 vcc, s3, v7
	v_sub_f32_e32 v9, v24, v28
	v_fma_f32 v39, v8, s6, -v29
	v_rndne_f32_e32 v40, v29
	v_cndmask_b32_e32 v21, 0, v21, vcc
	v_cmp_nlt_f32_e32 vcc, s2, v2
	v_mul_f32_e32 v30, 0x3fb8aa3b, v9
	v_fmac_f32_e32 v39, 0x32a5705f, v8
	v_sub_f32_e32 v29, v29, v40
	v_cndmask_b32_e32 v2, v0, v18, vcc
	v_cmp_nlt_f32_e32 vcc, s2, v3
	v_fma_f32 v41, v9, s6, -v30
	v_rndne_f32_e32 v42, v30
	v_add_f32_e32 v29, v29, v39
	v_cndmask_b32_e32 v18, v0, v19, vcc
	v_cmp_nlt_f32_e32 vcc, s2, v4
	v_cvt_i32_f32_e32 v40, v40
	v_fmac_f32_e32 v41, 0x32a5705f, v9
	v_sub_f32_e32 v30, v30, v42
	v_exp_f32_e32 v29, v29
	v_cndmask_b32_e32 v3, v0, v20, vcc
	v_cvt_f16_f32_e32 v4, v2
	v_add_f32_e32 v30, v30, v41
	v_cmp_nlt_f32_e32 vcc, s2, v7
	v_cvt_f16_f32_e32 v7, v3
	v_cvt_i32_f32_e32 v42, v42
	v_exp_f32_e32 v30, v30
	v_ldexp_f32 v29, v29, v40
	v_cndmask_b32_e32 v19, v0, v21, vcc
	v_fmac_f32_e32 v18, v10, v2
	v_mul_u32_u24_e32 v2, 0x10001, v4
	v_cmp_ngt_f32_e32 vcc, s3, v8
	v_fmac_f32_e32 v19, v11, v3
	v_mul_u32_u24_e32 v3, 0x10001, v7
	v_pk_mul_f16 v68, v68, v2
	v_pk_mul_f16 v69, v69, v2
	v_cndmask_b32_e32 v2, 0, v29, vcc
	v_cmp_nlt_f32_e32 vcc, s2, v8
	v_pk_mul_f16 v66, v66, v3
	v_pk_mul_f16 v67, v67, v3
	v_cndmask_b32_e32 v2, v0, v2, vcc
	v_ldexp_f32 v3, v30, v42
	v_cmp_ngt_f32_e32 vcc, s3, v9
	v_cndmask_b32_e32 v3, 0, v3, vcc
	v_cmp_nlt_f32_e32 vcc, s2, v9
	v_cndmask_b32_e32 v20, v0, v3, vcc
	v_max_f32_e32 v3, v25, v25
	v_max_f32_e32 v4, v43, v43
	;; [unrolled: 1-line block ×3, first 2 shown]
	v_sub_f32_e32 v4, v43, v29
	v_mul_f32_e32 v7, 0x3fb8aa3b, v4
	v_fma_f32 v8, v4, s6, -v7
	v_rndne_f32_e32 v9, v7
	v_fmac_f32_e32 v8, 0x32a5705f, v4
	v_sub_f32_e32 v7, v7, v9
	v_fmac_f32_e32 v20, v12, v2
	v_cvt_f16_f32_e32 v2, v2
	v_add_f32_e32 v7, v7, v8
	v_exp_f32_e32 v7, v7
	v_cvt_i32_f32_e32 v8, v9
	v_mul_u32_u24_e32 v2, 0x10001, v2
	v_pk_mul_f16 v64, v64, v2
	v_pk_mul_f16 v65, v65, v2
	v_ldexp_f32 v2, v7, v8
	v_sub_f32_e32 v7, v25, v29
	v_mul_f32_e32 v8, 0x3fb8aa3b, v7
	v_fma_f32 v9, v7, s6, -v8
	v_rndne_f32_e32 v10, v8
	v_fmac_f32_e32 v9, 0x32a5705f, v7
	v_sub_f32_e32 v8, v8, v10
	v_add_f32_e32 v8, v8, v9
	v_exp_f32_e32 v8, v8
	v_cvt_i32_f32_e32 v9, v10
	v_cmp_ngt_f32_e32 vcc, s3, v4
	v_cndmask_b32_e32 v2, 0, v2, vcc
	v_cmp_nlt_f32_e32 vcc, s2, v4
	v_cndmask_b32_e32 v2, v0, v2, vcc
	v_ldexp_f32 v4, v8, v9
	v_cmp_ngt_f32_e32 vcc, s3, v7
	v_cndmask_b32_e32 v4, 0, v4, vcc
	v_cmp_nlt_f32_e32 vcc, s2, v7
	v_cndmask_b32_e32 v21, v0, v4, vcc
	v_max_f32_e32 v4, v44, v44
	v_max_f32_e32 v30, v4, v5
	v_sub_f32_e32 v4, v44, v30
	v_mul_f32_e32 v5, 0x3fb8aa3b, v4
	v_fma_f32 v7, v4, s6, -v5
	v_rndne_f32_e32 v8, v5
	v_fmac_f32_e32 v7, 0x32a5705f, v4
	v_sub_f32_e32 v5, v5, v8
	v_fmac_f32_e32 v21, v13, v2
	v_cvt_f16_f32_e32 v2, v2
	v_add_f32_e32 v5, v5, v7
	v_exp_f32_e32 v5, v5
	v_cvt_i32_f32_e32 v7, v8
	v_mul_u32_u24_e32 v2, 0x10001, v2
	v_pk_mul_f16 v62, v62, v2
	v_pk_mul_f16 v63, v63, v2
	v_ldexp_f32 v2, v5, v7
	v_sub_f32_e32 v5, v22, v30
	v_mul_f32_e32 v7, 0x3fb8aa3b, v5
	v_fma_f32 v8, v5, s6, -v7
	v_rndne_f32_e32 v9, v7
	v_fmac_f32_e32 v8, 0x32a5705f, v5
	v_sub_f32_e32 v7, v7, v9
	v_add_f32_e32 v7, v7, v8
	v_exp_f32_e32 v7, v7
	v_cvt_i32_f32_e32 v8, v9
	v_cmp_ngt_f32_e32 vcc, s3, v4
	v_cndmask_b32_e32 v2, 0, v2, vcc
	v_cmp_nlt_f32_e32 vcc, s2, v4
	v_cndmask_b32_e32 v2, v0, v2, vcc
	v_ldexp_f32 v4, v7, v8
	v_cmp_ngt_f32_e32 vcc, s3, v5
	v_cndmask_b32_e32 v4, 0, v4, vcc
	v_cmp_nlt_f32_e32 vcc, s2, v5
	v_cndmask_b32_e32 v22, v0, v4, vcc
	v_max_f32_e32 v4, v45, v45
	v_max_f32_e32 v31, v4, v6
	;; [unrolled: 35-line block ×4, first 2 shown]
	v_sub_f32_e32 v2, v47, v33
	v_mul_f32_e32 v3, 0x3fb8aa3b, v2
	v_fma_f32 v4, v2, s6, -v3
	v_rndne_f32_e32 v5, v3
	v_fmac_f32_e32 v4, 0x32a5705f, v2
	v_sub_f32_e32 v3, v3, v5
	v_fmac_f32_e32 v24, v16, v1
	v_cvt_f16_f32_e32 v1, v1
	v_add_f32_e32 v3, v3, v4
	v_exp_f32_e32 v3, v3
	v_cvt_i32_f32_e32 v4, v5
	v_mul_u32_u24_e32 v1, 0x10001, v1
	v_pk_mul_f16 v56, v56, v1
	v_pk_mul_f16 v57, v57, v1
	v_ldexp_f32 v1, v3, v4
	v_sub_f32_e32 v3, v25, v33
	v_mul_f32_e32 v4, 0x3fb8aa3b, v3
	v_fma_f32 v5, v3, s6, -v4
	v_rndne_f32_e32 v6, v4
	v_fmac_f32_e32 v5, 0x32a5705f, v3
	v_sub_f32_e32 v4, v4, v6
	v_add_f32_e32 v4, v4, v5
	v_exp_f32_e32 v4, v4
	v_cvt_i32_f32_e32 v5, v6
	v_cmp_ngt_f32_e32 vcc, s3, v2
	v_cndmask_b32_e32 v1, 0, v1, vcc
	v_cmp_nlt_f32_e32 vcc, s2, v2
	v_cndmask_b32_e32 v1, v0, v1, vcc
	v_ldexp_f32 v2, v4, v5
	v_cvt_f16_f32_e32 v4, v1
	v_cmp_ngt_f32_e32 vcc, s3, v3
	v_cndmask_b32_e32 v2, 0, v2, vcc
	v_cmp_nlt_f32_e32 vcc, s2, v3
	v_cndmask_b32_e32 v25, v0, v2, vcc
	v_fmac_f32_e32 v25, v17, v1
	v_mul_u32_u24_e32 v0, 0x10001, v4
	v_mov_b32_e32 v47, v33
	v_pk_mul_f16 v55, v55, v0
	v_pk_mul_f16 v54, v54, v0
	v_mov_b32_e32 v46, v32
	v_mov_b32_e32 v45, v31
	;; [unrolled: 1-line block ×15, first 2 shown]
	s_branch .LBB17_49
.LBB17_48:
	v_mov_b32_e32 v25, v17
	v_mov_b32_e32 v24, v16
	;; [unrolled: 1-line block ×8, first 2 shown]
.LBB17_49:
	buffer_load_dword v0, off, s[84:87], 0 offset:300 ; 4-byte Folded Reload
	s_waitcnt vmcnt(0)
	v_lshlrev_b32_e32 v1, 1, v0
	v_add_u32_e32 v0, s33, v1
	v_cmp_gt_i32_e32 vcc, s62, v0
	s_and_saveexec_b64 s[2:3], vcc
	s_cbranch_execz .LBB17_98
; %bb.50:
	s_load_dword s6, s[4:5], 0xd4
	v_mov_b32_e32 v0, 1.0
	s_waitcnt lgkmcnt(0)
	s_cmp_lg_u32 s6, 1
	s_cselect_b64 s[2:3], -1, 0
	s_cmp_eq_u32 s6, 1
	s_cselect_b64 s[8:9], -1, 0
	s_and_b64 vcc, exec, s[2:3]
	s_cbranch_vccnz .LBB17_52
; %bb.51:
	v_div_scale_f32 v0, s[4:5], v10, v10, 1.0
	v_div_scale_f32 v2, vcc, 1.0, v10, 1.0
	v_rcp_f32_e32 v3, v0
	v_fma_f32 v4, -v0, v3, 1.0
	v_fmac_f32_e32 v3, v4, v3
	v_mul_f32_e32 v4, v2, v3
	v_fma_f32 v5, -v0, v4, v2
	v_fmac_f32_e32 v4, v5, v3
	v_fma_f32 v0, -v0, v4, v2
	v_div_fmas_f32 v0, v0, v3, v4
	v_div_fixup_f32 v0, v0, v10, 1.0
.LBB17_52:
	s_mul_i32 s10, s70, s62
	s_add_i32 s10, s10, s33
	v_add_u32_e32 v1, s10, v1
	v_mul_lo_u32 v10, v1, s63
	v_add_u32_e32 v1, s64, v10
	v_mul_lo_u32 v1, s6, v1
	v_add_u32_e32 v26, s7, v1
	s_and_saveexec_b64 s[4:5], s[0:1]
	s_cbranch_execz .LBB17_54
; %bb.53:
	buffer_load_dword v1, off, s[84:87], 0 offset:176 ; 4-byte Folded Reload
	s_movk_i32 s11, 0x70
	v_cvt_f32_f16_sdwa v3, v68 dst_sel:DWORD dst_unused:UNUSED_PAD src0_sel:WORD_1
	v_cvt_f32_f16_e32 v4, v68
	s_waitcnt vmcnt(0)
	v_lshlrev_b32_e32 v1, 2, v1
	v_mad_u64_u32 v[27:28], s[12:13], v26, s11, v[1:2]
	v_mov_b32_e32 v28, 0
	v_mov_b32_e32 v1, s57
	v_lshlrev_b64 v[27:28], 2, v[27:28]
	v_cvt_f32_f16_e32 v2, v69
	v_add_co_u32_e32 v31, vcc, s56, v27
	v_addc_co_u32_e32 v32, vcc, v1, v28, vcc
	v_cvt_f32_f16_sdwa v1, v69 dst_sel:DWORD dst_unused:UNUSED_PAD src0_sel:WORD_1
	v_mul_f32_e32 v29, v0, v2
	v_mul_f32_e32 v28, v0, v3
	;; [unrolled: 1-line block ×4, first 2 shown]
	global_store_dwordx4 v[31:32], v[27:30], off
.LBB17_54:
	s_or_b64 exec, exec, s[4:5]
	buffer_load_dword v0, off, s[84:87], 0 offset:176 ; 4-byte Folded Reload
	s_waitcnt vmcnt(0)
	v_cmp_eq_u32_e32 vcc, 0, v0
	s_and_b64 s[4:5], vcc, s[2:3]
	s_and_saveexec_b64 s[2:3], s[4:5]
	s_cbranch_execz .LBB17_56
; %bb.55:
	v_ashrrev_i32_e32 v27, 31, v26
	v_lshlrev_b64 v[0:1], 3, v[26:27]
	v_mov_b32_e32 v2, s59
	v_add_co_u32_e32 v0, vcc, s58, v0
	v_addc_co_u32_e32 v1, vcc, v2, v1, vcc
	v_mov_b32_e32 v26, v40
	v_mov_b32_e32 v27, v18
	global_store_dwordx2 v[0:1], v[26:27], off
.LBB17_56:
	s_or_b64 exec, exec, s[2:3]
	v_cndmask_b32_e64 v0, 0, 1, s[8:9]
	v_cmp_ne_u32_e64 s[2:3], 1, v0
	s_andn2_b64 vcc, exec, s[8:9]
	v_mov_b32_e32 v1, 1.0
	s_cbranch_vccnz .LBB17_58
; %bb.57:
	v_div_scale_f32 v0, s[8:9], v11, v11, 1.0
	v_div_scale_f32 v1, vcc, 1.0, v11, 1.0
	v_rcp_f32_e32 v2, v0
	v_fma_f32 v3, -v0, v2, 1.0
	v_fmac_f32_e32 v2, v3, v2
	v_mul_f32_e32 v3, v1, v2
	v_fma_f32 v4, -v0, v3, v1
	v_fmac_f32_e32 v3, v4, v2
	v_fma_f32 v0, -v0, v3, v1
	v_div_fmas_f32 v0, v0, v2, v3
	v_div_fixup_f32 v1, v0, v11, 1.0
.LBB17_58:
	s_add_i32 s13, s64, 1
	v_add_u32_e32 v0, s13, v10
	v_mul_lo_u32 v0, s6, v0
	v_add_u32_e32 v0, s7, v0
	s_and_saveexec_b64 s[8:9], s[0:1]
	s_cbranch_execnz .LBB17_99
; %bb.59:
	s_or_b64 exec, exec, s[8:9]
	s_and_saveexec_b64 s[8:9], s[4:5]
	s_cbranch_execnz .LBB17_100
.LBB17_60:
	s_or_b64 exec, exec, s[8:9]
	s_and_b64 vcc, exec, s[2:3]
	v_mov_b32_e32 v1, 1.0
	s_cbranch_vccnz .LBB17_62
.LBB17_61:
	v_div_scale_f32 v0, s[8:9], v12, v12, 1.0
	v_div_scale_f32 v1, vcc, 1.0, v12, 1.0
	v_rcp_f32_e32 v2, v0
	v_fma_f32 v3, -v0, v2, 1.0
	v_fmac_f32_e32 v2, v3, v2
	v_mul_f32_e32 v3, v1, v2
	v_fma_f32 v4, -v0, v3, v1
	v_fmac_f32_e32 v3, v4, v2
	v_fma_f32 v0, -v0, v3, v1
	v_div_fmas_f32 v0, v0, v2, v3
	v_div_fixup_f32 v1, v0, v12, 1.0
.LBB17_62:
	s_add_i32 s12, s64, 2
	v_add_u32_e32 v0, s12, v10
	v_mul_lo_u32 v0, s6, v0
	v_add_u32_e32 v0, s7, v0
	s_and_saveexec_b64 s[8:9], s[0:1]
	s_cbranch_execnz .LBB17_101
; %bb.63:
	s_or_b64 exec, exec, s[8:9]
	s_and_saveexec_b64 s[8:9], s[4:5]
	s_cbranch_execnz .LBB17_102
.LBB17_64:
	s_or_b64 exec, exec, s[8:9]
	s_and_b64 vcc, exec, s[2:3]
	v_mov_b32_e32 v1, 1.0
	s_cbranch_vccnz .LBB17_66
.LBB17_65:
	v_div_scale_f32 v0, s[8:9], v13, v13, 1.0
	v_div_scale_f32 v1, vcc, 1.0, v13, 1.0
	v_rcp_f32_e32 v2, v0
	v_fma_f32 v3, -v0, v2, 1.0
	v_fmac_f32_e32 v2, v3, v2
	v_mul_f32_e32 v3, v1, v2
	v_fma_f32 v4, -v0, v3, v1
	v_fmac_f32_e32 v3, v4, v2
	v_fma_f32 v0, -v0, v3, v1
	v_div_fmas_f32 v0, v0, v2, v3
	v_div_fixup_f32 v1, v0, v13, 1.0
.LBB17_66:
	s_add_i32 s11, s64, 3
	v_add_u32_e32 v0, s11, v10
	v_mul_lo_u32 v0, s6, v0
	v_add_u32_e32 v0, s7, v0
	s_and_saveexec_b64 s[8:9], s[0:1]
	s_cbranch_execz .LBB17_68
; %bb.67:
	buffer_load_dword v2, off, s[84:87], 0 offset:304 ; 4-byte Folded Reload
	buffer_load_dword v3, off, s[84:87], 0 offset:308 ; 4-byte Folded Reload
	s_movk_i32 s14, 0x70
	v_mov_b32_e32 v4, s57
	v_cvt_f32_f16_sdwa v5, v62 dst_sel:DWORD dst_unused:UNUSED_PAD src0_sel:WORD_1
	v_cvt_f32_f16_e32 v6, v62
	s_waitcnt vmcnt(0)
	v_mad_u64_u32 v[2:3], s[14:15], v0, s14, v[2:3]
	v_mov_b32_e32 v3, 0
	v_lshlrev_b64 v[2:3], 2, v[2:3]
	v_add_co_u32_e32 v10, vcc, s56, v2
	v_addc_co_u32_e32 v11, vcc, v4, v3, vcc
	v_cvt_f32_f16_sdwa v2, v63 dst_sel:DWORD dst_unused:UNUSED_PAD src0_sel:WORD_1
	v_cvt_f32_f16_e32 v3, v63
	v_mul_f32_e32 v4, v1, v2
	v_mul_f32_e32 v3, v1, v3
	;; [unrolled: 1-line block ×4, first 2 shown]
	global_store_dwordx4 v[10:11], v[1:4], off
.LBB17_68:
	s_or_b64 exec, exec, s[8:9]
	s_and_saveexec_b64 s[8:9], s[4:5]
	s_cbranch_execz .LBB17_70
; %bb.69:
	v_ashrrev_i32_e32 v1, 31, v0
	v_lshlrev_b64 v[0:1], 3, v[0:1]
	v_mov_b32_e32 v2, s59
	v_add_co_u32_e32 v0, vcc, s58, v0
	v_addc_co_u32_e32 v1, vcc, v2, v1, vcc
	v_mov_b32_e32 v20, v43
	global_store_dwordx2 v[0:1], v[20:21], off
.LBB17_70:
	s_or_b64 exec, exec, s[8:9]
	buffer_load_dword v0, off, s[84:87], 0 offset:312 ; 4-byte Folded Reload
	s_waitcnt vmcnt(0)
	v_add_u32_e32 v0, s33, v0
	v_cmp_gt_i32_e32 vcc, s62, v0
	s_and_b64 exec, exec, vcc
	s_cbranch_execz .LBB17_98
; %bb.71:
	s_and_b64 vcc, exec, s[2:3]
	v_mov_b32_e32 v1, 1.0
	s_cbranch_vccnz .LBB17_73
; %bb.72:
	v_div_scale_f32 v0, s[8:9], v14, v14, 1.0
	v_div_scale_f32 v1, vcc, 1.0, v14, 1.0
	v_rcp_f32_e32 v2, v0
	v_fma_f32 v3, -v0, v2, 1.0
	v_fmac_f32_e32 v2, v3, v2
	v_mul_f32_e32 v3, v1, v2
	v_fma_f32 v4, -v0, v3, v1
	v_fmac_f32_e32 v3, v4, v2
	v_fma_f32 v0, -v0, v3, v1
	v_div_fmas_f32 v0, v0, v2, v3
	v_div_fixup_f32 v1, v0, v14, 1.0
.LBB17_73:
	buffer_load_dword v0, off, s[84:87], 0 offset:312 ; 4-byte Folded Reload
	s_waitcnt vmcnt(0)
	v_add_u32_e32 v0, s10, v0
	v_mul_lo_u32 v0, v0, s63
	v_add_u32_e32 v0, s64, v0
	v_mul_lo_u32 v0, s6, v0
	v_add_u32_e32 v0, s7, v0
	s_and_saveexec_b64 s[8:9], s[0:1]
	s_cbranch_execz .LBB17_75
; %bb.74:
	buffer_load_dword v2, off, s[84:87], 0 offset:304 ; 4-byte Folded Reload
	buffer_load_dword v3, off, s[84:87], 0 offset:308 ; 4-byte Folded Reload
	s_movk_i32 s14, 0x70
	v_mov_b32_e32 v4, s57
	v_cvt_f32_f16_sdwa v5, v60 dst_sel:DWORD dst_unused:UNUSED_PAD src0_sel:WORD_1
	v_cvt_f32_f16_e32 v6, v60
	s_waitcnt vmcnt(0)
	v_mad_u64_u32 v[2:3], s[14:15], v0, s14, v[2:3]
	v_mov_b32_e32 v3, 0
	v_lshlrev_b64 v[2:3], 2, v[2:3]
	v_add_co_u32_e32 v10, vcc, s56, v2
	v_addc_co_u32_e32 v11, vcc, v4, v3, vcc
	v_cvt_f32_f16_sdwa v2, v61 dst_sel:DWORD dst_unused:UNUSED_PAD src0_sel:WORD_1
	v_cvt_f32_f16_e32 v3, v61
	v_mul_f32_e32 v4, v1, v2
	v_mul_f32_e32 v3, v1, v3
	v_mul_f32_e32 v2, v1, v5
	v_mul_f32_e32 v1, v1, v6
	global_store_dwordx4 v[10:11], v[1:4], off
.LBB17_75:
	s_or_b64 exec, exec, s[8:9]
	s_and_saveexec_b64 s[8:9], s[4:5]
	s_cbranch_execz .LBB17_77
; %bb.76:
	v_ashrrev_i32_e32 v1, 31, v0
	v_lshlrev_b64 v[0:1], 3, v[0:1]
	v_mov_b32_e32 v2, s59
	v_add_co_u32_e32 v0, vcc, s58, v0
	v_addc_co_u32_e32 v1, vcc, v2, v1, vcc
	v_mov_b32_e32 v21, v44
	global_store_dwordx2 v[0:1], v[21:22], off
.LBB17_77:
	s_or_b64 exec, exec, s[8:9]
	buffer_load_dword v0, off, s[84:87], 0 offset:316 ; 4-byte Folded Reload
	s_waitcnt vmcnt(0)
	v_lshrrev_b32_e32 v0, 2, v0
	v_add_u32_e32 v1, s33, v0
	v_cmp_gt_i32_e32 vcc, s62, v1
	s_and_b64 exec, exec, vcc
	s_cbranch_execz .LBB17_98
; %bb.78:
	s_and_b64 vcc, exec, s[2:3]
	v_mov_b32_e32 v1, 1.0
	s_cbranch_vccnz .LBB17_80
; %bb.79:
	v_div_scale_f32 v1, s[8:9], v15, v15, 1.0
	v_div_scale_f32 v2, vcc, 1.0, v15, 1.0
	v_rcp_f32_e32 v3, v1
	v_fma_f32 v4, -v1, v3, 1.0
	v_fmac_f32_e32 v3, v4, v3
	v_mul_f32_e32 v4, v2, v3
	v_fma_f32 v5, -v1, v4, v2
	v_fmac_f32_e32 v4, v5, v3
	v_fma_f32 v1, -v1, v4, v2
	v_div_fmas_f32 v1, v1, v3, v4
	v_div_fixup_f32 v1, v1, v15, 1.0
.LBB17_80:
	v_add_u32_e32 v0, s10, v0
	v_mul_lo_u32 v0, v0, s63
	v_add_u32_e32 v0, s13, v0
	v_mul_lo_u32 v0, s6, v0
	v_add_u32_e32 v0, s7, v0
	s_and_saveexec_b64 s[8:9], s[0:1]
	s_cbranch_execz .LBB17_82
; %bb.81:
	buffer_load_dword v2, off, s[84:87], 0 offset:304 ; 4-byte Folded Reload
	buffer_load_dword v3, off, s[84:87], 0 offset:308 ; 4-byte Folded Reload
	s_movk_i32 s13, 0x70
	v_mov_b32_e32 v4, s57
	v_cvt_f32_f16_sdwa v7, v58 dst_sel:DWORD dst_unused:UNUSED_PAD src0_sel:WORD_1
	v_cvt_f32_f16_e32 v8, v58
	s_waitcnt vmcnt(0)
	v_mad_u64_u32 v[2:3], s[14:15], v0, s13, v[2:3]
	v_mov_b32_e32 v3, 0
	v_lshlrev_b64 v[2:3], 2, v[2:3]
	v_add_co_u32_e32 v5, vcc, s56, v2
	v_addc_co_u32_e32 v6, vcc, v4, v3, vcc
	v_cvt_f32_f16_sdwa v2, v59 dst_sel:DWORD dst_unused:UNUSED_PAD src0_sel:WORD_1
	v_cvt_f32_f16_e32 v3, v59
	v_mul_f32_e32 v4, v1, v2
	v_mul_f32_e32 v3, v1, v3
	;; [unrolled: 1-line block ×4, first 2 shown]
	global_store_dwordx4 v[5:6], v[1:4], off
.LBB17_82:
	s_or_b64 exec, exec, s[8:9]
	s_and_saveexec_b64 s[8:9], s[4:5]
	s_cbranch_execz .LBB17_84
; %bb.83:
	v_ashrrev_i32_e32 v1, 31, v0
	v_lshlrev_b64 v[0:1], 3, v[0:1]
	v_mov_b32_e32 v2, s59
	v_add_co_u32_e32 v0, vcc, s58, v0
	v_addc_co_u32_e32 v1, vcc, v2, v1, vcc
	v_mov_b32_e32 v22, v45
	global_store_dwordx2 v[0:1], v[22:23], off
.LBB17_84:
	s_or_b64 exec, exec, s[8:9]
	buffer_load_dword v0, off, s[84:87], 0 offset:320 ; 4-byte Folded Reload
	s_waitcnt vmcnt(0)
	v_lshrrev_b32_e32 v0, 2, v0
	v_add_u32_e32 v1, s33, v0
	v_cmp_gt_i32_e32 vcc, s62, v1
	s_and_b64 exec, exec, vcc
	s_cbranch_execz .LBB17_98
; %bb.85:
	s_and_b64 vcc, exec, s[2:3]
	v_mov_b32_e32 v1, 1.0
	s_cbranch_vccnz .LBB17_87
; %bb.86:
	v_div_scale_f32 v1, s[8:9], v16, v16, 1.0
	v_div_scale_f32 v2, vcc, 1.0, v16, 1.0
	v_rcp_f32_e32 v3, v1
	v_fma_f32 v4, -v1, v3, 1.0
	v_fmac_f32_e32 v3, v4, v3
	v_mul_f32_e32 v4, v2, v3
	v_fma_f32 v5, -v1, v4, v2
	v_fmac_f32_e32 v4, v5, v3
	v_fma_f32 v1, -v1, v4, v2
	v_div_fmas_f32 v1, v1, v3, v4
	v_div_fixup_f32 v1, v1, v16, 1.0
.LBB17_87:
	v_add_u32_e32 v0, s10, v0
	v_mul_lo_u32 v0, v0, s63
	v_add_u32_e32 v0, s12, v0
	v_mul_lo_u32 v0, s6, v0
	v_add_u32_e32 v0, s7, v0
	s_and_saveexec_b64 s[8:9], s[0:1]
	s_cbranch_execz .LBB17_89
; %bb.88:
	buffer_load_dword v2, off, s[84:87], 0 offset:304 ; 4-byte Folded Reload
	buffer_load_dword v3, off, s[84:87], 0 offset:308 ; 4-byte Folded Reload
	s_movk_i32 s12, 0x70
	v_mov_b32_e32 v4, s57
	v_cvt_f32_f16_sdwa v7, v56 dst_sel:DWORD dst_unused:UNUSED_PAD src0_sel:WORD_1
	v_cvt_f32_f16_e32 v8, v56
	s_waitcnt vmcnt(0)
	v_mad_u64_u32 v[2:3], s[12:13], v0, s12, v[2:3]
	v_mov_b32_e32 v3, 0
	v_lshlrev_b64 v[2:3], 2, v[2:3]
	v_add_co_u32_e32 v5, vcc, s56, v2
	v_addc_co_u32_e32 v6, vcc, v4, v3, vcc
	v_cvt_f32_f16_sdwa v2, v57 dst_sel:DWORD dst_unused:UNUSED_PAD src0_sel:WORD_1
	v_cvt_f32_f16_e32 v3, v57
	v_mul_f32_e32 v4, v1, v2
	v_mul_f32_e32 v3, v1, v3
	;; [unrolled: 1-line block ×4, first 2 shown]
	global_store_dwordx4 v[5:6], v[1:4], off
.LBB17_89:
	s_or_b64 exec, exec, s[8:9]
	s_and_saveexec_b64 s[8:9], s[4:5]
	s_cbranch_execz .LBB17_91
; %bb.90:
	v_ashrrev_i32_e32 v1, 31, v0
	v_lshlrev_b64 v[0:1], 3, v[0:1]
	v_mov_b32_e32 v2, s59
	v_add_co_u32_e32 v0, vcc, s58, v0
	v_addc_co_u32_e32 v1, vcc, v2, v1, vcc
	v_mov_b32_e32 v23, v46
	global_store_dwordx2 v[0:1], v[23:24], off
.LBB17_91:
	s_or_b64 exec, exec, s[8:9]
	buffer_load_dword v0, off, s[84:87], 0 offset:324 ; 4-byte Folded Reload
	s_waitcnt vmcnt(0)
	v_lshrrev_b32_e32 v0, 2, v0
	v_add_u32_e32 v1, s33, v0
	v_cmp_gt_i32_e32 vcc, s62, v1
	s_and_b64 exec, exec, vcc
	s_cbranch_execz .LBB17_98
; %bb.92:
	s_and_b64 vcc, exec, s[2:3]
	v_mov_b32_e32 v1, 1.0
	s_cbranch_vccnz .LBB17_94
; %bb.93:
	v_div_scale_f32 v1, s[2:3], v17, v17, 1.0
	v_div_scale_f32 v2, vcc, 1.0, v17, 1.0
	v_rcp_f32_e32 v3, v1
	v_fma_f32 v4, -v1, v3, 1.0
	v_fmac_f32_e32 v3, v4, v3
	v_mul_f32_e32 v4, v2, v3
	v_fma_f32 v5, -v1, v4, v2
	v_fmac_f32_e32 v4, v5, v3
	v_fma_f32 v1, -v1, v4, v2
	v_div_fmas_f32 v1, v1, v3, v4
	v_div_fixup_f32 v1, v1, v17, 1.0
.LBB17_94:
	v_add_u32_e32 v0, s10, v0
	v_mul_lo_u32 v0, v0, s63
	v_add_u32_e32 v0, s11, v0
	v_mul_lo_u32 v0, s6, v0
	v_add_u32_e32 v0, s7, v0
	s_and_saveexec_b64 s[2:3], s[0:1]
	s_cbranch_execz .LBB17_96
; %bb.95:
	buffer_load_dword v2, off, s[84:87], 0 offset:304 ; 4-byte Folded Reload
	buffer_load_dword v3, off, s[84:87], 0 offset:308 ; 4-byte Folded Reload
	s_movk_i32 s0, 0x70
	v_mov_b32_e32 v4, s57
	v_cvt_f32_f16_sdwa v7, v55 dst_sel:DWORD dst_unused:UNUSED_PAD src0_sel:WORD_1
	v_cvt_f32_f16_e32 v8, v55
	s_waitcnt vmcnt(0)
	v_mad_u64_u32 v[2:3], s[0:1], v0, s0, v[2:3]
	v_mov_b32_e32 v3, 0
	v_lshlrev_b64 v[2:3], 2, v[2:3]
	v_add_co_u32_e32 v5, vcc, s56, v2
	v_addc_co_u32_e32 v6, vcc, v4, v3, vcc
	v_cvt_f32_f16_sdwa v2, v54 dst_sel:DWORD dst_unused:UNUSED_PAD src0_sel:WORD_1
	v_cvt_f32_f16_e32 v3, v54
	v_mul_f32_e32 v4, v1, v2
	v_mul_f32_e32 v3, v1, v3
	;; [unrolled: 1-line block ×4, first 2 shown]
	global_store_dwordx4 v[5:6], v[1:4], off
.LBB17_96:
	s_or_b64 exec, exec, s[2:3]
	s_and_b64 exec, exec, s[4:5]
	s_cbranch_execz .LBB17_98
; %bb.97:
	v_ashrrev_i32_e32 v1, 31, v0
	v_lshlrev_b64 v[0:1], 3, v[0:1]
	v_mov_b32_e32 v2, s59
	v_add_co_u32_e32 v0, vcc, s58, v0
	v_addc_co_u32_e32 v1, vcc, v2, v1, vcc
	v_mov_b32_e32 v24, v47
	global_store_dwordx2 v[0:1], v[24:25], off
.LBB17_98:
	s_endpgm
.LBB17_99:
	buffer_load_dword v2, off, s[84:87], 0 offset:304 ; 4-byte Folded Reload
	buffer_load_dword v3, off, s[84:87], 0 offset:308 ; 4-byte Folded Reload
	s_movk_i32 s11, 0x70
	v_cvt_f32_f16_sdwa v4, v66 dst_sel:DWORD dst_unused:UNUSED_PAD src0_sel:WORD_1
	v_cvt_f32_f16_e32 v5, v66
	s_waitcnt vmcnt(0)
	v_mad_u64_u32 v[26:27], s[14:15], v0, s11, v[2:3]
	v_mov_b32_e32 v27, 0
	v_mov_b32_e32 v2, s57
	v_lshlrev_b64 v[26:27], 2, v[26:27]
	v_cvt_f32_f16_e32 v3, v67
	v_add_co_u32_e32 v30, vcc, s56, v26
	v_addc_co_u32_e32 v31, vcc, v2, v27, vcc
	v_cvt_f32_f16_sdwa v2, v67 dst_sel:DWORD dst_unused:UNUSED_PAD src0_sel:WORD_1
	v_mul_f32_e32 v28, v1, v3
	v_mul_f32_e32 v27, v1, v4
	;; [unrolled: 1-line block ×4, first 2 shown]
	global_store_dwordx4 v[30:31], v[26:29], off
	s_or_b64 exec, exec, s[8:9]
	s_and_saveexec_b64 s[8:9], s[4:5]
	s_cbranch_execz .LBB17_60
.LBB17_100:
	v_ashrrev_i32_e32 v1, 31, v0
	v_lshlrev_b64 v[0:1], 3, v[0:1]
	v_mov_b32_e32 v2, s59
	v_add_co_u32_e32 v0, vcc, s58, v0
	v_addc_co_u32_e32 v1, vcc, v2, v1, vcc
	v_mov_b32_e32 v18, v41
	global_store_dwordx2 v[0:1], v[18:19], off
	s_or_b64 exec, exec, s[8:9]
	s_and_b64 vcc, exec, s[2:3]
	v_mov_b32_e32 v1, 1.0
	s_cbranch_vccz .LBB17_61
	s_branch .LBB17_62
.LBB17_101:
	buffer_load_dword v2, off, s[84:87], 0 offset:304 ; 4-byte Folded Reload
	buffer_load_dword v3, off, s[84:87], 0 offset:308 ; 4-byte Folded Reload
	s_movk_i32 s11, 0x70
	v_mov_b32_e32 v4, s57
	v_cvt_f32_f16_e32 v5, v65
	v_cvt_f32_f16_sdwa v6, v64 dst_sel:DWORD dst_unused:UNUSED_PAD src0_sel:WORD_1
	v_cvt_f32_f16_e32 v7, v64
	v_mul_f32_e32 v28, v1, v5
	v_mul_f32_e32 v27, v1, v6
	v_mul_f32_e32 v26, v1, v7
	s_waitcnt vmcnt(0)
	v_mad_u64_u32 v[2:3], s[14:15], v0, s11, v[2:3]
	v_mov_b32_e32 v3, 0
	v_lshlrev_b64 v[2:3], 2, v[2:3]
	v_add_co_u32_e32 v2, vcc, s56, v2
	v_addc_co_u32_e32 v3, vcc, v4, v3, vcc
	v_cvt_f32_f16_sdwa v4, v65 dst_sel:DWORD dst_unused:UNUSED_PAD src0_sel:WORD_1
	v_mul_f32_e32 v29, v1, v4
	global_store_dwordx4 v[2:3], v[26:29], off
	s_or_b64 exec, exec, s[8:9]
	s_and_saveexec_b64 s[8:9], s[4:5]
	s_cbranch_execz .LBB17_64
.LBB17_102:
	v_ashrrev_i32_e32 v1, 31, v0
	v_lshlrev_b64 v[0:1], 3, v[0:1]
	v_mov_b32_e32 v2, s59
	v_add_co_u32_e32 v0, vcc, s58, v0
	v_addc_co_u32_e32 v1, vcc, v2, v1, vcc
	v_mov_b32_e32 v19, v42
	global_store_dwordx2 v[0:1], v[19:20], off
	s_or_b64 exec, exec, s[8:9]
	s_and_b64 vcc, exec, s[2:3]
	v_mov_b32_e32 v1, 1.0
	s_cbranch_vccz .LBB17_65
	s_branch .LBB17_66
	.section	.rodata,"a",@progbits
	.p2align	6, 0x0
	.amdhsa_kernel _ZL15flash_attn_tileILi112ELi112ELi16ELi4ELb0EEvPKcS1_S1_S1_S1_PKiPfP15HIP_vector_typeIfLj2EEffffjfiS5_IjLj3EEiiiiiiiiiiiliiliiiiil
		.amdhsa_group_segment_fixed_size 22592
		.amdhsa_private_segment_fixed_size 332
		.amdhsa_kernarg_size 464
		.amdhsa_user_sgpr_count 6
		.amdhsa_user_sgpr_private_segment_buffer 1
		.amdhsa_user_sgpr_dispatch_ptr 0
		.amdhsa_user_sgpr_queue_ptr 0
		.amdhsa_user_sgpr_kernarg_segment_ptr 1
		.amdhsa_user_sgpr_dispatch_id 0
		.amdhsa_user_sgpr_flat_scratch_init 0
		.amdhsa_user_sgpr_private_segment_size 0
		.amdhsa_uses_dynamic_stack 0
		.amdhsa_system_sgpr_private_segment_wavefront_offset 1
		.amdhsa_system_sgpr_workgroup_id_x 1
		.amdhsa_system_sgpr_workgroup_id_y 1
		.amdhsa_system_sgpr_workgroup_id_z 1
		.amdhsa_system_sgpr_workgroup_info 0
		.amdhsa_system_vgpr_workitem_id 1
		.amdhsa_next_free_vgpr 128
		.amdhsa_next_free_sgpr 98
		.amdhsa_reserve_vcc 1
		.amdhsa_reserve_flat_scratch 0
		.amdhsa_float_round_mode_32 0
		.amdhsa_float_round_mode_16_64 0
		.amdhsa_float_denorm_mode_32 3
		.amdhsa_float_denorm_mode_16_64 3
		.amdhsa_dx10_clamp 1
		.amdhsa_ieee_mode 1
		.amdhsa_fp16_overflow 0
		.amdhsa_exception_fp_ieee_invalid_op 0
		.amdhsa_exception_fp_denorm_src 0
		.amdhsa_exception_fp_ieee_div_zero 0
		.amdhsa_exception_fp_ieee_overflow 0
		.amdhsa_exception_fp_ieee_underflow 0
		.amdhsa_exception_fp_ieee_inexact 0
		.amdhsa_exception_int_div_zero 0
	.end_amdhsa_kernel
	.section	.text._ZL15flash_attn_tileILi112ELi112ELi16ELi4ELb0EEvPKcS1_S1_S1_S1_PKiPfP15HIP_vector_typeIfLj2EEffffjfiS5_IjLj3EEiiiiiiiiiiiliiliiiiil,"axG",@progbits,_ZL15flash_attn_tileILi112ELi112ELi16ELi4ELb0EEvPKcS1_S1_S1_S1_PKiPfP15HIP_vector_typeIfLj2EEffffjfiS5_IjLj3EEiiiiiiiiiiiliiliiiiil,comdat
.Lfunc_end17:
	.size	_ZL15flash_attn_tileILi112ELi112ELi16ELi4ELb0EEvPKcS1_S1_S1_S1_PKiPfP15HIP_vector_typeIfLj2EEffffjfiS5_IjLj3EEiiiiiiiiiiiliiliiiiil, .Lfunc_end17-_ZL15flash_attn_tileILi112ELi112ELi16ELi4ELb0EEvPKcS1_S1_S1_S1_PKiPfP15HIP_vector_typeIfLj2EEffffjfiS5_IjLj3EEiiiiiiiiiiiliiliiiiil
                                        ; -- End function
	.set _ZL15flash_attn_tileILi112ELi112ELi16ELi4ELb0EEvPKcS1_S1_S1_S1_PKiPfP15HIP_vector_typeIfLj2EEffffjfiS5_IjLj3EEiiiiiiiiiiiliiliiiiil.num_vgpr, 128
	.set _ZL15flash_attn_tileILi112ELi112ELi16ELi4ELb0EEvPKcS1_S1_S1_S1_PKiPfP15HIP_vector_typeIfLj2EEffffjfiS5_IjLj3EEiiiiiiiiiiiliiliiiiil.num_agpr, 0
	.set _ZL15flash_attn_tileILi112ELi112ELi16ELi4ELb0EEvPKcS1_S1_S1_S1_PKiPfP15HIP_vector_typeIfLj2EEffffjfiS5_IjLj3EEiiiiiiiiiiiliiliiiiil.numbered_sgpr, 88
	.set _ZL15flash_attn_tileILi112ELi112ELi16ELi4ELb0EEvPKcS1_S1_S1_S1_PKiPfP15HIP_vector_typeIfLj2EEffffjfiS5_IjLj3EEiiiiiiiiiiiliiliiiiil.num_named_barrier, 0
	.set _ZL15flash_attn_tileILi112ELi112ELi16ELi4ELb0EEvPKcS1_S1_S1_S1_PKiPfP15HIP_vector_typeIfLj2EEffffjfiS5_IjLj3EEiiiiiiiiiiiliiliiiiil.private_seg_size, 332
	.set _ZL15flash_attn_tileILi112ELi112ELi16ELi4ELb0EEvPKcS1_S1_S1_S1_PKiPfP15HIP_vector_typeIfLj2EEffffjfiS5_IjLj3EEiiiiiiiiiiiliiliiiiil.uses_vcc, 1
	.set _ZL15flash_attn_tileILi112ELi112ELi16ELi4ELb0EEvPKcS1_S1_S1_S1_PKiPfP15HIP_vector_typeIfLj2EEffffjfiS5_IjLj3EEiiiiiiiiiiiliiliiiiil.uses_flat_scratch, 0
	.set _ZL15flash_attn_tileILi112ELi112ELi16ELi4ELb0EEvPKcS1_S1_S1_S1_PKiPfP15HIP_vector_typeIfLj2EEffffjfiS5_IjLj3EEiiiiiiiiiiiliiliiiiil.has_dyn_sized_stack, 0
	.set _ZL15flash_attn_tileILi112ELi112ELi16ELi4ELb0EEvPKcS1_S1_S1_S1_PKiPfP15HIP_vector_typeIfLj2EEffffjfiS5_IjLj3EEiiiiiiiiiiiliiliiiiil.has_recursion, 0
	.set _ZL15flash_attn_tileILi112ELi112ELi16ELi4ELb0EEvPKcS1_S1_S1_S1_PKiPfP15HIP_vector_typeIfLj2EEffffjfiS5_IjLj3EEiiiiiiiiiiiliiliiiiil.has_indirect_call, 0
	.section	.AMDGPU.csdata,"",@progbits
; Kernel info:
; codeLenInByte = 25876
; TotalNumSgprs: 92
; NumVgprs: 128
; ScratchSize: 332
; MemoryBound: 0
; FloatMode: 240
; IeeeMode: 1
; LDSByteSize: 22592 bytes/workgroup (compile time only)
; SGPRBlocks: 12
; VGPRBlocks: 31
; NumSGPRsForWavesPerEU: 102
; NumVGPRsForWavesPerEU: 128
; Occupancy: 2
; WaveLimiterHint : 1
; COMPUTE_PGM_RSRC2:SCRATCH_EN: 1
; COMPUTE_PGM_RSRC2:USER_SGPR: 6
; COMPUTE_PGM_RSRC2:TRAP_HANDLER: 0
; COMPUTE_PGM_RSRC2:TGID_X_EN: 1
; COMPUTE_PGM_RSRC2:TGID_Y_EN: 1
; COMPUTE_PGM_RSRC2:TGID_Z_EN: 1
; COMPUTE_PGM_RSRC2:TIDIG_COMP_CNT: 1
	.section	.text._ZL25flash_attn_mask_to_KV_maxILi16EEvPK7__half2Piiii,"axG",@progbits,_ZL25flash_attn_mask_to_KV_maxILi16EEvPK7__half2Piiii,comdat
	.globl	_ZL25flash_attn_mask_to_KV_maxILi16EEvPK7__half2Piiii ; -- Begin function _ZL25flash_attn_mask_to_KV_maxILi16EEvPK7__half2Piiii
	.p2align	8
	.type	_ZL25flash_attn_mask_to_KV_maxILi16EEvPK7__half2Piiii,@function
_ZL25flash_attn_mask_to_KV_maxILi16EEvPK7__half2Piiii: ; @_ZL25flash_attn_mask_to_KV_maxILi16EEvPK7__half2Piiii
; %bb.0:
	s_load_dwordx4 s[8:11], s[4:5], 0x0
	v_cmp_gt_u32_e32 vcc, 32, v0
	s_and_saveexec_b64 s[0:1], vcc
; %bb.1:
	v_lshlrev_b32_e32 v1, 2, v0
	v_mov_b32_e32 v2, 1
	ds_write_b32 v1, v2
; %bb.2:
	s_or_b64 exec, exec, s[0:1]
	s_load_dwordx4 s[12:15], s[4:5], 0x10
	s_load_dword s33, s[4:5], 0x20
	v_and_b32_e32 v1, 31, v0
	v_lshlrev_b32_e32 v6, 2, v1
	v_lshrrev_b32_e32 v5, 3, v0
	s_waitcnt lgkmcnt(0)
	s_mul_i32 s1, s6, s13
	s_mul_i32 s0, s14, s7
	s_lshl_b32 s1, s1, 4
	s_add_i32 s0, s0, s1
	s_ashr_i32 s1, s0, 31
	s_lshl_b64 s[0:1], s[0:1], 2
	s_add_u32 s72, s8, s0
	s_addc_u32 s73, s9, s1
	v_cmp_eq_u32_e64 s[0:1], 0, v1
	v_mbcnt_lo_u32_b32 v1, -1, 0
	s_lshl_b32 s12, s12, 8
	s_mov_b64 s[4:5], 0
	v_mov_b32_e32 v2, 0
	s_movk_i32 s74, 0x204
	v_mbcnt_hi_u32_b32 v7, -1, v1
	s_barrier
                                        ; implicit-def: $sgpr2_sgpr3
	s_branch .LBB18_5
.LBB18_3:                               ;   in Loop: Header=BB18_5 Depth=1
	s_or_b64 exec, exec, s[8:9]
	s_waitcnt lgkmcnt(0)
	s_barrier
	ds_read_b32 v10, v6
	s_waitcnt lgkmcnt(0)
	s_barrier
	ds_bpermute_b32 v1, v1, v10
	v_cmp_ne_u32_e32 vcc, 0, v10
	s_waitcnt lgkmcnt(0)
	v_cmp_ne_u32_e64 s[2:3], 0, v1
	s_and_b64 s[2:3], vcc, s[2:3]
	v_cndmask_b32_e64 v1, 0, 1, s[2:3]
	ds_bpermute_b32 v1, v3, v1
	s_waitcnt lgkmcnt(0)
	v_cmp_ne_u32_e32 vcc, 0, v1
	s_and_b64 s[2:3], vcc, s[2:3]
	v_cndmask_b32_e64 v1, 0, 1, s[2:3]
	ds_bpermute_b32 v1, v4, v1
	s_waitcnt lgkmcnt(0)
	v_cmp_ne_u32_e32 vcc, 0, v1
	;; [unrolled: 5-line block ×3, first 2 shown]
	s_and_b64 s[2:3], vcc, s[2:3]
	v_cndmask_b32_e64 v1, 0, 1, s[2:3]
	ds_bpermute_b32 v1, v9, v1
	s_xor_b64 s[2:3], s[2:3], -1
	s_waitcnt lgkmcnt(0)
	v_cmp_eq_u32_e32 vcc, 0, v1
	s_or_b64 s[2:3], vcc, s[2:3]
.LBB18_4:                               ;   in Loop: Header=BB18_5 Depth=1
	s_and_b64 s[8:9], exec, s[2:3]
	s_or_b64 s[4:5], s[8:9], s[4:5]
	v_mov_b32_e32 v1, s12
	s_mov_b32 s12, s75
	s_andn2_b64 exec, exec, s[4:5]
	s_cbranch_execz .LBB18_68
.LBB18_5:                               ; =>This Inner Loop Header: Depth=1
	s_add_i32 s75, s12, 0xffffff00
	s_or_b64 s[2:3], s[2:3], exec
	s_cmp_lt_i32 s75, 0
	s_cbranch_scc1 .LBB18_4
; %bb.6:                                ;   in Loop: Header=BB18_5 Depth=1
	s_lshr_b32 s2, s75, 1
	v_add_u32_e32 v1, s2, v0
	v_lshlrev_b64 v[3:4], 2, v[1:2]
	v_mov_b32_e32 v8, s73
	v_add_co_u32_e32 v3, vcc, s72, v3
	v_addc_co_u32_e32 v4, vcc, v8, v4, vcc
	global_load_dword v3, v[3:4], off
	v_mov_b32_e32 v4, 0
	s_waitcnt vmcnt(0)
	v_cmp_class_f16_e64 s[2:3], v3, s74
	v_cmp_class_f16_sdwa s[8:9], v3, s74 src0_sel:WORD_1 src1_sel:DWORD
	s_and_b64 s[8:9], s[2:3], s[8:9]
	s_and_saveexec_b64 s[2:3], s[8:9]
	s_cbranch_execz .LBB18_66
; %bb.7:                                ;   in Loop: Header=BB18_5 Depth=1
	v_add_u32_e32 v3, s13, v1
	v_ashrrev_i32_e32 v4, 31, v3
	v_lshlrev_b64 v[8:9], 2, v[3:4]
	v_mov_b32_e32 v1, s73
	v_add_co_u32_e32 v8, vcc, s72, v8
	v_addc_co_u32_e32 v9, vcc, v1, v9, vcc
	global_load_dword v1, v[8:9], off
	v_mov_b32_e32 v4, 0
	s_waitcnt vmcnt(0)
	v_cmp_class_f16_e64 s[14:15], v1, s74
	s_and_saveexec_b64 s[8:9], s[14:15]
	s_cbranch_execz .LBB18_65
; %bb.8:                                ;   in Loop: Header=BB18_5 Depth=1
	v_cmp_class_f16_sdwa s[16:17], v1, s74 src0_sel:WORD_1 src1_sel:DWORD
	v_mov_b32_e32 v4, 0
	s_and_saveexec_b64 s[14:15], s[16:17]
	s_cbranch_execz .LBB18_64
; %bb.9:                                ;   in Loop: Header=BB18_5 Depth=1
	v_add_u32_e32 v3, s13, v3
	v_ashrrev_i32_e32 v4, 31, v3
	v_lshlrev_b64 v[8:9], 2, v[3:4]
	v_mov_b32_e32 v1, s73
	v_add_co_u32_e32 v8, vcc, s72, v8
	v_addc_co_u32_e32 v9, vcc, v1, v9, vcc
	global_load_dword v1, v[8:9], off
	v_mov_b32_e32 v4, 0
	s_waitcnt vmcnt(0)
	v_cmp_class_f16_e64 s[18:19], v1, s74
	s_and_saveexec_b64 s[16:17], s[18:19]
	s_cbranch_execz .LBB18_63
; %bb.10:                               ;   in Loop: Header=BB18_5 Depth=1
	v_cmp_class_f16_sdwa s[20:21], v1, s74 src0_sel:WORD_1 src1_sel:DWORD
	v_mov_b32_e32 v4, 0
	s_and_saveexec_b64 s[18:19], s[20:21]
	s_cbranch_execz .LBB18_62
; %bb.11:                               ;   in Loop: Header=BB18_5 Depth=1
	v_add_u32_e32 v3, s13, v3
	v_ashrrev_i32_e32 v4, 31, v3
	v_lshlrev_b64 v[8:9], 2, v[3:4]
	v_mov_b32_e32 v1, s73
	v_add_co_u32_e32 v8, vcc, s72, v8
	v_addc_co_u32_e32 v9, vcc, v1, v9, vcc
	global_load_dword v1, v[8:9], off
	v_mov_b32_e32 v4, 0
	s_waitcnt vmcnt(0)
	v_cmp_class_f16_e64 s[22:23], v1, s74
	s_and_saveexec_b64 s[20:21], s[22:23]
	s_cbranch_execz .LBB18_61
; %bb.12:                               ;   in Loop: Header=BB18_5 Depth=1
	v_cmp_class_f16_sdwa s[24:25], v1, s74 src0_sel:WORD_1 src1_sel:DWORD
	v_mov_b32_e32 v4, 0
	s_and_saveexec_b64 s[22:23], s[24:25]
	s_cbranch_execz .LBB18_60
; %bb.13:                               ;   in Loop: Header=BB18_5 Depth=1
	;; [unrolled: 18-line block ×13, first 2 shown]
	v_add_u32_e32 v3, s13, v3
	v_ashrrev_i32_e32 v4, 31, v3
	v_lshlrev_b64 v[3:4], 2, v[3:4]
	v_mov_b32_e32 v1, s73
	v_add_co_u32_e32 v3, vcc, s72, v3
	v_addc_co_u32_e32 v4, vcc, v1, v4, vcc
	global_load_dword v1, v[3:4], off
	v_mov_b32_e32 v4, 0
	s_waitcnt vmcnt(0)
	v_cmp_class_f16_e64 s[76:77], v1, s74
	s_and_saveexec_b64 s[70:71], s[76:77]
; %bb.36:                               ;   in Loop: Header=BB18_5 Depth=1
	v_cmp_class_f16_sdwa s[76:77], v1, s74 src0_sel:WORD_1 src1_sel:DWORD
	v_cndmask_b32_e64 v4, 0, 1, s[76:77]
; %bb.37:                               ;   in Loop: Header=BB18_5 Depth=1
	s_or_b64 exec, exec, s[70:71]
.LBB18_38:                              ;   in Loop: Header=BB18_5 Depth=1
	s_or_b64 exec, exec, s[68:69]
.LBB18_39:                              ;   in Loop: Header=BB18_5 Depth=1
	s_or_b64 exec, exec, s[66:67]
.LBB18_40:                              ;   in Loop: Header=BB18_5 Depth=1
	s_or_b64 exec, exec, s[64:65]
.LBB18_41:                              ;   in Loop: Header=BB18_5 Depth=1
	s_or_b64 exec, exec, s[62:63]
.LBB18_42:                              ;   in Loop: Header=BB18_5 Depth=1
	s_or_b64 exec, exec, s[60:61]
.LBB18_43:                              ;   in Loop: Header=BB18_5 Depth=1
	s_or_b64 exec, exec, s[58:59]
.LBB18_44:                              ;   in Loop: Header=BB18_5 Depth=1
	s_or_b64 exec, exec, s[56:57]
.LBB18_45:                              ;   in Loop: Header=BB18_5 Depth=1
	s_or_b64 exec, exec, s[54:55]
.LBB18_46:                              ;   in Loop: Header=BB18_5 Depth=1
	s_or_b64 exec, exec, s[52:53]
.LBB18_47:                              ;   in Loop: Header=BB18_5 Depth=1
	s_or_b64 exec, exec, s[50:51]
.LBB18_48:                              ;   in Loop: Header=BB18_5 Depth=1
	s_or_b64 exec, exec, s[48:49]
.LBB18_49:                              ;   in Loop: Header=BB18_5 Depth=1
	s_or_b64 exec, exec, s[46:47]
.LBB18_50:                              ;   in Loop: Header=BB18_5 Depth=1
	s_or_b64 exec, exec, s[44:45]
.LBB18_51:                              ;   in Loop: Header=BB18_5 Depth=1
	s_or_b64 exec, exec, s[42:43]
.LBB18_52:                              ;   in Loop: Header=BB18_5 Depth=1
	s_or_b64 exec, exec, s[40:41]
.LBB18_53:                              ;   in Loop: Header=BB18_5 Depth=1
	s_or_b64 exec, exec, s[38:39]
.LBB18_54:                              ;   in Loop: Header=BB18_5 Depth=1
	s_or_b64 exec, exec, s[36:37]
.LBB18_55:                              ;   in Loop: Header=BB18_5 Depth=1
	s_or_b64 exec, exec, s[34:35]
.LBB18_56:                              ;   in Loop: Header=BB18_5 Depth=1
	s_or_b64 exec, exec, s[30:31]
.LBB18_57:                              ;   in Loop: Header=BB18_5 Depth=1
	s_or_b64 exec, exec, s[28:29]
.LBB18_58:                              ;   in Loop: Header=BB18_5 Depth=1
	s_or_b64 exec, exec, s[26:27]
.LBB18_59:                              ;   in Loop: Header=BB18_5 Depth=1
	s_or_b64 exec, exec, s[24:25]
.LBB18_60:                              ;   in Loop: Header=BB18_5 Depth=1
	s_or_b64 exec, exec, s[22:23]
.LBB18_61:                              ;   in Loop: Header=BB18_5 Depth=1
	s_or_b64 exec, exec, s[20:21]
.LBB18_62:                              ;   in Loop: Header=BB18_5 Depth=1
	s_or_b64 exec, exec, s[18:19]
.LBB18_63:                              ;   in Loop: Header=BB18_5 Depth=1
	s_or_b64 exec, exec, s[16:17]
.LBB18_64:                              ;   in Loop: Header=BB18_5 Depth=1
	s_or_b64 exec, exec, s[14:15]
.LBB18_65:                              ;   in Loop: Header=BB18_5 Depth=1
	s_or_b64 exec, exec, s[8:9]
.LBB18_66:                              ;   in Loop: Header=BB18_5 Depth=1
	s_or_b64 exec, exec, s[2:3]
	v_and_b32_e32 v1, 0x60, v7
	v_add_u32_e32 v9, 32, v1
	v_xor_b32_e32 v1, 16, v7
	v_cmp_lt_i32_e32 vcc, v1, v9
	v_cndmask_b32_e32 v1, v7, v1, vcc
	v_lshlrev_b32_e32 v1, 2, v1
	ds_bpermute_b32 v3, v1, v4
	v_cmp_ne_u32_e32 vcc, 0, v4
	v_xor_b32_e32 v11, 1, v7
	s_waitcnt lgkmcnt(0)
	v_cmp_ne_u32_e64 s[2:3], 0, v3
	v_xor_b32_e32 v3, 8, v7
	s_and_b64 s[2:3], vcc, s[2:3]
	v_cmp_lt_i32_e32 vcc, v3, v9
	v_cndmask_b32_e32 v3, v7, v3, vcc
	v_cndmask_b32_e64 v4, 0, 1, s[2:3]
	v_lshlrev_b32_e32 v3, 2, v3
	ds_bpermute_b32 v4, v3, v4
	s_waitcnt lgkmcnt(0)
	v_cmp_ne_u32_e32 vcc, 0, v4
	v_xor_b32_e32 v4, 4, v7
	s_and_b64 s[2:3], vcc, s[2:3]
	v_cmp_lt_i32_e32 vcc, v4, v9
	v_cndmask_b32_e32 v4, v7, v4, vcc
	v_cndmask_b32_e64 v8, 0, 1, s[2:3]
	v_lshlrev_b32_e32 v4, 2, v4
	ds_bpermute_b32 v8, v4, v8
	s_waitcnt lgkmcnt(0)
	v_cmp_ne_u32_e32 vcc, 0, v8
	;; [unrolled: 9-line block ×3, first 2 shown]
	s_and_b64 s[2:3], vcc, s[2:3]
	v_cmp_lt_i32_e32 vcc, v11, v9
	v_cndmask_b32_e32 v9, v7, v11, vcc
	v_cndmask_b32_e64 v10, 0, 1, s[2:3]
	v_lshlrev_b32_e32 v9, 2, v9
	ds_bpermute_b32 v10, v9, v10
	s_and_saveexec_b64 s[8:9], s[0:1]
	s_cbranch_execz .LBB18_3
; %bb.67:                               ;   in Loop: Header=BB18_5 Depth=1
	s_waitcnt lgkmcnt(0)
	v_cmp_ne_u32_e32 vcc, 0, v10
	s_and_b64 s[2:3], vcc, s[2:3]
	v_cndmask_b32_e64 v10, 0, 1, s[2:3]
	ds_write_b32 v5, v10
	s_branch .LBB18_3
.LBB18_68:
	s_or_b64 exec, exec, s[4:5]
	v_cmp_eq_u32_e32 vcc, 0, v0
	s_and_saveexec_b64 s[0:1], vcc
	s_cbranch_execz .LBB18_70
; %bb.69:
	s_mul_i32 s0, s33, s7
	s_add_i32 s0, s0, s6
	s_ashr_i32 s1, s0, 31
	s_lshl_b64 s[0:1], s[0:1], 2
	s_add_u32 s0, s10, s0
	s_addc_u32 s1, s11, s1
	v_mov_b32_e32 v0, 0
	global_store_dword v0, v1, s[0:1]
.LBB18_70:
	s_endpgm
	.section	.rodata,"a",@progbits
	.p2align	6, 0x0
	.amdhsa_kernel _ZL25flash_attn_mask_to_KV_maxILi16EEvPK7__half2Piiii
		.amdhsa_group_segment_fixed_size 128
		.amdhsa_private_segment_fixed_size 0
		.amdhsa_kernarg_size 288
		.amdhsa_user_sgpr_count 6
		.amdhsa_user_sgpr_private_segment_buffer 1
		.amdhsa_user_sgpr_dispatch_ptr 0
		.amdhsa_user_sgpr_queue_ptr 0
		.amdhsa_user_sgpr_kernarg_segment_ptr 1
		.amdhsa_user_sgpr_dispatch_id 0
		.amdhsa_user_sgpr_flat_scratch_init 0
		.amdhsa_user_sgpr_private_segment_size 0
		.amdhsa_uses_dynamic_stack 0
		.amdhsa_system_sgpr_private_segment_wavefront_offset 0
		.amdhsa_system_sgpr_workgroup_id_x 1
		.amdhsa_system_sgpr_workgroup_id_y 1
		.amdhsa_system_sgpr_workgroup_id_z 0
		.amdhsa_system_sgpr_workgroup_info 0
		.amdhsa_system_vgpr_workitem_id 0
		.amdhsa_next_free_vgpr 12
		.amdhsa_next_free_sgpr 78
		.amdhsa_reserve_vcc 1
		.amdhsa_reserve_flat_scratch 0
		.amdhsa_float_round_mode_32 0
		.amdhsa_float_round_mode_16_64 0
		.amdhsa_float_denorm_mode_32 3
		.amdhsa_float_denorm_mode_16_64 3
		.amdhsa_dx10_clamp 1
		.amdhsa_ieee_mode 1
		.amdhsa_fp16_overflow 0
		.amdhsa_exception_fp_ieee_invalid_op 0
		.amdhsa_exception_fp_denorm_src 0
		.amdhsa_exception_fp_ieee_div_zero 0
		.amdhsa_exception_fp_ieee_overflow 0
		.amdhsa_exception_fp_ieee_underflow 0
		.amdhsa_exception_fp_ieee_inexact 0
		.amdhsa_exception_int_div_zero 0
	.end_amdhsa_kernel
	.section	.text._ZL25flash_attn_mask_to_KV_maxILi16EEvPK7__half2Piiii,"axG",@progbits,_ZL25flash_attn_mask_to_KV_maxILi16EEvPK7__half2Piiii,comdat
.Lfunc_end18:
	.size	_ZL25flash_attn_mask_to_KV_maxILi16EEvPK7__half2Piiii, .Lfunc_end18-_ZL25flash_attn_mask_to_KV_maxILi16EEvPK7__half2Piiii
                                        ; -- End function
	.set _ZL25flash_attn_mask_to_KV_maxILi16EEvPK7__half2Piiii.num_vgpr, 12
	.set _ZL25flash_attn_mask_to_KV_maxILi16EEvPK7__half2Piiii.num_agpr, 0
	.set _ZL25flash_attn_mask_to_KV_maxILi16EEvPK7__half2Piiii.numbered_sgpr, 78
	.set _ZL25flash_attn_mask_to_KV_maxILi16EEvPK7__half2Piiii.num_named_barrier, 0
	.set _ZL25flash_attn_mask_to_KV_maxILi16EEvPK7__half2Piiii.private_seg_size, 0
	.set _ZL25flash_attn_mask_to_KV_maxILi16EEvPK7__half2Piiii.uses_vcc, 1
	.set _ZL25flash_attn_mask_to_KV_maxILi16EEvPK7__half2Piiii.uses_flat_scratch, 0
	.set _ZL25flash_attn_mask_to_KV_maxILi16EEvPK7__half2Piiii.has_dyn_sized_stack, 0
	.set _ZL25flash_attn_mask_to_KV_maxILi16EEvPK7__half2Piiii.has_recursion, 0
	.set _ZL25flash_attn_mask_to_KV_maxILi16EEvPK7__half2Piiii.has_indirect_call, 0
	.section	.AMDGPU.csdata,"",@progbits
; Kernel info:
; codeLenInByte = 2064
; TotalNumSgprs: 82
; NumVgprs: 12
; ScratchSize: 0
; MemoryBound: 0
; FloatMode: 240
; IeeeMode: 1
; LDSByteSize: 128 bytes/workgroup (compile time only)
; SGPRBlocks: 10
; VGPRBlocks: 2
; NumSGPRsForWavesPerEU: 82
; NumVGPRsForWavesPerEU: 12
; Occupancy: 9
; WaveLimiterHint : 0
; COMPUTE_PGM_RSRC2:SCRATCH_EN: 0
; COMPUTE_PGM_RSRC2:USER_SGPR: 6
; COMPUTE_PGM_RSRC2:TRAP_HANDLER: 0
; COMPUTE_PGM_RSRC2:TGID_X_EN: 1
; COMPUTE_PGM_RSRC2:TGID_Y_EN: 1
; COMPUTE_PGM_RSRC2:TGID_Z_EN: 0
; COMPUTE_PGM_RSRC2:TIDIG_COMP_CNT: 0
	.section	.text._ZL33flash_attn_stream_k_fixup_uniformILi112ELi16ELi4EEvPfPK15HIP_vector_typeIfLj2EEiiiiiiS1_IjLj3EES5_S5_,"axG",@progbits,_ZL33flash_attn_stream_k_fixup_uniformILi112ELi16ELi4EEvPfPK15HIP_vector_typeIfLj2EEiiiiiiS1_IjLj3EES5_S5_,comdat
	.globl	_ZL33flash_attn_stream_k_fixup_uniformILi112ELi16ELi4EEvPfPK15HIP_vector_typeIfLj2EEiiiiiiS1_IjLj3EES5_S5_ ; -- Begin function _ZL33flash_attn_stream_k_fixup_uniformILi112ELi16ELi4EEvPfPK15HIP_vector_typeIfLj2EEiiiiiiS1_IjLj3EES5_S5_
	.p2align	8
	.type	_ZL33flash_attn_stream_k_fixup_uniformILi112ELi16ELi4EEvPfPK15HIP_vector_typeIfLj2EEiiiiiiS1_IjLj3EES5_S5_,@function
_ZL33flash_attn_stream_k_fixup_uniformILi112ELi16ELi4EEvPfPK15HIP_vector_typeIfLj2EEiiiiiiS1_IjLj3EES5_S5_: ; @_ZL33flash_attn_stream_k_fixup_uniformILi112ELi16ELi4EEvPfPK15HIP_vector_typeIfLj2EEiiiiiiS1_IjLj3EES5_S5_
; %bb.0:
	s_load_dwordx8 s[12:19], s[4:5], 0x1c
	s_load_dwordx2 s[10:11], s[4:5], 0x10
	s_load_dwordx4 s[0:3], s[4:5], 0x3c
	s_waitcnt lgkmcnt(0)
	s_mul_hi_u32 s9, s15, s6
	s_add_i32 s9, s6, s9
	s_lshr_b32 s9, s9, s16
	s_mul_i32 s15, s9, s17
	s_sub_i32 s16, s6, s15
	s_mul_hi_u32 s15, s16, s18
	s_add_i32 s15, s16, s15
	s_lshr_b32 s15, s15, s19
	s_mul_i32 s0, s15, s0
	s_sub_i32 s0, s16, s0
	;; [unrolled: 5-line block ×3, first 2 shown]
	s_lshl_b32 s0, s16, 4
	s_lshl_b32 s17, s1, 2
	s_add_i32 s0, s0, s7
	s_cmp_lt_i32 s0, s10
	s_cselect_b64 s[0:1], -1, 0
	s_add_i32 s17, s17, s8
	s_cmp_lt_i32 s17, s13
	s_cselect_b64 s[2:3], -1, 0
	s_and_b64 s[0:1], s[0:1], s[2:3]
	s_andn2_b64 vcc, exec, s[0:1]
	s_cbranch_vccnz .LBB19_6
; %bb.1:
	s_load_dwordx4 s[0:3], s[4:5], 0x0
	s_mul_i32 s4, s9, s10
	s_mul_i32 s15, s15, s13
	s_add_i32 s4, s4, s7
	s_mul_i32 s4, s4, s11
	s_add_i32 s9, s17, s15
	;; [unrolled: 2-line block ×3, first 2 shown]
	s_mulk_i32 s5, 0x700
	s_mulk_i32 s4, 0x70
	s_add_i32 s4, s4, s5
	v_add_u32_e32 v1, s4, v0
	v_ashrrev_i32_e32 v2, 31, v1
	v_lshlrev_b64 v[1:2], 2, v[1:2]
	s_waitcnt lgkmcnt(0)
	v_mov_b32_e32 v3, s1
	v_add_co_u32_e32 v1, vcc, s0, v1
	v_addc_co_u32_e32 v2, vcc, v3, v2, vcc
	global_load_dword v8, v[1:2], off
	s_mul_i32 s9, s14, s6
	s_lshl_b32 s4, s7, 2
	s_add_i32 s11, s9, s14
	s_add_i32 s0, s4, s8
	s_lshl_b32 s1, s11, 6
	s_add_i32 s0, s0, s1
	s_sub_i32 s0, s0, 64
	s_ashr_i32 s1, s0, 31
	s_lshl_b64 s[0:1], s[0:1], 3
	s_add_u32 s0, s2, s0
	s_addc_u32 s1, s3, s1
	s_load_dword s5, s[0:1], 0x4
	s_add_i32 s10, s11, -2
	s_cmp_lt_i32 s10, s9
	s_cbranch_scc1 .LBB19_4
; %bb.2:
	s_lshl_b32 s16, s12, 8
	s_ashr_i32 s17, s16, 31
	s_lshl_b64 s[16:17], s[16:17], 2
	s_add_u32 s10, s2, s16
	s_addc_u32 s13, s3, s17
	s_add_i32 s6, s6, 1
	s_load_dword s0, s[0:1], 0x0
	s_mul_i32 s1, s14, s6
	s_lshl_b32 s6, s1, 6
	s_add_i32 s6, s8, s6
	s_lshl_b32 s12, s12, 6
	s_add_i32 s6, s6, s12
	s_add_i32 s4, s6, s4
	s_mulk_i32 s7, 0x1c0
	s_mul_i32 s6, s8, 0x70
	s_mulk_i32 s1, 0x1c00
	s_add_i32 s6, s6, s7
	s_add_i32 s6, s6, s1
	v_add_u32_e32 v0, s6, v0
	s_add_i32 s11, s11, -1
	s_addk_i32 s4, 0xff80
	v_add_u32_e32 v3, 0xffffc800, v0
	s_waitcnt lgkmcnt(0)
	v_mov_b32_e32 v7, s5
	v_mov_b32_e32 v6, s0
	;; [unrolled: 1-line block ×3, first 2 shown]
	s_mov_b32 s6, 0x3fb8aa3b
	s_mov_b32 s7, 0xc2ce8ed0
	;; [unrolled: 1-line block ×3, first 2 shown]
	v_mov_b32_e32 v5, 0x7f800000
	s_mov_b32 s12, 0xc1a00000
.LBB19_3:                               ; =>This Inner Loop Header: Depth=1
	v_ashrrev_i32_e32 v4, 31, v3
	v_lshlrev_b64 v[9:10], 2, v[3:4]
	s_ashr_i32 s5, s4, 31
	v_add_co_u32_e32 v9, vcc, s10, v9
	v_addc_co_u32_e32 v10, vcc, v0, v10, vcc
	global_load_dword v4, v[9:10], off
	s_lshl_b64 s[0:1], s[4:5], 3
	s_add_u32 s0, s2, s0
	s_addc_u32 s1, s3, s1
	s_load_dwordx2 s[14:15], s[0:1], 0x0
	s_waitcnt vmcnt(1)
	v_mov_b32_e32 v9, v8
	v_max_f32_e32 v8, v6, v6
	v_mov_b32_e32 v10, v7
	s_add_i32 s11, s11, -1
	s_waitcnt lgkmcnt(0)
	v_max_f32_e64 v7, s14, s14
	v_max_f32_e32 v7, v8, v7
	v_sub_f32_e32 v11, s14, v7
	v_sub_f32_e32 v8, v6, v7
	v_mul_f32_e32 v12, 0x3fb8aa3b, v11
	v_mov_b32_e32 v6, v7
	v_mul_f32_e32 v7, 0x3fb8aa3b, v8
	v_fma_f32 v15, v11, s6, -v12
	v_rndne_f32_e32 v16, v12
	v_fma_f32 v13, v8, s6, -v7
	v_rndne_f32_e32 v14, v7
	v_fmac_f32_e32 v15, 0x32a5705f, v11
	v_sub_f32_e32 v12, v12, v16
	v_fmac_f32_e32 v13, 0x32a5705f, v8
	v_sub_f32_e32 v7, v7, v14
	v_add_f32_e32 v12, v12, v15
	v_cvt_i32_f32_e32 v16, v16
	v_add_f32_e32 v7, v7, v13
	v_exp_f32_e32 v12, v12
	v_cvt_i32_f32_e32 v14, v14
	v_exp_f32_e32 v7, v7
	v_cmp_ngt_f32_e32 vcc, s7, v11
	v_ldexp_f32 v12, v12, v16
	v_cmp_ngt_f32_e64 s[0:1], s7, v8
	v_ldexp_f32 v7, v7, v14
	v_cndmask_b32_e32 v12, 0, v12, vcc
	v_cmp_nlt_f32_e32 vcc, s8, v11
	v_cndmask_b32_e64 v7, 0, v7, s[0:1]
	v_cmp_nlt_f32_e64 s[0:1], s8, v8
	v_cndmask_b32_e32 v12, v5, v12, vcc
	v_cmp_le_f32_e32 vcc, s12, v11
	v_cndmask_b32_e64 v7, v5, v7, s[0:1]
	v_cmp_le_f32_e64 s[0:1], s12, v8
	v_cndmask_b32_e32 v8, 0, v12, vcc
	s_sub_i32 s4, s4, 64
	v_cndmask_b32_e64 v11, 0, v7, s[0:1]
	v_mul_f32_e32 v7, s15, v8
	v_add_u32_e32 v3, 0xffffe400, v3
	s_cmp_le_i32 s11, s9
	v_fmac_f32_e32 v7, v10, v11
	s_waitcnt vmcnt(0)
	v_mul_f32_e32 v8, v4, v8
	v_fmac_f32_e32 v8, v9, v11
	s_cbranch_scc0 .LBB19_3
	s_branch .LBB19_5
.LBB19_4:
	s_waitcnt lgkmcnt(0)
	v_mov_b32_e32 v7, s5
.LBB19_5:
	s_waitcnt vmcnt(0)
	v_div_scale_f32 v0, s[0:1], v7, v7, v8
	v_div_scale_f32 v3, vcc, v8, v7, v8
	v_rcp_f32_e32 v4, v0
	v_fma_f32 v5, -v0, v4, 1.0
	v_fmac_f32_e32 v4, v5, v4
	v_mul_f32_e32 v5, v3, v4
	v_fma_f32 v6, -v0, v5, v3
	v_fmac_f32_e32 v5, v6, v4
	v_fma_f32 v0, -v0, v5, v3
	v_div_fmas_f32 v0, v0, v4, v5
	v_div_fixup_f32 v0, v0, v7, v8
	global_store_dword v[1:2], v0, off
.LBB19_6:
	s_endpgm
	.section	.rodata,"a",@progbits
	.p2align	6, 0x0
	.amdhsa_kernel _ZL33flash_attn_stream_k_fixup_uniformILi112ELi16ELi4EEvPfPK15HIP_vector_typeIfLj2EEiiiiiiS1_IjLj3EES5_S5_
		.amdhsa_group_segment_fixed_size 0
		.amdhsa_private_segment_fixed_size 0
		.amdhsa_kernarg_size 76
		.amdhsa_user_sgpr_count 6
		.amdhsa_user_sgpr_private_segment_buffer 1
		.amdhsa_user_sgpr_dispatch_ptr 0
		.amdhsa_user_sgpr_queue_ptr 0
		.amdhsa_user_sgpr_kernarg_segment_ptr 1
		.amdhsa_user_sgpr_dispatch_id 0
		.amdhsa_user_sgpr_flat_scratch_init 0
		.amdhsa_user_sgpr_private_segment_size 0
		.amdhsa_uses_dynamic_stack 0
		.amdhsa_system_sgpr_private_segment_wavefront_offset 0
		.amdhsa_system_sgpr_workgroup_id_x 1
		.amdhsa_system_sgpr_workgroup_id_y 1
		.amdhsa_system_sgpr_workgroup_id_z 1
		.amdhsa_system_sgpr_workgroup_info 0
		.amdhsa_system_vgpr_workitem_id 0
		.amdhsa_next_free_vgpr 17
		.amdhsa_next_free_sgpr 20
		.amdhsa_reserve_vcc 1
		.amdhsa_reserve_flat_scratch 0
		.amdhsa_float_round_mode_32 0
		.amdhsa_float_round_mode_16_64 0
		.amdhsa_float_denorm_mode_32 3
		.amdhsa_float_denorm_mode_16_64 3
		.amdhsa_dx10_clamp 1
		.amdhsa_ieee_mode 1
		.amdhsa_fp16_overflow 0
		.amdhsa_exception_fp_ieee_invalid_op 0
		.amdhsa_exception_fp_denorm_src 0
		.amdhsa_exception_fp_ieee_div_zero 0
		.amdhsa_exception_fp_ieee_overflow 0
		.amdhsa_exception_fp_ieee_underflow 0
		.amdhsa_exception_fp_ieee_inexact 0
		.amdhsa_exception_int_div_zero 0
	.end_amdhsa_kernel
	.section	.text._ZL33flash_attn_stream_k_fixup_uniformILi112ELi16ELi4EEvPfPK15HIP_vector_typeIfLj2EEiiiiiiS1_IjLj3EES5_S5_,"axG",@progbits,_ZL33flash_attn_stream_k_fixup_uniformILi112ELi16ELi4EEvPfPK15HIP_vector_typeIfLj2EEiiiiiiS1_IjLj3EES5_S5_,comdat
.Lfunc_end19:
	.size	_ZL33flash_attn_stream_k_fixup_uniformILi112ELi16ELi4EEvPfPK15HIP_vector_typeIfLj2EEiiiiiiS1_IjLj3EES5_S5_, .Lfunc_end19-_ZL33flash_attn_stream_k_fixup_uniformILi112ELi16ELi4EEvPfPK15HIP_vector_typeIfLj2EEiiiiiiS1_IjLj3EES5_S5_
                                        ; -- End function
	.set _ZL33flash_attn_stream_k_fixup_uniformILi112ELi16ELi4EEvPfPK15HIP_vector_typeIfLj2EEiiiiiiS1_IjLj3EES5_S5_.num_vgpr, 17
	.set _ZL33flash_attn_stream_k_fixup_uniformILi112ELi16ELi4EEvPfPK15HIP_vector_typeIfLj2EEiiiiiiS1_IjLj3EES5_S5_.num_agpr, 0
	.set _ZL33flash_attn_stream_k_fixup_uniformILi112ELi16ELi4EEvPfPK15HIP_vector_typeIfLj2EEiiiiiiS1_IjLj3EES5_S5_.numbered_sgpr, 20
	.set _ZL33flash_attn_stream_k_fixup_uniformILi112ELi16ELi4EEvPfPK15HIP_vector_typeIfLj2EEiiiiiiS1_IjLj3EES5_S5_.num_named_barrier, 0
	.set _ZL33flash_attn_stream_k_fixup_uniformILi112ELi16ELi4EEvPfPK15HIP_vector_typeIfLj2EEiiiiiiS1_IjLj3EES5_S5_.private_seg_size, 0
	.set _ZL33flash_attn_stream_k_fixup_uniformILi112ELi16ELi4EEvPfPK15HIP_vector_typeIfLj2EEiiiiiiS1_IjLj3EES5_S5_.uses_vcc, 1
	.set _ZL33flash_attn_stream_k_fixup_uniformILi112ELi16ELi4EEvPfPK15HIP_vector_typeIfLj2EEiiiiiiS1_IjLj3EES5_S5_.uses_flat_scratch, 0
	.set _ZL33flash_attn_stream_k_fixup_uniformILi112ELi16ELi4EEvPfPK15HIP_vector_typeIfLj2EEiiiiiiS1_IjLj3EES5_S5_.has_dyn_sized_stack, 0
	.set _ZL33flash_attn_stream_k_fixup_uniformILi112ELi16ELi4EEvPfPK15HIP_vector_typeIfLj2EEiiiiiiS1_IjLj3EES5_S5_.has_recursion, 0
	.set _ZL33flash_attn_stream_k_fixup_uniformILi112ELi16ELi4EEvPfPK15HIP_vector_typeIfLj2EEiiiiiiS1_IjLj3EES5_S5_.has_indirect_call, 0
	.section	.AMDGPU.csdata,"",@progbits
; Kernel info:
; codeLenInByte = 856
; TotalNumSgprs: 24
; NumVgprs: 17
; ScratchSize: 0
; MemoryBound: 0
; FloatMode: 240
; IeeeMode: 1
; LDSByteSize: 0 bytes/workgroup (compile time only)
; SGPRBlocks: 2
; VGPRBlocks: 4
; NumSGPRsForWavesPerEU: 24
; NumVGPRsForWavesPerEU: 17
; Occupancy: 10
; WaveLimiterHint : 0
; COMPUTE_PGM_RSRC2:SCRATCH_EN: 0
; COMPUTE_PGM_RSRC2:USER_SGPR: 6
; COMPUTE_PGM_RSRC2:TRAP_HANDLER: 0
; COMPUTE_PGM_RSRC2:TGID_X_EN: 1
; COMPUTE_PGM_RSRC2:TGID_Y_EN: 1
; COMPUTE_PGM_RSRC2:TGID_Z_EN: 1
; COMPUTE_PGM_RSRC2:TIDIG_COMP_CNT: 0
	.section	.text._ZL33flash_attn_stream_k_fixup_generalILi112ELi16ELi4EEvPfPK15HIP_vector_typeIfLj2EEiiiiS1_IjLj3EES5_S5_S5_,"axG",@progbits,_ZL33flash_attn_stream_k_fixup_generalILi112ELi16ELi4EEvPfPK15HIP_vector_typeIfLj2EEiiiiS1_IjLj3EES5_S5_S5_,comdat
	.globl	_ZL33flash_attn_stream_k_fixup_generalILi112ELi16ELi4EEvPfPK15HIP_vector_typeIfLj2EEiiiiS1_IjLj3EES5_S5_S5_ ; -- Begin function _ZL33flash_attn_stream_k_fixup_generalILi112ELi16ELi4EEvPfPK15HIP_vector_typeIfLj2EEiiiiS1_IjLj3EES5_S5_S5_
	.p2align	8
	.type	_ZL33flash_attn_stream_k_fixup_generalILi112ELi16ELi4EEvPfPK15HIP_vector_typeIfLj2EEiiiiS1_IjLj3EES5_S5_S5_,@function
_ZL33flash_attn_stream_k_fixup_generalILi112ELi16ELi4EEvPfPK15HIP_vector_typeIfLj2EEiiiiS1_IjLj3EES5_S5_S5_: ; @_ZL33flash_attn_stream_k_fixup_generalILi112ELi16ELi4EEvPfPK15HIP_vector_typeIfLj2EEiiiiS1_IjLj3EES5_S5_S5_
; %bb.0:
	s_load_dwordx4 s[0:3], s[4:5], 0x10
	s_load_dword s22, s[4:5], 0x50
	s_mov_b32 s12, 0
	s_waitcnt lgkmcnt(0)
	s_mul_hi_i32 s13, s3, s6
	s_cmp_lg_u64 s[12:13], 0
	s_mul_i32 s9, s3, s6
	s_cbranch_scc0 .LBB20_20
; %bb.1:
	s_add_u32 s10, s22, 0
	s_addc_u32 s11, 0, 0
	s_xor_b64 s[10:11], s[10:11], 0
	v_cvt_f32_u32_e32 v1, s10
	v_cvt_f32_u32_e32 v2, s11
	s_sub_u32 s12, 0, s10
	s_subb_u32 s18, 0, s11
	v_madmk_f32 v1, v2, 0x4f800000, v1
	v_rcp_f32_e32 v1, v1
	v_mul_f32_e32 v1, 0x5f7ffffc, v1
	v_mul_f32_e32 v2, 0x2f800000, v1
	v_trunc_f32_e32 v2, v2
	v_madmk_f32 v1, v2, 0xcf800000, v1
	v_cvt_u32_f32_e32 v2, v2
	v_cvt_u32_f32_e32 v1, v1
	v_readfirstlane_b32 s19, v2
	v_readfirstlane_b32 s14, v1
	s_mul_i32 s15, s12, s19
	s_mul_hi_u32 s21, s12, s14
	s_mul_i32 s20, s18, s14
	s_add_i32 s15, s21, s15
	s_add_i32 s15, s15, s20
	s_mul_i32 s23, s12, s14
	s_mul_i32 s21, s14, s15
	s_mul_hi_u32 s24, s14, s23
	s_mul_hi_u32 s20, s14, s15
	s_add_u32 s21, s24, s21
	s_addc_u32 s20, 0, s20
	s_mul_hi_u32 s25, s19, s23
	s_mul_i32 s23, s19, s23
	s_add_u32 s21, s21, s23
	s_mul_hi_u32 s24, s19, s15
	s_addc_u32 s20, s20, s25
	s_addc_u32 s21, s24, 0
	s_mul_i32 s15, s19, s15
	s_add_u32 s15, s20, s15
	s_addc_u32 s20, 0, s21
	s_add_u32 s21, s14, s15
	s_cselect_b64 s[14:15], -1, 0
	s_cmp_lg_u64 s[14:15], 0
	s_addc_u32 s19, s19, s20
	s_mul_i32 s14, s12, s19
	s_mul_hi_u32 s15, s12, s21
	s_add_i32 s14, s15, s14
	s_mul_i32 s18, s18, s21
	s_add_i32 s14, s14, s18
	s_mul_i32 s12, s12, s21
	s_mul_hi_u32 s18, s19, s12
	s_mul_i32 s20, s19, s12
	s_mul_i32 s24, s21, s14
	s_mul_hi_u32 s12, s21, s12
	s_mul_hi_u32 s23, s21, s14
	s_add_u32 s12, s12, s24
	s_addc_u32 s23, 0, s23
	s_add_u32 s12, s12, s20
	s_mul_hi_u32 s15, s19, s14
	s_addc_u32 s12, s23, s18
	s_addc_u32 s15, s15, 0
	s_mul_i32 s14, s19, s14
	s_add_u32 s12, s12, s14
	s_addc_u32 s18, 0, s15
	s_add_u32 s20, s21, s12
	s_cselect_b64 s[14:15], -1, 0
	s_cmp_lg_u64 s[14:15], 0
	s_addc_u32 s18, s19, s18
	s_ashr_i32 s14, s13, 31
	s_add_u32 s12, s9, s14
	s_mov_b32 s15, s14
	s_addc_u32 s13, s13, s14
	s_xor_b64 s[12:13], s[12:13], s[14:15]
	s_mul_i32 s21, s12, s18
	s_mul_hi_u32 s23, s12, s20
	s_mul_hi_u32 s19, s12, s18
	s_add_u32 s21, s23, s21
	s_addc_u32 s19, 0, s19
	s_mul_hi_u32 s24, s13, s20
	s_mul_i32 s20, s13, s20
	s_add_u32 s20, s21, s20
	s_mul_hi_u32 s23, s13, s18
	s_addc_u32 s19, s19, s24
	s_addc_u32 s20, s23, 0
	s_mul_i32 s18, s13, s18
	s_add_u32 s23, s19, s18
	s_addc_u32 s24, 0, s20
	s_mul_i32 s18, s10, s24
	s_mul_hi_u32 s19, s10, s23
	s_add_i32 s18, s19, s18
	s_mul_i32 s19, s11, s23
	s_add_i32 s25, s18, s19
	s_sub_i32 s20, s13, s25
	s_mul_i32 s18, s10, s23
	s_sub_u32 s12, s12, s18
	s_cselect_b64 s[18:19], -1, 0
	s_cmp_lg_u64 s[18:19], 0
	s_subb_u32 s26, s20, s11
	s_sub_u32 s27, s12, s10
	s_cselect_b64 s[20:21], -1, 0
	s_cmp_lg_u64 s[20:21], 0
	s_subb_u32 s20, s26, 0
	s_cmp_ge_u32 s20, s11
	s_cselect_b32 s21, -1, 0
	s_cmp_ge_u32 s27, s10
	s_cselect_b32 s26, -1, 0
	s_cmp_eq_u32 s20, s11
	s_cselect_b32 s20, s26, s21
	s_add_u32 s21, s23, 1
	s_addc_u32 s26, s24, 0
	s_add_u32 s27, s23, 2
	s_addc_u32 s28, s24, 0
	s_cmp_lg_u32 s20, 0
	s_cselect_b32 s20, s27, s21
	s_cselect_b32 s21, s28, s26
	s_cmp_lg_u64 s[18:19], 0
	s_subb_u32 s13, s13, s25
	s_cmp_ge_u32 s13, s11
	s_cselect_b32 s18, -1, 0
	s_cmp_ge_u32 s12, s10
	s_cselect_b32 s10, -1, 0
	s_cmp_eq_u32 s13, s11
	s_cselect_b32 s10, s10, s18
	s_cmp_lg_u32 s10, 0
	s_cselect_b32 s11, s21, s24
	s_cselect_b32 s10, s20, s23
	s_xor_b64 s[12:13], s[14:15], 0
	s_xor_b64 s[10:11], s[10:11], s[12:13]
	s_sub_u32 s10, s10, s12
	s_load_dwordx4 s[12:15], s[4:5], 0x44
	s_cbranch_execnz .LBB20_3
.LBB20_2:
	v_cvt_f32_u32_e32 v1, s22
	s_sub_i32 s10, 0, s22
	v_rcp_iflag_f32_e32 v1, v1
	v_mul_f32_e32 v1, 0x4f7ffffe, v1
	v_cvt_u32_f32_e32 v1, v1
	v_readfirstlane_b32 s11, v1
	s_mul_i32 s10, s10, s11
	s_mul_hi_u32 s10, s11, s10
	s_add_i32 s11, s11, s10
	s_mul_hi_u32 s10, s9, s11
	s_waitcnt lgkmcnt(0)
	s_mul_i32 s15, s10, s22
	s_sub_i32 s9, s9, s15
	s_add_i32 s11, s10, 1
	s_sub_i32 s15, s9, s22
	s_cmp_ge_u32 s9, s22
	s_cselect_b32 s10, s11, s10
	s_cselect_b32 s9, s15, s9
	s_add_i32 s11, s10, 1
	s_cmp_ge_u32 s9, s22
	s_cselect_b32 s10, s11, s10
.LBB20_3:
	s_add_i32 s9, s6, 1
	s_mul_hi_i32 s21, s3, s9
	s_mov_b32 s20, 0
	s_cmp_lg_u64 s[20:21], 0
	s_mul_i32 s9, s3, s9
	s_cbranch_scc0 .LBB20_21
; %bb.4:
	s_add_u32 s16, s22, 0
	s_addc_u32 s17, 0, 0
	s_xor_b64 s[18:19], s[16:17], 0
	v_cvt_f32_u32_e32 v1, s18
	v_cvt_f32_u32_e32 v2, s19
	s_sub_u32 s11, 0, s18
	s_waitcnt lgkmcnt(0)
	s_subb_u32 s15, 0, s19
	v_madmk_f32 v1, v2, 0x4f800000, v1
	v_rcp_f32_e32 v1, v1
	v_mul_f32_e32 v1, 0x5f7ffffc, v1
	v_mul_f32_e32 v2, 0x2f800000, v1
	v_trunc_f32_e32 v2, v2
	v_madmk_f32 v1, v2, 0xcf800000, v1
	v_cvt_u32_f32_e32 v2, v2
	v_cvt_u32_f32_e32 v1, v1
	v_readfirstlane_b32 s20, v2
	v_readfirstlane_b32 s23, v1
	s_mul_i32 s24, s11, s20
	s_mul_hi_u32 s26, s11, s23
	s_mul_i32 s25, s15, s23
	s_add_i32 s24, s26, s24
	s_add_i32 s24, s24, s25
	s_mul_i32 s27, s11, s23
	s_mul_i32 s26, s23, s24
	s_mul_hi_u32 s28, s23, s27
	s_mul_hi_u32 s25, s23, s24
	s_add_u32 s26, s28, s26
	s_addc_u32 s25, 0, s25
	s_mul_hi_u32 s29, s20, s27
	s_mul_i32 s27, s20, s27
	s_add_u32 s26, s26, s27
	s_mul_hi_u32 s28, s20, s24
	s_addc_u32 s25, s25, s29
	s_addc_u32 s26, s28, 0
	s_mul_i32 s24, s20, s24
	s_add_u32 s24, s25, s24
	s_addc_u32 s26, 0, s26
	s_add_u32 s23, s23, s24
	s_cselect_b64 s[24:25], -1, 0
	s_cmp_lg_u64 s[24:25], 0
	s_addc_u32 s20, s20, s26
	s_mul_i32 s24, s11, s20
	s_mul_hi_u32 s25, s11, s23
	s_add_i32 s24, s25, s24
	s_mul_i32 s15, s15, s23
	s_add_i32 s24, s24, s15
	s_mul_i32 s11, s11, s23
	s_mul_hi_u32 s25, s20, s11
	s_mul_i32 s26, s20, s11
	s_mul_i32 s28, s23, s24
	s_mul_hi_u32 s11, s23, s11
	s_mul_hi_u32 s27, s23, s24
	s_add_u32 s11, s11, s28
	s_addc_u32 s27, 0, s27
	s_add_u32 s11, s11, s26
	s_mul_hi_u32 s15, s20, s24
	s_addc_u32 s11, s27, s25
	s_addc_u32 s15, s15, 0
	s_mul_i32 s24, s20, s24
	s_add_u32 s11, s11, s24
	s_addc_u32 s15, 0, s15
	s_add_u32 s11, s23, s11
	s_cselect_b64 s[24:25], -1, 0
	s_cmp_lg_u64 s[24:25], 0
	s_addc_u32 s15, s20, s15
	s_ashr_i32 s24, s21, 31
	s_add_u32 s20, s9, s24
	s_mov_b32 s25, s24
	s_addc_u32 s21, s21, s24
	s_xor_b64 s[20:21], s[20:21], s[24:25]
	s_mul_i32 s26, s20, s15
	s_mul_hi_u32 s27, s20, s11
	s_mul_hi_u32 s23, s20, s15
	s_add_u32 s26, s27, s26
	s_addc_u32 s23, 0, s23
	s_mul_hi_u32 s28, s21, s11
	s_mul_i32 s11, s21, s11
	s_add_u32 s11, s26, s11
	s_mul_hi_u32 s27, s21, s15
	s_addc_u32 s11, s23, s28
	s_addc_u32 s23, s27, 0
	s_mul_i32 s15, s21, s15
	s_add_u32 s11, s11, s15
	s_addc_u32 s15, 0, s23
	s_mul_i32 s23, s18, s15
	s_mul_hi_u32 s26, s18, s11
	s_add_i32 s23, s26, s23
	s_mul_i32 s26, s19, s11
	s_add_i32 s23, s23, s26
	s_sub_i32 s28, s21, s23
	s_mul_i32 s26, s18, s11
	s_sub_u32 s20, s20, s26
	s_cselect_b64 s[26:27], -1, 0
	s_cmp_lg_u64 s[26:27], 0
	s_subb_u32 s30, s28, s19
	s_sub_u32 s31, s20, s18
	s_cselect_b64 s[28:29], -1, 0
	s_cmp_lg_u64 s[28:29], 0
	s_subb_u32 s28, s30, 0
	s_cmp_ge_u32 s28, s19
	s_cselect_b32 s29, -1, 0
	s_cmp_ge_u32 s31, s18
	s_cselect_b32 s30, -1, 0
	s_cmp_eq_u32 s28, s19
	s_cselect_b32 s28, s30, s29
	s_add_u32 s29, s11, 1
	s_addc_u32 s30, s15, 0
	s_add_u32 s31, s11, 2
	s_addc_u32 s33, s15, 0
	s_cmp_lg_u32 s28, 0
	s_cselect_b32 s28, s31, s29
	s_cselect_b32 s29, s33, s30
	s_cmp_lg_u64 s[26:27], 0
	s_subb_u32 s21, s21, s23
	s_cmp_ge_u32 s21, s19
	s_cselect_b32 s23, -1, 0
	s_cmp_ge_u32 s20, s18
	s_cselect_b32 s18, -1, 0
	s_cmp_eq_u32 s21, s19
	s_cselect_b32 s18, s18, s23
	s_cmp_lg_u32 s18, 0
	s_cselect_b32 s19, s29, s15
	s_cselect_b32 s18, s28, s11
	s_xor_b64 s[20:21], s[24:25], 0
	s_xor_b64 s[18:19], s[18:19], s[20:21]
	s_sub_u32 s18, s18, s20
	s_cbranch_execnz .LBB20_6
.LBB20_5:
	v_cvt_f32_u32_e32 v1, s22
	s_sub_i32 s11, 0, s22
	v_rcp_iflag_f32_e32 v1, v1
	v_mul_f32_e32 v1, 0x4f7ffffe, v1
	v_cvt_u32_f32_e32 v1, v1
	s_waitcnt lgkmcnt(0)
	v_readfirstlane_b32 s15, v1
	s_mul_i32 s11, s11, s15
	s_mul_hi_u32 s11, s15, s11
	s_add_i32 s15, s15, s11
	s_mul_hi_u32 s11, s9, s15
	s_mul_i32 s16, s11, s22
	s_sub_i32 s9, s9, s16
	s_add_i32 s15, s11, 1
	s_sub_i32 s16, s9, s22
	s_cmp_ge_u32 s9, s22
	s_cselect_b32 s11, s15, s11
	s_cselect_b32 s9, s16, s9
	s_add_i32 s15, s11, 1
	s_cmp_ge_u32 s9, s22
	s_cselect_b32 s18, s15, s11
.LBB20_6:
	s_cmp_eq_u32 s10, s18
	s_waitcnt lgkmcnt(0)
	s_mul_hi_u32 s9, s10, s12
	s_cselect_b64 s[16:17], -1, 0
	s_add_i32 s9, s9, s10
	s_lshr_b32 s11, s9, s13
	s_mul_i32 s9, s11, s14
	s_cmp_eq_u32 s9, s10
	s_mul_hi_u32 s9, s18, s12
	s_cselect_b64 s[20:21], -1, 0
	s_add_i32 s9, s9, s18
	s_lshr_b32 s9, s9, s13
	s_cmp_eq_u32 s11, s9
	s_mul_i32 s9, s9, s14
	s_cselect_b64 s[24:25], -1, 0
	s_cmp_lg_u32 s9, s18
	s_cselect_b64 s[18:19], -1, 0
	s_and_b64 s[18:19], s[24:25], s[18:19]
	s_or_b64 s[16:17], s[16:17], s[20:21]
	s_or_b64 s[16:17], s[16:17], s[18:19]
	s_and_b64 vcc, exec, s[16:17]
	s_cbranch_vccnz .LBB20_23
; %bb.7:
	s_load_dwordx8 s[24:31], s[4:5], 0x20
	s_load_dword s15, s[4:5], 0x40
	s_waitcnt lgkmcnt(0)
	s_mul_hi_u32 s9, s10, s24
	s_add_i32 s9, s9, s10
	s_lshr_b32 s9, s9, s25
	s_mul_i32 s16, s9, s26
	s_sub_i32 s16, s10, s16
	s_mul_hi_u32 s17, s16, s27
	s_add_i32 s17, s16, s17
	s_lshr_b32 s23, s17, s28
	s_mul_i32 s17, s23, s29
	s_sub_i32 s16, s16, s17
	;; [unrolled: 5-line block ×3, first 2 shown]
	s_mul_hi_u32 s16, s15, s12
	s_add_i32 s15, s15, s16
	s_lshr_b32 s24, s15, s13
	s_lshl_b32 s15, s24, 4
	s_lshl_b32 s25, s17, 2
	s_add_i32 s15, s15, s7
	s_cmp_lt_i32 s15, s0
	s_cselect_b64 s[16:17], -1, 0
	s_add_i32 s25, s25, s8
	s_cmp_lt_i32 s25, s2
	s_cselect_b64 s[18:19], -1, 0
	s_and_b64 s[16:17], s[16:17], s[18:19]
	s_andn2_b64 vcc, exec, s[16:17]
	s_cbranch_vccnz .LBB20_23
; %bb.8:
	s_load_dwordx4 s[16:19], s[4:5], 0x0
	s_mov_b32 s4, 0
	s_lshl_b32 s15, s7, 2
	s_lshl_b32 s20, s22, 8
	s_mov_b32 s21, s4
	s_add_i32 s15, s15, s8
	s_lshl_b64 s[20:21], s[20:21], 2
	s_waitcnt lgkmcnt(0)
	s_add_u32 s20, s18, s20
	s_mul_i32 s0, s9, s0
	s_addc_u32 s21, s19, s21
	s_mul_i32 s23, s23, s2
	s_add_i32 s0, s0, s7
	s_mul_i32 s2, s1, s24
	s_mul_i32 s0, s0, s1
	s_add_i32 s1, s25, s23
	s_add_i32 s0, s1, s0
	s_mulk_i32 s2, 0x700
	s_mulk_i32 s0, 0x70
	s_add_i32 s2, s2, s0
	v_add_u32_e32 v1, s2, v0
	v_ashrrev_i32_e32 v2, 31, v1
	v_lshlrev_b64 v[1:2], 2, v[1:2]
	v_mov_b32_e32 v3, s17
	v_add_co_u32_e32 v1, vcc, s16, v1
	v_addc_co_u32_e32 v2, vcc, v3, v2, vcc
	global_load_dword v3, v[1:2], off
	v_cvt_f32_u32_e32 v4, s22
	s_lshl_b32 s0, s6, 6
	s_add_i32 s0, s15, s0
	s_ashr_i32 s1, s0, 31
	s_lshl_b64 s[0:1], s[0:1], 3
	v_rcp_iflag_f32_e32 v4, v4
	s_add_u32 s0, s18, s0
	s_addc_u32 s1, s19, s1
	s_load_dwordx2 s[0:1], s[0:1], 0x0
	v_mul_f32_e32 v4, 0x4f7ffffe, v4
	v_cvt_u32_f32_e32 v4, v4
	s_mul_i32 s2, s15, 0x70
	s_add_i32 s24, s6, -1
	v_add_u32_e32 v0, s2, v0
	s_waitcnt lgkmcnt(0)
	v_mov_b32_e32 v6, s1
	v_mov_b32_e32 v7, s0
	s_mov_b32 s2, 0x3fb8aa3b
	s_mov_b32 s16, 0xc2ce8ed0
	;; [unrolled: 1-line block ×4, first 2 shown]
	v_mov_b32_e32 v5, 0x7f800000
	s_mul_hi_i32 s5, s24, s3
	s_cmp_lg_u64 s[4:5], 0
	s_mul_i32 s8, s24, s3
	s_cbranch_scc0 .LBB20_19
.LBB20_9:
	s_add_u32 s0, s22, 0
	s_addc_u32 s1, 0, 0
	s_xor_b64 s[0:1], s[0:1], 0
	v_cvt_f32_u32_e32 v8, s0
	v_cvt_f32_u32_e32 v9, s1
	s_sub_u32 s9, 0, s0
	s_subb_u32 s25, 0, s1
	v_mac_f32_e32 v8, 0x4f800000, v9
	v_rcp_f32_e32 v8, v8
	v_mul_f32_e32 v8, 0x5f7ffffc, v8
	v_mul_f32_e32 v9, 0x2f800000, v8
	v_trunc_f32_e32 v9, v9
	v_mac_f32_e32 v8, 0xcf800000, v9
	v_cvt_u32_f32_e32 v9, v9
	v_cvt_u32_f32_e32 v8, v8
	v_readfirstlane_b32 s26, v9
	v_readfirstlane_b32 s6, v8
	s_mul_i32 s7, s9, s26
	s_mul_hi_u32 s28, s9, s6
	s_mul_i32 s27, s25, s6
	s_add_i32 s7, s28, s7
	s_mul_i32 s29, s9, s6
	s_add_i32 s7, s7, s27
	s_mul_i32 s28, s6, s7
	s_mul_hi_u32 s30, s6, s29
	s_mul_hi_u32 s27, s6, s7
	s_add_u32 s28, s30, s28
	s_addc_u32 s27, 0, s27
	s_mul_hi_u32 s31, s26, s29
	s_mul_i32 s29, s26, s29
	s_add_u32 s28, s28, s29
	s_mul_hi_u32 s30, s26, s7
	s_addc_u32 s27, s27, s31
	s_addc_u32 s28, s30, 0
	s_mul_i32 s7, s26, s7
	s_add_u32 s7, s27, s7
	s_addc_u32 s27, 0, s28
	s_add_u32 s28, s6, s7
	s_cselect_b64 s[6:7], -1, 0
	s_cmp_lg_u64 s[6:7], 0
	s_addc_u32 s26, s26, s27
	s_mul_i32 s6, s9, s26
	s_mul_hi_u32 s7, s9, s28
	s_add_i32 s6, s7, s6
	s_mul_i32 s25, s25, s28
	s_add_i32 s6, s6, s25
	s_mul_i32 s9, s9, s28
	s_mul_hi_u32 s25, s26, s9
	s_mul_i32 s27, s26, s9
	s_mul_i32 s30, s28, s6
	s_mul_hi_u32 s9, s28, s9
	s_mul_hi_u32 s29, s28, s6
	s_add_u32 s9, s9, s30
	s_addc_u32 s29, 0, s29
	s_add_u32 s9, s9, s27
	s_mul_hi_u32 s7, s26, s6
	s_addc_u32 s9, s29, s25
	s_addc_u32 s7, s7, 0
	s_mul_i32 s6, s26, s6
	s_add_u32 s6, s9, s6
	s_addc_u32 s9, 0, s7
	s_add_u32 s25, s28, s6
	s_cselect_b64 s[6:7], -1, 0
	s_cmp_lg_u64 s[6:7], 0
	s_addc_u32 s9, s26, s9
	s_ashr_i32 s6, s5, 31
	s_add_u32 s26, s8, s6
	s_mov_b32 s7, s6
	s_addc_u32 s27, s5, s6
	s_xor_b64 s[26:27], s[26:27], s[6:7]
	s_mul_i32 s28, s26, s9
	s_mul_hi_u32 s29, s26, s25
	s_mul_hi_u32 s5, s26, s9
	s_add_u32 s28, s29, s28
	s_addc_u32 s5, 0, s5
	s_mul_hi_u32 s30, s27, s25
	s_mul_i32 s25, s27, s25
	s_add_u32 s25, s28, s25
	s_mul_hi_u32 s29, s27, s9
	s_addc_u32 s5, s5, s30
	s_addc_u32 s25, s29, 0
	s_mul_i32 s9, s27, s9
	s_add_u32 s5, s5, s9
	s_addc_u32 s9, 0, s25
	s_mul_i32 s25, s0, s9
	s_mul_hi_u32 s28, s0, s5
	s_add_i32 s25, s28, s25
	s_mul_i32 s28, s1, s5
	s_add_i32 s25, s25, s28
	s_sub_i32 s30, s27, s25
	s_mul_i32 s28, s0, s5
	s_sub_u32 s26, s26, s28
	s_cselect_b64 s[28:29], -1, 0
	s_cmp_lg_u64 s[28:29], 0
	s_subb_u32 s33, s30, s1
	s_sub_u32 s34, s26, s0
	s_cselect_b64 s[30:31], -1, 0
	s_cmp_lg_u64 s[30:31], 0
	s_subb_u32 s30, s33, 0
	s_cmp_ge_u32 s30, s1
	s_cselect_b32 s31, -1, 0
	s_cmp_ge_u32 s34, s0
	s_cselect_b32 s33, -1, 0
	s_cmp_eq_u32 s30, s1
	s_cselect_b32 s30, s33, s31
	s_add_u32 s31, s5, 1
	s_addc_u32 s33, s9, 0
	s_add_u32 s34, s5, 2
	s_addc_u32 s35, s9, 0
	s_cmp_lg_u32 s30, 0
	s_cselect_b32 s30, s34, s31
	s_cselect_b32 s31, s35, s33
	s_cmp_lg_u64 s[28:29], 0
	s_subb_u32 s25, s27, s25
	s_cmp_ge_u32 s25, s1
	s_cselect_b32 s27, -1, 0
	s_cmp_ge_u32 s26, s0
	s_cselect_b32 s0, -1, 0
	s_cmp_eq_u32 s25, s1
	s_cselect_b32 s0, s0, s27
	s_cmp_lg_u32 s0, 0
	s_cselect_b32 s1, s31, s9
	s_cselect_b32 s0, s30, s5
	s_xor_b64 s[6:7], s[6:7], 0
	s_xor_b64 s[0:1], s[0:1], s[6:7]
	s_sub_u32 s6, s0, s6
	s_cbranch_execnz .LBB20_11
.LBB20_10:
	s_sub_i32 s0, 0, s22
	v_readfirstlane_b32 s1, v4
	s_mul_i32 s0, s0, s1
	s_mul_hi_u32 s0, s1, s0
	s_add_i32 s1, s1, s0
	s_mul_hi_u32 s0, s8, s1
	s_mul_i32 s5, s0, s22
	s_sub_i32 s5, s8, s5
	s_add_i32 s1, s0, 1
	s_sub_i32 s6, s5, s22
	s_cmp_ge_u32 s5, s22
	s_cselect_b32 s0, s1, s0
	s_cselect_b32 s5, s6, s5
	s_add_i32 s1, s0, 1
	s_cmp_ge_u32 s5, s22
	s_cselect_b32 s6, s1, s0
.LBB20_11:
	s_cmp_lg_u32 s10, s6
	s_mov_b64 s[8:9], -1
                                        ; implicit-def: $sgpr0_sgpr1
                                        ; implicit-def: $vgpr10
                                        ; implicit-def: $vgpr8
                                        ; implicit-def: $vgpr9
                                        ; implicit-def: $sgpr5
                                        ; implicit-def: $sgpr7
	s_cbranch_scc1 .LBB20_14
; %bb.12:
	s_andn2_b64 vcc, exec, s[8:9]
	s_cbranch_vccz .LBB20_17
.LBB20_13:
	s_andn2_b64 vcc, exec, s[0:1]
	s_cbranch_vccnz .LBB20_18
	s_branch .LBB20_22
.LBB20_14:
	s_add_i32 s0, s24, s22
	s_lshl_b32 s0, s0, 6
	s_add_i32 s0, s0, s15
	s_mov_b32 s1, s4
	s_lshl_b64 s[0:1], s[0:1], 3
	s_add_u32 s8, s18, s0
	s_mul_hi_u32 s0, s6, s12
	s_addc_u32 s9, s19, s1
	s_add_i32 s0, s0, s6
	s_lshr_b32 s5, s0, s13
	s_mul_i32 s0, s5, s14
	s_cmp_eq_u32 s0, s6
	s_cselect_b64 s[0:1], -1, 0
	s_cmp_lt_u32 s5, s11
	s_cselect_b64 s[26:27], -1, 0
	s_or_b64 s[26:27], s[26:27], s[0:1]
	s_mov_b64 s[0:1], -1
	s_and_b64 vcc, exec, s[26:27]
	s_mov_b32 s5, s24
	s_mov_b32 s7, s10
	s_cbranch_vccnz .LBB20_16
; %bb.15:
	s_add_i32 s5, s24, -1
	s_mov_b64 s[0:1], 0
	s_mov_b32 s7, s6
.LBB20_16:
	s_mul_i32 s6, s24, 0x1c00
	v_add_u32_e32 v8, s6, v0
	v_ashrrev_i32_e32 v9, 31, v8
	v_lshlrev_b64 v[8:9], 2, v[8:9]
	v_mov_b32_e32 v10, s21
	v_add_co_u32_e32 v8, vcc, s20, v8
	v_addc_co_u32_e32 v9, vcc, v10, v9, vcc
	global_load_dword v10, v[8:9], off
	s_load_dwordx2 s[8:9], s[8:9], 0x0
	v_max_f32_e32 v8, v7, v7
	s_waitcnt lgkmcnt(0)
	v_max_f32_e64 v9, s8, s8
	v_max_f32_e32 v8, v8, v9
	v_sub_f32_e32 v9, v7, v8
	v_sub_f32_e32 v11, s8, v8
	v_mul_f32_e32 v12, 0x3fb8aa3b, v9
	v_mul_f32_e32 v13, 0x3fb8aa3b, v11
	v_fma_f32 v14, v9, s2, -v12
	v_rndne_f32_e32 v15, v12
	v_fma_f32 v16, v11, s2, -v13
	v_rndne_f32_e32 v17, v13
	v_fmac_f32_e32 v14, 0x32a5705f, v9
	v_sub_f32_e32 v12, v12, v15
	v_fmac_f32_e32 v16, 0x32a5705f, v11
	v_sub_f32_e32 v13, v13, v17
	v_add_f32_e32 v12, v12, v14
	v_cvt_i32_f32_e32 v15, v15
	v_add_f32_e32 v13, v13, v16
	v_exp_f32_e32 v12, v12
	v_cvt_i32_f32_e32 v17, v17
	v_exp_f32_e32 v13, v13
	v_cmp_ngt_f32_e32 vcc, s16, v9
	v_ldexp_f32 v12, v12, v15
	v_cndmask_b32_e32 v12, 0, v12, vcc
	v_ldexp_f32 v13, v13, v17
	v_cmp_ngt_f32_e32 vcc, s16, v11
	v_cndmask_b32_e32 v13, 0, v13, vcc
	v_cmp_nlt_f32_e32 vcc, s17, v9
	v_cndmask_b32_e32 v12, v5, v12, vcc
	v_cmp_nlt_f32_e32 vcc, s17, v11
	v_cndmask_b32_e32 v13, v5, v13, vcc
	v_cmp_le_f32_e32 vcc, s23, v9
	v_cndmask_b32_e32 v12, 0, v12, vcc
	v_cmp_le_f32_e32 vcc, s23, v11
	v_cndmask_b32_e32 v11, 0, v13, vcc
	v_mul_f32_e32 v9, s9, v11
	v_fmac_f32_e32 v9, v6, v12
	s_waitcnt vmcnt(0)
	v_mul_f32_e32 v10, v10, v11
	v_fmac_f32_e32 v10, v3, v12
	s_cbranch_execnz .LBB20_13
.LBB20_17:
	s_add_i32 s5, s24, -1
	s_mov_b32 s7, s10
	v_mov_b32_e32 v9, v6
	v_mov_b32_e32 v8, v7
	s_waitcnt vmcnt(0)
	v_mov_b32_e32 v10, v3
	s_cbranch_execz .LBB20_22
.LBB20_18:
	s_mov_b32 s10, s7
	s_mov_b32 s24, s5
	v_mov_b32_e32 v6, v9
	v_mov_b32_e32 v7, v8
	s_waitcnt vmcnt(0)
	v_mov_b32_e32 v3, v10
	s_mul_hi_i32 s5, s24, s3
	s_cmp_lg_u64 s[4:5], 0
	s_mul_i32 s8, s24, s3
	s_cbranch_scc1 .LBB20_9
.LBB20_19:
                                        ; implicit-def: $sgpr6_sgpr7
	s_branch .LBB20_10
.LBB20_20:
                                        ; implicit-def: $sgpr10_sgpr11
	s_load_dwordx4 s[12:15], s[4:5], 0x44
	s_branch .LBB20_2
.LBB20_21:
                                        ; implicit-def: $sgpr18_sgpr19
	s_branch .LBB20_5
.LBB20_22:
	v_div_scale_f32 v0, s[0:1], v9, v9, v10
	s_waitcnt vmcnt(0)
	v_div_scale_f32 v3, vcc, v10, v9, v10
	v_rcp_f32_e32 v4, v0
	v_fma_f32 v5, -v0, v4, 1.0
	v_fmac_f32_e32 v4, v5, v4
	v_mul_f32_e32 v5, v3, v4
	v_fma_f32 v6, -v0, v5, v3
	v_fmac_f32_e32 v5, v6, v4
	v_fma_f32 v0, -v0, v5, v3
	v_div_fmas_f32 v0, v0, v4, v5
	v_div_fixup_f32 v0, v0, v9, v10
	global_store_dword v[1:2], v0, off
.LBB20_23:
	s_endpgm
	.section	.rodata,"a",@progbits
	.p2align	6, 0x0
	.amdhsa_kernel _ZL33flash_attn_stream_k_fixup_generalILi112ELi16ELi4EEvPfPK15HIP_vector_typeIfLj2EEiiiiS1_IjLj3EES5_S5_S5_
		.amdhsa_group_segment_fixed_size 0
		.amdhsa_private_segment_fixed_size 0
		.amdhsa_kernarg_size 336
		.amdhsa_user_sgpr_count 6
		.amdhsa_user_sgpr_private_segment_buffer 1
		.amdhsa_user_sgpr_dispatch_ptr 0
		.amdhsa_user_sgpr_queue_ptr 0
		.amdhsa_user_sgpr_kernarg_segment_ptr 1
		.amdhsa_user_sgpr_dispatch_id 0
		.amdhsa_user_sgpr_flat_scratch_init 0
		.amdhsa_user_sgpr_private_segment_size 0
		.amdhsa_uses_dynamic_stack 0
		.amdhsa_system_sgpr_private_segment_wavefront_offset 0
		.amdhsa_system_sgpr_workgroup_id_x 1
		.amdhsa_system_sgpr_workgroup_id_y 1
		.amdhsa_system_sgpr_workgroup_id_z 1
		.amdhsa_system_sgpr_workgroup_info 0
		.amdhsa_system_vgpr_workitem_id 0
		.amdhsa_next_free_vgpr 18
		.amdhsa_next_free_sgpr 36
		.amdhsa_reserve_vcc 1
		.amdhsa_reserve_flat_scratch 0
		.amdhsa_float_round_mode_32 0
		.amdhsa_float_round_mode_16_64 0
		.amdhsa_float_denorm_mode_32 3
		.amdhsa_float_denorm_mode_16_64 3
		.amdhsa_dx10_clamp 1
		.amdhsa_ieee_mode 1
		.amdhsa_fp16_overflow 0
		.amdhsa_exception_fp_ieee_invalid_op 0
		.amdhsa_exception_fp_denorm_src 0
		.amdhsa_exception_fp_ieee_div_zero 0
		.amdhsa_exception_fp_ieee_overflow 0
		.amdhsa_exception_fp_ieee_underflow 0
		.amdhsa_exception_fp_ieee_inexact 0
		.amdhsa_exception_int_div_zero 0
	.end_amdhsa_kernel
	.section	.text._ZL33flash_attn_stream_k_fixup_generalILi112ELi16ELi4EEvPfPK15HIP_vector_typeIfLj2EEiiiiS1_IjLj3EES5_S5_S5_,"axG",@progbits,_ZL33flash_attn_stream_k_fixup_generalILi112ELi16ELi4EEvPfPK15HIP_vector_typeIfLj2EEiiiiS1_IjLj3EES5_S5_S5_,comdat
.Lfunc_end20:
	.size	_ZL33flash_attn_stream_k_fixup_generalILi112ELi16ELi4EEvPfPK15HIP_vector_typeIfLj2EEiiiiS1_IjLj3EES5_S5_S5_, .Lfunc_end20-_ZL33flash_attn_stream_k_fixup_generalILi112ELi16ELi4EEvPfPK15HIP_vector_typeIfLj2EEiiiiS1_IjLj3EES5_S5_S5_
                                        ; -- End function
	.set _ZL33flash_attn_stream_k_fixup_generalILi112ELi16ELi4EEvPfPK15HIP_vector_typeIfLj2EEiiiiS1_IjLj3EES5_S5_S5_.num_vgpr, 18
	.set _ZL33flash_attn_stream_k_fixup_generalILi112ELi16ELi4EEvPfPK15HIP_vector_typeIfLj2EEiiiiS1_IjLj3EES5_S5_S5_.num_agpr, 0
	.set _ZL33flash_attn_stream_k_fixup_generalILi112ELi16ELi4EEvPfPK15HIP_vector_typeIfLj2EEiiiiS1_IjLj3EES5_S5_S5_.numbered_sgpr, 36
	.set _ZL33flash_attn_stream_k_fixup_generalILi112ELi16ELi4EEvPfPK15HIP_vector_typeIfLj2EEiiiiS1_IjLj3EES5_S5_S5_.num_named_barrier, 0
	.set _ZL33flash_attn_stream_k_fixup_generalILi112ELi16ELi4EEvPfPK15HIP_vector_typeIfLj2EEiiiiS1_IjLj3EES5_S5_S5_.private_seg_size, 0
	.set _ZL33flash_attn_stream_k_fixup_generalILi112ELi16ELi4EEvPfPK15HIP_vector_typeIfLj2EEiiiiS1_IjLj3EES5_S5_S5_.uses_vcc, 1
	.set _ZL33flash_attn_stream_k_fixup_generalILi112ELi16ELi4EEvPfPK15HIP_vector_typeIfLj2EEiiiiS1_IjLj3EES5_S5_S5_.uses_flat_scratch, 0
	.set _ZL33flash_attn_stream_k_fixup_generalILi112ELi16ELi4EEvPfPK15HIP_vector_typeIfLj2EEiiiiS1_IjLj3EES5_S5_S5_.has_dyn_sized_stack, 0
	.set _ZL33flash_attn_stream_k_fixup_generalILi112ELi16ELi4EEvPfPK15HIP_vector_typeIfLj2EEiiiiS1_IjLj3EES5_S5_S5_.has_recursion, 0
	.set _ZL33flash_attn_stream_k_fixup_generalILi112ELi16ELi4EEvPfPK15HIP_vector_typeIfLj2EEiiiiS1_IjLj3EES5_S5_S5_.has_indirect_call, 0
	.section	.AMDGPU.csdata,"",@progbits
; Kernel info:
; codeLenInByte = 2944
; TotalNumSgprs: 40
; NumVgprs: 18
; ScratchSize: 0
; MemoryBound: 0
; FloatMode: 240
; IeeeMode: 1
; LDSByteSize: 0 bytes/workgroup (compile time only)
; SGPRBlocks: 4
; VGPRBlocks: 4
; NumSGPRsForWavesPerEU: 40
; NumVGPRsForWavesPerEU: 18
; Occupancy: 10
; WaveLimiterHint : 0
; COMPUTE_PGM_RSRC2:SCRATCH_EN: 0
; COMPUTE_PGM_RSRC2:USER_SGPR: 6
; COMPUTE_PGM_RSRC2:TRAP_HANDLER: 0
; COMPUTE_PGM_RSRC2:TGID_X_EN: 1
; COMPUTE_PGM_RSRC2:TGID_Y_EN: 1
; COMPUTE_PGM_RSRC2:TGID_Z_EN: 1
; COMPUTE_PGM_RSRC2:TIDIG_COMP_CNT: 0
	.section	.text._ZL15flash_attn_tileILi112ELi112ELi8ELi4ELb0EEvPKcS1_S1_S1_S1_PKiPfP15HIP_vector_typeIfLj2EEffffjfiS5_IjLj3EEiiiiiiiiiiiliiliiiiil,"axG",@progbits,_ZL15flash_attn_tileILi112ELi112ELi8ELi4ELb0EEvPKcS1_S1_S1_S1_PKiPfP15HIP_vector_typeIfLj2EEffffjfiS5_IjLj3EEiiiiiiiiiiiliiliiiiil,comdat
	.globl	_ZL15flash_attn_tileILi112ELi112ELi8ELi4ELb0EEvPKcS1_S1_S1_S1_PKiPfP15HIP_vector_typeIfLj2EEffffjfiS5_IjLj3EEiiiiiiiiiiiliiliiiiil ; -- Begin function _ZL15flash_attn_tileILi112ELi112ELi8ELi4ELb0EEvPKcS1_S1_S1_S1_PKiPfP15HIP_vector_typeIfLj2EEffffjfiS5_IjLj3EEiiiiiiiiiiiliiliiiiil
	.p2align	8
	.type	_ZL15flash_attn_tileILi112ELi112ELi8ELi4ELb0EEvPKcS1_S1_S1_S1_PKiPfP15HIP_vector_typeIfLj2EEffffjfiS5_IjLj3EEiiiiiiiiiiiliiliiiiil,@function
_ZL15flash_attn_tileILi112ELi112ELi8ELi4ELb0EEvPKcS1_S1_S1_S1_PKiPfP15HIP_vector_typeIfLj2EEffffjfiS5_IjLj3EEiiiiiiiiiiiliiliiiiil: ; @_ZL15flash_attn_tileILi112ELi112ELi8ELi4ELb0EEvPKcS1_S1_S1_S1_PKiPfP15HIP_vector_typeIfLj2EEffffjfiS5_IjLj3EEiiiiiiiiiiiliiliiiiil
; %bb.0:
	s_load_dwordx4 s[52:55], s[4:5], 0x5c
	s_load_dwordx2 s[56:57], s[4:5], 0x80
	s_mov_b64 s[66:67], s[2:3]
	s_mov_b64 s[64:65], s[0:1]
	s_add_u32 s64, s64, s9
	s_addc_u32 s65, s65, 0
	s_waitcnt lgkmcnt(0)
	s_ashr_i32 s0, s55, 31
	s_lshr_b32 s0, s0, 30
	s_add_i32 s0, s55, s0
	s_ashr_i32 s0, s0, 2
	v_mov_b32_e32 v20, v0
	v_cvt_f32_u32_e32 v0, s0
	s_sub_i32 s1, 0, s0
	s_load_dwordx16 s[36:51], s[4:5], 0x0
	s_mov_b64 s[58:59], 0
	v_rcp_iflag_f32_e32 v0, v0
	v_mul_f32_e32 v0, 0x4f7ffffe, v0
	v_cvt_u32_f32_e32 v0, v0
	v_readfirstlane_b32 s2, v0
	s_mul_i32 s1, s1, s2
	s_mul_hi_u32 s1, s2, s1
	s_add_i32 s2, s2, s1
	s_mul_hi_u32 s1, s8, s2
	s_mul_i32 s2, s1, s0
	s_sub_i32 s2, s8, s2
	s_add_i32 s3, s1, 1
	s_sub_i32 s9, s2, s0
	s_cmp_ge_u32 s2, s0
	s_cselect_b32 s1, s3, s1
	s_cselect_b32 s2, s9, s2
	s_add_i32 s3, s1, 1
	s_cmp_ge_u32 s2, s0
	s_cselect_b32 s33, s3, s1
	s_abs_i32 s1, s57
	v_cvt_f32_u32_e32 v0, s1
	s_lshl_b32 s0, s8, 2
	s_sub_i32 s8, 0, s1
	s_abs_i32 s3, s55
	v_rcp_iflag_f32_e32 v0, v0
	s_xor_b32 s2, s55, s57
	s_ashr_i32 s2, s2, 31
	v_mul_f32_e32 v0, 0x4f7ffffe, v0
	v_cvt_u32_f32_e32 v0, v0
	v_readfirstlane_b32 s9, v0
	s_mul_i32 s8, s8, s9
	s_mul_hi_u32 s8, s9, s8
	s_add_i32 s9, s9, s8
	s_mul_hi_u32 s8, s3, s9
	s_mul_i32 s9, s8, s1
	s_sub_i32 s3, s3, s9
	s_add_i32 s10, s8, 1
	s_sub_i32 s9, s3, s1
	s_cmp_ge_u32 s3, s1
	s_cselect_b32 s8, s10, s8
	s_cselect_b32 s3, s9, s3
	s_add_i32 s9, s8, 1
	s_cmp_ge_u32 s3, s1
	s_cselect_b32 s1, s9, s8
	s_xor_b32 s1, s1, s2
	s_sub_i32 s15, s1, s2
	s_abs_i32 s14, s15
	v_cvt_f32_u32_e32 v0, s14
	s_load_dwordx2 s[2:3], s[4:5], 0xb8
	s_mul_i32 s1, s33, s55
	s_waitcnt lgkmcnt(0)
	s_cmp_eq_u64 s[42:43], 0
	v_rcp_iflag_f32_e32 v0, v0
	v_mul_f32_e32 v0, 0x4f7ffffe, v0
	v_cvt_u32_f32_e32 v0, v0
	v_readfirstlane_b32 s16, v0
	s_cbranch_scc1 .LBB21_2
; %bb.1:
	s_abs_i32 s2, s2
	v_cvt_f32_u32_e32 v0, s2
	s_sub_i32 s12, 0, s2
	s_abs_i32 s11, s33
	s_ashr_i32 s10, s33, 31
	v_rcp_iflag_f32_e32 v0, v0
	s_load_dwordx2 s[8:9], s[4:5], 0xc8
	v_mul_f32_e32 v0, 0x4f7ffffe, v0
	v_cvt_u32_f32_e32 v0, v0
	v_readfirstlane_b32 s13, v0
	s_mul_i32 s12, s12, s13
	s_mul_hi_u32 s12, s13, s12
	s_add_i32 s13, s13, s12
	s_mul_hi_u32 s12, s11, s13
	s_mul_i32 s12, s12, s2
	s_sub_i32 s11, s11, s12
	s_sub_i32 s12, s11, s2
	s_cmp_ge_u32 s11, s2
	s_cselect_b32 s11, s12, s11
	s_sub_i32 s12, s11, s2
	s_cmp_ge_u32 s11, s2
	s_cselect_b32 s2, s12, s11
	s_xor_b32 s2, s2, s10
	s_sub_i32 s2, s2, s10
	s_ashr_i32 s10, s2, 31
	s_waitcnt lgkmcnt(0)
	s_mul_hi_u32 s11, s8, s2
	s_mul_i32 s10, s8, s10
	s_mul_i32 s9, s9, s2
	s_add_i32 s10, s11, s10
	s_add_i32 s10, s10, s9
	s_mul_i32 s2, s8, s2
	s_add_u32 s58, s42, s2
	s_addc_u32 s59, s43, s10
.LBB21_2:
	v_lshl_add_u32 v2, s6, 3, v1
	v_mul_hi_u32 v0, s52, v2
	s_sub_i32 s42, s0, s1
	v_cmp_gt_u32_e64 s[0:1], 28, v20
	v_lshlrev_b32_e32 v19, 2, v20
	v_add_u32_e32 v0, v2, v0
	v_lshrrev_b32_e32 v0, s53, v0
	v_mul_lo_u32 v0, v0, s54
	buffer_store_dword v2, off, s[64:67], 0 offset:104 ; 4-byte Folded Spill
	v_sub_u32_e32 v2, v2, v0
	v_lshlrev_b32_e32 v0, 3, v20
	buffer_store_dword v0, off, s[64:67], 0 ; 4-byte Folded Spill
	s_and_saveexec_b64 s[12:13], s[0:1]
	s_cbranch_execz .LBB21_4
; %bb.3:
	s_load_dwordx4 s[8:11], s[4:5], 0x70
	s_waitcnt lgkmcnt(0)
	s_mul_i32 s2, s33, s10
	s_ashr_i32 s17, s2, 31
	s_mul_i32 s11, s42, s9
	s_add_u32 s2, s36, s2
	s_addc_u32 s17, s37, s17
	s_ashr_i32 s18, s11, 31
	s_add_u32 s2, s2, s11
	s_mov_b32 s10, s8
	s_addc_u32 s17, s17, s18
	s_ashr_i32 s11, s8, 31
	s_lshr_b64 s[18:19], s[10:11], 2
	v_mad_u64_u32 v[3:4], s[18:19], s18, v2, 0
	s_lshr_b32 s8, s11, 2
	v_mov_b32_e32 v0, v4
	v_mad_u64_u32 v[4:5], s[10:11], s8, v2, v[0:1]
	v_mov_b32_e32 v0, s17
	s_ashr_i32 s11, s9, 31
	v_lshlrev_b64 v[3:4], 2, v[3:4]
	s_mov_b32 s10, s9
	v_add_co_u32_e32 v3, vcc, s2, v3
	v_addc_co_u32_e32 v0, vcc, v0, v4, vcc
	v_lshlrev_b32_e32 v4, 2, v19
	v_add_co_u32_e32 v15, vcc, v3, v4
	v_addc_co_u32_e32 v16, vcc, 0, v0, vcc
	s_and_b32 s2, s9, -4
	s_lshr_b64 s[18:19], s[10:11], 2
	v_mov_b32_e32 v0, s11
	v_add_co_u32_e32 v7, vcc, s2, v15
	v_addc_co_u32_e32 v8, vcc, v16, v0, vcc
	s_lshl_b64 s[8:9], s[18:19], 3
	v_mov_b32_e32 v0, s9
	v_add_co_u32_e32 v11, vcc, s8, v15
	global_load_dwordx4 v[3:6], v[15:16], off
	v_addc_co_u32_e32 v12, vcc, v16, v0, vcc
	v_mad_u64_u32 v[15:16], s[8:9], s18, 12, v[15:16]
	global_load_dwordx4 v[7:10], v[7:8], off
	s_load_dword s2, s[4:5], 0x40
	v_mov_b32_e32 v0, v16
	v_mad_u64_u32 v[16:17], s[8:9], s11, 12, v[0:1]
	global_load_dwordx4 v[11:14], v[11:12], off
	s_movk_i32 s8, 0x380
	global_load_dwordx4 v[15:18], v[15:16], off
	v_lshlrev_b32_e32 v0, 3, v20
	v_mad_u32_u24 v0, v1, s8, v0
	s_waitcnt vmcnt(3) lgkmcnt(0)
	v_fma_mixlo_f16 v3, s2, v3, 0
	v_fma_mixlo_f16 v4, s2, v4, 0
	;; [unrolled: 1-line block ×4, first 2 shown]
	v_lshlrev_b32_e32 v4, 16, v4
	v_and_b32_e32 v3, 0xffff, v3
	v_lshlrev_b32_e32 v6, 16, v6
	v_and_b32_e32 v5, 0xffff, v5
	s_waitcnt vmcnt(2)
	v_fma_mixlo_f16 v7, s2, v7, 0
	v_fma_mixlo_f16 v8, s2, v8, 0
	;; [unrolled: 1-line block ×4, first 2 shown]
	v_or_b32_e32 v3, v4, v3
	v_or3_b32 v4, v6, v5, 0
	v_lshlrev_b32_e32 v5, 16, v8
	v_and_b32_e32 v6, 0xffff, v7
	v_lshlrev_b32_e32 v7, 16, v10
	v_and_b32_e32 v8, 0xffff, v9
	v_or_b32_e32 v5, v5, v6
	v_or3_b32 v3, 0, 0, v3
	v_or3_b32 v6, v7, v8, 0
	;; [unrolled: 1-line block ×3, first 2 shown]
	s_waitcnt vmcnt(1)
	v_fma_mixlo_f16 v11, s2, v11, 0
	v_fma_mixlo_f16 v12, s2, v12, 0
	ds_write2_b64 v0, v[3:4], v[5:6] offset1:28
	s_waitcnt vmcnt(0)
	v_fma_mixlo_f16 v3, s2, v15, 0
	v_fma_mixlo_f16 v4, s2, v16, 0
	;; [unrolled: 1-line block ×4, first 2 shown]
	v_lshlrev_b32_e32 v9, 16, v12
	v_and_b32_e32 v10, 0xffff, v11
	v_fma_mixlo_f16 v5, s2, v17, 0
	v_fma_mixlo_f16 v6, s2, v18, 0
	v_lshlrev_b32_e32 v4, 16, v4
	v_and_b32_e32 v3, 0xffff, v3
	v_lshlrev_b32_e32 v11, 16, v14
	v_and_b32_e32 v12, 0xffff, v13
	v_or_b32_e32 v7, v9, v10
	v_lshlrev_b32_e32 v6, 16, v6
	v_and_b32_e32 v5, 0xffff, v5
	v_or_b32_e32 v3, v4, v3
	v_or3_b32 v8, v11, v12, 0
	v_or3_b32 v7, 0, 0, v7
	;; [unrolled: 1-line block ×4, first 2 shown]
	ds_write2_b64 v0, v[7:8], v[3:4] offset0:56 offset1:84
.LBB21_4:
	s_or_b64 exec, exec, s[12:13]
	s_cmp_eq_u64 s[46:47], 0
	s_waitcnt vmcnt(0) lgkmcnt(0)
	s_barrier
	s_cbranch_scc1 .LBB21_6
; %bb.5:
	s_load_dword s2, s[4:5], 0xd0
	s_mov_b32 s9, 0
	s_waitcnt lgkmcnt(0)
	s_mul_i32 s2, s2, s33
	s_add_i32 s8, s2, s6
	s_lshl_b64 s[8:9], s[8:9], 2
	s_add_u32 s8, s46, s8
	s_addc_u32 s9, s47, s9
	s_load_dword s56, s[8:9], 0x0
.LBB21_6:
	s_lshl_b32 s6, s7, 5
	s_waitcnt lgkmcnt(0)
	s_cmp_lt_i32 s6, s56
	v_mbcnt_lo_u32_b32 v3, -1, 0
	s_cbranch_scc1 .LBB21_8
; %bb.7:
	v_mbcnt_hi_u32_b32 v92, -1, v3
	v_and_b32_e32 v0, 0x60, v92
	v_add_u32_e32 v116, 32, v0
	v_xor_b32_e32 v0, 8, v92
	v_xor_b32_e32 v115, 16, v92
	buffer_store_dword v0, off, s[64:67], 0 offset:12 ; 4-byte Folded Spill
	v_xor_b32_e32 v0, 4, v92
	v_xor_b32_e32 v113, 2, v92
	;; [unrolled: 1-line block ×3, first 2 shown]
	s_mov_b64 s[8:9], 0
	buffer_store_dword v0, off, s[64:67], 0 offset:16 ; 4-byte Folded Spill
	s_branch .LBB21_9
.LBB21_8:
                                        ; implicit-def: $vgpr0
	s_mov_b64 s[8:9], -1
                                        ; implicit-def: $vgpr92
                                        ; implicit-def: $vgpr116
                                        ; implicit-def: $vgpr115
                                        ; kill: killed $vgpr0
                                        ; implicit-def: $vgpr0
                                        ; kill: killed $vgpr0
                                        ; implicit-def: $vgpr113
                                        ; implicit-def: $vgpr114
.LBB21_9:
	s_andn2_b64 vcc, exec, s[8:9]
	buffer_store_dword v19, off, s[64:67], 0 offset:116 ; 4-byte Folded Spill
	s_nop 0
	buffer_store_dword v20, off, s[64:67], 0 offset:120 ; 4-byte Folded Spill
	buffer_store_dword v20, off, s[64:67], 0 offset:108 ; 4-byte Folded Spill
	s_nop 0
	buffer_store_dword v21, off, s[64:67], 0 offset:112 ; 4-byte Folded Spill
	s_cbranch_vccnz .LBB21_37
; %bb.10:
	s_load_dwordx2 s[12:13], s[4:5], 0x8c
	s_load_dwordx4 s[8:11], s[4:5], 0x98
	s_sub_i32 s2, 0, s14
	s_mul_i32 s2, s2, s16
	s_mul_hi_u32 s2, s16, s2
	s_waitcnt lgkmcnt(0)
	s_ashr_i32 s46, s12, 2
	s_ashr_i32 s43, s10, 2
	;; [unrolled: 1-line block ×4, first 2 shown]
	s_mul_hi_u32 s12, s8, s33
	s_mul_i32 s20, s8, s3
	s_add_i32 s12, s12, s20
	s_mul_i32 s9, s9, s33
	s_abs_i32 s18, s42
	s_add_i32 s16, s16, s2
	s_ashr_i32 s19, s42, 31
	s_ashr_i32 s15, s15, 31
	s_add_i32 s12, s12, s9
	s_mul_i32 s8, s8, s33
	s_mul_hi_u32 s2, s18, s16
	s_add_u32 s8, s38, s8
	s_addc_u32 s9, s39, s12
	s_xor_b32 s12, s19, s15
	s_mul_i32 s15, s2, s14
	s_sub_i32 s15, s18, s15
	s_add_i32 s18, s2, 1
	s_sub_i32 s19, s15, s14
	s_cmp_ge_u32 s15, s14
	s_cselect_b32 s2, s18, s2
	s_cselect_b32 s15, s19, s15
	s_add_i32 s18, s2, 1
	s_cmp_ge_u32 s15, s14
	s_load_dwordx2 s[16:17], s[4:5], 0xa8
	s_cselect_b32 s2, s18, s2
	s_xor_b32 s2, s2, s12
	s_sub_i32 s2, s2, s12
	s_mul_i32 s12, s2, s13
	s_ashr_i32 s13, s12, 31
	s_add_u32 s47, s8, s12
	s_waitcnt lgkmcnt(0)
	s_mul_hi_u32 s8, s16, s33
	s_mul_i32 s3, s16, s3
	s_addc_u32 s52, s9, s13
	s_add_i32 s3, s8, s3
	s_mul_i32 s8, s17, s33
	s_add_i32 s3, s3, s8
	s_mul_i32 s8, s16, s33
	s_add_u32 s8, s40, s8
	s_mul_i32 s2, s2, s11
	s_addc_u32 s3, s41, s3
	s_ashr_i32 s9, s2, 31
	s_add_u32 s40, s8, s2
	v_lshrrev_b32_e32 v4, 1, v20
	v_and_b32_e32 v16, 4, v19
	s_addc_u32 s41, s3, s9
	v_lshl_add_u32 v0, v1, 5, v20
	v_lshl_add_u32 v6, v1, 4, v4
	v_lshrrev_b32_e32 v4, 2, v20
	v_lshlrev_b32_e32 v5, 7, v20
	v_lshlrev_b32_e32 v12, 2, v16
	v_and_b32_e32 v17, 12, v19
	v_mad_u64_u32 v[14:15], s[8:9], v2, s10, v[20:21]
	v_cmp_gt_u32_e32 vcc, 32, v0
	v_lshl_add_u32 v7, v1, 3, v4
	v_mul_lo_u32 v4, s46, v0
	v_add_u32_e32 v0, 0x1c60, v5
	v_lshl_or_b32 v9, v6, 7, v12
	v_lshlrev_b32_e32 v13, 2, v17
	buffer_store_dword v0, off, s[64:67], 0 offset:20 ; 4-byte Folded Spill
	v_add_u32_e32 v0, 0x1c40, v9
	v_lshl_or_b32 v11, v7, 7, v13
	buffer_store_dword v0, off, s[64:67], 0 offset:24 ; 4-byte Folded Spill
	v_add_u32_e32 v0, 0x1c00, v11
	v_mov_b32_e32 v2, 0x2c40
	buffer_store_dword v0, off, s[64:67], 0 offset:28 ; 4-byte Folded Spill
	buffer_store_dword v14, off, s[64:67], 0 offset:32 ; 4-byte Folded Spill
	s_nop 0
	buffer_store_dword v15, off, s[64:67], 0 offset:36 ; 4-byte Folded Spill
	v_lshl_add_u32 v99, v1, 8, v2
	v_lshrrev_b32_e32 v2, 3, v20
	v_lshl_add_u32 v15, v1, 2, v2
	v_mul_u32_u24_e32 v2, 0xe0, v6
	v_or_b32_e32 v2, v2, v12
	v_cmp_gt_u32_e64 s[2:3], 32, v6
	v_mul_u32_u24_e32 v94, 0x380, v1
	v_mul_lo_u32 v8, s46, v6
	v_cmp_gt_u32_e64 s[8:9], 16, v6
	v_mul_lo_u32 v1, s43, v6
	v_add_u32_e32 v0, 0x1cc0, v2
	v_mul_u32_u24_e32 v6, 0xe0, v7
	s_movk_i32 s15, 0x1c80
	buffer_store_dword v0, off, s[64:67], 0 offset:40 ; 4-byte Folded Spill
	v_add3_u32 v0, v6, v13, s15
	v_add_u32_e32 v93, 0x1c00, v5
	v_ashrrev_i32_e32 v5, 31, v4
	buffer_store_dword v0, off, s[64:67], 0 offset:44 ; 4-byte Folded Spill
	v_and_b32_e32 v0, 28, v19
	v_cmp_gt_u32_e64 s[30:31], 32, v7
	s_movk_i32 s14, 0x1c00
	v_mul_lo_u32 v10, s46, v7
	v_cmp_gt_u32_e64 s[10:11], 16, v7
	v_mul_lo_u32 v12, s43, v7
	v_mul_u32_u24_e32 v6, 0xe0, v15
	v_lshlrev_b32_e32 v7, 2, v0
	v_lshlrev_b64 v[4:5], 2, v[4:5]
	buffer_store_dword v0, off, s[64:67], 0 offset:48 ; 4-byte Folded Spill
	v_add3_u32 v0, v6, v7, s14
	v_ashrrev_i32_e32 v9, 31, v8
	buffer_store_dword v0, off, s[64:67], 0 offset:52 ; 4-byte Folded Spill
	buffer_store_dword v4, off, s[64:67], 0 offset:56 ; 4-byte Folded Spill
	s_nop 0
	buffer_store_dword v5, off, s[64:67], 0 offset:60 ; 4-byte Folded Spill
	v_lshlrev_b64 v[4:5], 2, v[8:9]
	v_ashrrev_i32_e32 v11, 31, v10
	buffer_store_dword v4, off, s[64:67], 0 offset:64 ; 4-byte Folded Spill
	s_nop 0
	buffer_store_dword v5, off, s[64:67], 0 offset:68 ; 4-byte Folded Spill
	v_lshlrev_b64 v[4:5], 2, v[10:11]
	v_lshlrev_b32_e32 v0, 2, v16
	v_ashrrev_i32_e32 v2, 31, v1
	buffer_store_dword v4, off, s[64:67], 0 offset:72 ; 4-byte Folded Spill
	s_nop 0
	buffer_store_dword v5, off, s[64:67], 0 offset:76 ; 4-byte Folded Spill
	buffer_store_dword v0, off, s[64:67], 0 offset:4 ; 4-byte Folded Spill
	v_lshlrev_b32_e32 v0, 2, v17
	buffer_store_dword v0, off, s[64:67], 0 offset:8 ; 4-byte Folded Spill
	v_lshlrev_b64 v[0:1], 2, v[1:2]
	v_mul_lo_u32 v14, s43, v15
	v_ashrrev_i32_e32 v13, 31, v12
	buffer_store_dword v0, off, s[64:67], 0 offset:80 ; 4-byte Folded Spill
	s_nop 0
	buffer_store_dword v1, off, s[64:67], 0 offset:84 ; 4-byte Folded Spill
	v_lshlrev_b64 v[0:1], 2, v[12:13]
	v_cmp_gt_u32_e64 s[12:13], 16, v15
	v_ashrrev_i32_e32 v15, 31, v14
	buffer_store_dword v0, off, s[64:67], 0 offset:88 ; 4-byte Folded Spill
	s_nop 0
	buffer_store_dword v1, off, s[64:67], 0 offset:92 ; 4-byte Folded Spill
	s_add_u32 s36, s4, 0xd0
	v_lshlrev_b64 v[0:1], 2, v[14:15]
	v_mov_b32_e32 v91, 0
	s_addc_u32 s37, s5, 0
	v_mov_b32_e32 v7, 0xfeffffff
	s_mov_b32 s53, 0x3fb8aa3b
	s_mov_b32 s57, 0xc2ce8ed0
	;; [unrolled: 1-line block ×4, first 2 shown]
	v_mbcnt_hi_u32_b32 v92, -1, v3
	v_mov_b32_e32 v73, 0x7f800000
	v_mov_b32_e32 v88, 0
	;; [unrolled: 1-line block ×15, first 2 shown]
	buffer_store_dword v0, off, s[64:67], 0 offset:96 ; 4-byte Folded Spill
	s_nop 0
	buffer_store_dword v1, off, s[64:67], 0 offset:100 ; 4-byte Folded Spill
.LBB21_11:                              ; =>This Inner Loop Header: Depth=1
	s_mul_hi_i32 s15, s6, s46
	s_mul_i32 s14, s6, s46
	s_lshl_b64 s[14:15], s[14:15], 2
	s_add_u32 s18, s47, s14
	s_addc_u32 s19, s52, s15
	s_and_saveexec_b64 s[16:17], vcc
	s_cbranch_execnz .LBB21_31
; %bb.12:                               ;   in Loop: Header=BB21_11 Depth=1
	s_or_b64 exec, exec, s[16:17]
	s_and_saveexec_b64 s[16:17], s[2:3]
	s_cbranch_execnz .LBB21_32
.LBB21_13:                              ;   in Loop: Header=BB21_11 Depth=1
	s_or_b64 exec, exec, s[16:17]
	s_and_saveexec_b64 s[16:17], s[30:31]
	s_cbranch_execz .LBB21_15
.LBB21_14:                              ;   in Loop: Header=BB21_11 Depth=1
	buffer_load_dword v2, off, s[64:67], 0 offset:72 ; 4-byte Folded Reload
	buffer_load_dword v3, off, s[64:67], 0 offset:76 ; 4-byte Folded Reload
	buffer_load_dword v0, off, s[64:67], 0 offset:8 ; 4-byte Folded Reload
	v_mov_b32_e32 v1, s19
	s_waitcnt vmcnt(2)
	v_add_co_u32_e64 v2, s[14:15], s18, v2
	s_waitcnt vmcnt(1)
	v_addc_co_u32_e64 v3, s[14:15], v1, v3, s[14:15]
	s_waitcnt vmcnt(0)
	v_add_co_u32_e64 v1, s[14:15], v2, v0
	v_addc_co_u32_e64 v2, s[14:15], 0, v3, s[14:15]
	global_load_dwordx4 v[1:4], v[1:2], off
	s_nop 0
	buffer_load_dword v0, off, s[64:67], 0 offset:28 ; 4-byte Folded Reload
	s_waitcnt vmcnt(0)
	ds_write_b128 v0, v[1:4]
.LBB21_15:                              ;   in Loop: Header=BB21_11 Depth=1
	s_or_b64 exec, exec, s[16:17]
	s_waitcnt vmcnt(0) lgkmcnt(0)
	s_barrier
	ds_read_b128 v[9:12], v93
	ds_read_b128 v[13:16], v94
	ds_read_b128 v[17:20], v94 offset:224
	ds_read_b128 v[21:24], v94 offset:448
	;; [unrolled: 1-line block ×3, first 2 shown]
	v_mov_b32_e32 v1, 0
	s_waitcnt lgkmcnt(3)
	;;#ASMSTART
	v_dot2_f32_f16 v1, v9, v13, v1
	;;#ASMEND
	;;#ASMSTART
	v_dot2_f32_f16 v1, v10, v14, v1
	;;#ASMEND
	;;#ASMSTART
	v_dot2_f32_f16 v1, v11, v15, v1
	;;#ASMEND
	v_mov_b32_e32 v2, 0
	;;#ASMSTART
	v_dot2_f32_f16 v1, v12, v16, v1
	;;#ASMEND
	s_waitcnt lgkmcnt(2)
	;;#ASMSTART
	v_dot2_f32_f16 v2, v9, v17, v2
	;;#ASMEND
	;;#ASMSTART
	v_dot2_f32_f16 v2, v10, v18, v2
	;;#ASMEND
	;;#ASMSTART
	v_dot2_f32_f16 v2, v11, v19, v2
	;;#ASMEND
	v_mov_b32_e32 v3, 0
	;;#ASMSTART
	v_dot2_f32_f16 v2, v12, v20, v2
	;;#ASMEND
	s_waitcnt lgkmcnt(1)
	;;#ASMSTART
	v_dot2_f32_f16 v3, v9, v21, v3
	;;#ASMEND
	;;#ASMSTART
	v_dot2_f32_f16 v3, v10, v22, v3
	;;#ASMEND
	;;#ASMSTART
	v_dot2_f32_f16 v3, v11, v23, v3
	;;#ASMEND
	v_mov_b32_e32 v4, 0
	;;#ASMSTART
	v_dot2_f32_f16 v3, v12, v24, v3
	;;#ASMEND
	s_waitcnt lgkmcnt(0)
	;;#ASMSTART
	v_dot2_f32_f16 v4, v9, v25, v4
	;;#ASMEND
	;;#ASMSTART
	v_dot2_f32_f16 v4, v10, v26, v4
	;;#ASMEND
	;;#ASMSTART
	v_dot2_f32_f16 v4, v11, v27, v4
	;;#ASMEND
	;;#ASMSTART
	v_dot2_f32_f16 v4, v12, v28, v4
	;;#ASMEND
	ds_read_b128 v[9:12], v93 offset:16
	ds_read_b128 v[13:16], v94 offset:16
	ds_read_b128 v[17:20], v94 offset:240
	ds_read_b128 v[21:24], v94 offset:464
	ds_read_b128 v[25:28], v94 offset:688
	s_waitcnt lgkmcnt(3)
	;;#ASMSTART
	v_dot2_f32_f16 v1, v9, v13, v1
	;;#ASMEND
	;;#ASMSTART
	v_dot2_f32_f16 v1, v10, v14, v1
	;;#ASMEND
	;;#ASMSTART
	v_dot2_f32_f16 v1, v11, v15, v1
	;;#ASMEND
	;;#ASMSTART
	v_dot2_f32_f16 v1, v12, v16, v1
	;;#ASMEND
	s_waitcnt lgkmcnt(2)
	;;#ASMSTART
	v_dot2_f32_f16 v2, v9, v17, v2
	;;#ASMEND
	;;#ASMSTART
	v_dot2_f32_f16 v2, v10, v18, v2
	;;#ASMEND
	;;#ASMSTART
	v_dot2_f32_f16 v2, v11, v19, v2
	;;#ASMEND
	;;#ASMSTART
	v_dot2_f32_f16 v2, v12, v20, v2
	;;#ASMEND
	s_waitcnt lgkmcnt(1)
	;;#ASMSTART
	v_dot2_f32_f16 v3, v9, v21, v3
	;;#ASMEND
	;;#ASMSTART
	v_dot2_f32_f16 v3, v10, v22, v3
	;;#ASMEND
	;;#ASMSTART
	v_dot2_f32_f16 v3, v11, v23, v3
	;;#ASMEND
	;;#ASMSTART
	v_dot2_f32_f16 v3, v12, v24, v3
	;;#ASMEND
	s_waitcnt lgkmcnt(0)
	;;#ASMSTART
	v_dot2_f32_f16 v4, v9, v25, v4
	;;#ASMEND
	;;#ASMSTART
	v_dot2_f32_f16 v4, v10, v26, v4
	;;#ASMEND
	;;#ASMSTART
	v_dot2_f32_f16 v4, v11, v27, v4
	;;#ASMEND
	;;#ASMSTART
	v_dot2_f32_f16 v4, v12, v28, v4
	;;#ASMEND
	ds_read_b128 v[9:12], v93 offset:32
	ds_read_b128 v[13:16], v94 offset:32
	ds_read_b128 v[17:20], v94 offset:256
	ds_read_b128 v[21:24], v94 offset:480
	ds_read_b128 v[25:28], v94 offset:704
	s_waitcnt lgkmcnt(3)
	;;#ASMSTART
	v_dot2_f32_f16 v1, v9, v13, v1
	;;#ASMEND
	;;#ASMSTART
	v_dot2_f32_f16 v1, v10, v14, v1
	;;#ASMEND
	;;#ASMSTART
	v_dot2_f32_f16 v1, v11, v15, v1
	;;#ASMEND
	;;#ASMSTART
	v_dot2_f32_f16 v1, v12, v16, v1
	;;#ASMEND
	s_waitcnt lgkmcnt(2)
	;;#ASMSTART
	v_dot2_f32_f16 v2, v9, v17, v2
	;;#ASMEND
	;;#ASMSTART
	v_dot2_f32_f16 v2, v10, v18, v2
	;;#ASMEND
	;;#ASMSTART
	v_dot2_f32_f16 v2, v11, v19, v2
	;;#ASMEND
	;;#ASMSTART
	v_dot2_f32_f16 v2, v12, v20, v2
	;;#ASMEND
	s_waitcnt lgkmcnt(1)
	;;#ASMSTART
	v_dot2_f32_f16 v3, v9, v21, v3
	;;#ASMEND
	;;#ASMSTART
	v_dot2_f32_f16 v3, v10, v22, v3
	;;#ASMEND
	;;#ASMSTART
	v_dot2_f32_f16 v3, v11, v23, v3
	;;#ASMEND
	;;#ASMSTART
	v_dot2_f32_f16 v3, v12, v24, v3
	;;#ASMEND
	;; [unrolled: 57-line block ×6, first 2 shown]
	s_waitcnt lgkmcnt(0)
	;;#ASMSTART
	v_dot2_f32_f16 v4, v9, v25, v4
	;;#ASMEND
	;;#ASMSTART
	v_dot2_f32_f16 v4, v10, v26, v4
	;;#ASMEND
	;; [unrolled: 3-line block ×4, first 2 shown]
	s_barrier
	s_and_saveexec_b64 s[16:17], vcc
	s_cbranch_execnz .LBB21_33
; %bb.16:                               ;   in Loop: Header=BB21_11 Depth=1
	s_or_b64 exec, exec, s[16:17]
	s_and_saveexec_b64 s[16:17], s[2:3]
	s_cbranch_execnz .LBB21_34
.LBB21_17:                              ;   in Loop: Header=BB21_11 Depth=1
	s_or_b64 exec, exec, s[16:17]
	s_and_saveexec_b64 s[16:17], s[30:31]
	s_cbranch_execz .LBB21_19
.LBB21_18:                              ;   in Loop: Header=BB21_11 Depth=1
	buffer_load_dword v10, off, s[64:67], 0 offset:72 ; 4-byte Folded Reload
	buffer_load_dword v11, off, s[64:67], 0 offset:76 ; 4-byte Folded Reload
	;; [unrolled: 1-line block ×3, first 2 shown]
	v_mov_b32_e32 v9, s19
	s_waitcnt vmcnt(2)
	v_add_co_u32_e64 v10, s[14:15], s18, v10
	s_waitcnt vmcnt(1)
	v_addc_co_u32_e64 v11, s[14:15], v9, v11, s[14:15]
	s_waitcnt vmcnt(0)
	v_add_co_u32_e64 v9, s[14:15], v10, v0
	v_addc_co_u32_e64 v10, s[14:15], 0, v11, s[14:15]
	global_load_dwordx4 v[9:12], v[9:10], off offset:112
	s_nop 0
	buffer_load_dword v0, off, s[64:67], 0 offset:28 ; 4-byte Folded Reload
	s_waitcnt vmcnt(0)
	ds_write_b128 v0, v[9:12]
.LBB21_19:                              ;   in Loop: Header=BB21_11 Depth=1
	s_or_b64 exec, exec, s[16:17]
	s_waitcnt lgkmcnt(0)
	s_barrier
	ds_read_b128 v[9:12], v93
	ds_read_b128 v[13:16], v94 offset:112
	ds_read_b128 v[17:20], v94 offset:336
	ds_read_b128 v[21:24], v94 offset:560
	ds_read_b128 v[25:28], v94 offset:784
	s_waitcnt lgkmcnt(3)
	;;#ASMSTART
	v_dot2_f32_f16 v1, v9, v13, v1
	;;#ASMEND
	;;#ASMSTART
	v_dot2_f32_f16 v1, v10, v14, v1
	;;#ASMEND
	;;#ASMSTART
	v_dot2_f32_f16 v1, v11, v15, v1
	;;#ASMEND
	;;#ASMSTART
	v_dot2_f32_f16 v1, v12, v16, v1
	;;#ASMEND
	s_waitcnt lgkmcnt(2)
	;;#ASMSTART
	v_dot2_f32_f16 v2, v9, v17, v2
	;;#ASMEND
	;;#ASMSTART
	v_dot2_f32_f16 v2, v10, v18, v2
	;;#ASMEND
	;;#ASMSTART
	v_dot2_f32_f16 v2, v11, v19, v2
	;;#ASMEND
	;;#ASMSTART
	v_dot2_f32_f16 v2, v12, v20, v2
	;;#ASMEND
	s_waitcnt lgkmcnt(1)
	;;#ASMSTART
	v_dot2_f32_f16 v3, v9, v21, v3
	;;#ASMEND
	;;#ASMSTART
	v_dot2_f32_f16 v3, v10, v22, v3
	;;#ASMEND
	;;#ASMSTART
	v_dot2_f32_f16 v3, v11, v23, v3
	;;#ASMEND
	;;#ASMSTART
	v_dot2_f32_f16 v3, v12, v24, v3
	;;#ASMEND
	s_waitcnt lgkmcnt(0)
	;;#ASMSTART
	v_dot2_f32_f16 v4, v9, v25, v4
	;;#ASMEND
	;;#ASMSTART
	v_dot2_f32_f16 v4, v10, v26, v4
	;;#ASMEND
	;;#ASMSTART
	v_dot2_f32_f16 v4, v11, v27, v4
	;;#ASMEND
	;;#ASMSTART
	v_dot2_f32_f16 v4, v12, v28, v4
	;;#ASMEND
	ds_read_b128 v[9:12], v93 offset:16
	ds_read_b128 v[13:16], v94 offset:128
	ds_read_b128 v[17:20], v94 offset:352
	ds_read_b128 v[21:24], v94 offset:576
	ds_read_b128 v[25:28], v94 offset:800
	s_waitcnt lgkmcnt(3)
	;;#ASMSTART
	v_dot2_f32_f16 v1, v9, v13, v1
	;;#ASMEND
	;;#ASMSTART
	v_dot2_f32_f16 v1, v10, v14, v1
	;;#ASMEND
	;;#ASMSTART
	v_dot2_f32_f16 v1, v11, v15, v1
	;;#ASMEND
	;;#ASMSTART
	v_dot2_f32_f16 v1, v12, v16, v1
	;;#ASMEND
	s_waitcnt lgkmcnt(2)
	;;#ASMSTART
	v_dot2_f32_f16 v2, v9, v17, v2
	;;#ASMEND
	;;#ASMSTART
	v_dot2_f32_f16 v2, v10, v18, v2
	;;#ASMEND
	;;#ASMSTART
	v_dot2_f32_f16 v2, v11, v19, v2
	;;#ASMEND
	;;#ASMSTART
	v_dot2_f32_f16 v2, v12, v20, v2
	;;#ASMEND
	s_waitcnt lgkmcnt(1)
	;;#ASMSTART
	v_dot2_f32_f16 v3, v9, v21, v3
	;;#ASMEND
	;;#ASMSTART
	v_dot2_f32_f16 v3, v10, v22, v3
	;;#ASMEND
	;;#ASMSTART
	v_dot2_f32_f16 v3, v11, v23, v3
	;;#ASMEND
	;;#ASMSTART
	v_dot2_f32_f16 v3, v12, v24, v3
	;;#ASMEND
	s_waitcnt lgkmcnt(0)
	;;#ASMSTART
	v_dot2_f32_f16 v4, v9, v25, v4
	;;#ASMEND
	;;#ASMSTART
	v_dot2_f32_f16 v4, v10, v26, v4
	;;#ASMEND
	;;#ASMSTART
	v_dot2_f32_f16 v4, v11, v27, v4
	;;#ASMEND
	;;#ASMSTART
	v_dot2_f32_f16 v4, v12, v28, v4
	;;#ASMEND
	ds_read_b128 v[9:12], v93 offset:32
	;; [unrolled: 57-line block ×6, first 2 shown]
	ds_read_b128 v[13:16], v94 offset:208
	ds_read_b128 v[17:20], v94 offset:432
	;; [unrolled: 1-line block ×4, first 2 shown]
	s_waitcnt lgkmcnt(3)
	;;#ASMSTART
	v_dot2_f32_f16 v1, v9, v13, v1
	;;#ASMEND
	;;#ASMSTART
	v_dot2_f32_f16 v1, v10, v14, v1
	;;#ASMEND
	;;#ASMSTART
	v_dot2_f32_f16 v1, v11, v15, v1
	;;#ASMEND
	;;#ASMSTART
	v_dot2_f32_f16 v1, v12, v16, v1
	;;#ASMEND
	s_waitcnt lgkmcnt(2)
	;;#ASMSTART
	v_dot2_f32_f16 v2, v9, v17, v2
	;;#ASMEND
	;;#ASMSTART
	v_dot2_f32_f16 v2, v10, v18, v2
	;;#ASMEND
	;;#ASMSTART
	v_dot2_f32_f16 v2, v11, v19, v2
	;;#ASMEND
	;;#ASMSTART
	v_dot2_f32_f16 v2, v12, v20, v2
	;;#ASMEND
	;; [unrolled: 13-line block ×4, first 2 shown]
	buffer_load_dword v9, off, s[64:67], 0 offset:32 ; 4-byte Folded Reload
	buffer_load_dword v10, off, s[64:67], 0 offset:36 ; 4-byte Folded Reload
	v_mov_b32_e32 v11, s59
	v_xor_b32_e32 v115, 16, v92
	v_max_f32_e32 v12, v8, v8
	v_max_f32_e32 v13, v6, v6
	v_max_f32_e32 v14, v5, v5
	v_xor_b32_e32 v0, 8, v92
	v_xor_b32_e32 v16, 4, v92
	buffer_store_dword v0, off, s[64:67], 0 offset:12 ; 4-byte Folded Spill
	buffer_store_dword v16, off, s[64:67], 0 offset:16 ; 4-byte Folded Spill
	v_xor_b32_e32 v113, 2, v92
	v_xor_b32_e32 v114, 1, v92
	s_mul_hi_i32 s35, s6, s43
	s_mul_i32 s34, s6, s43
	s_lshl_b64 s[34:35], s[34:35], 2
	s_add_u32 s62, s40, s34
	s_addc_u32 s63, s41, s35
	s_waitcnt vmcnt(3)
	v_add_u32_e32 v9, s6, v9
	s_waitcnt vmcnt(2)
	v_ashrrev_i32_e32 v10, 31, v9
	v_lshlrev_b64 v[9:10], 1, v[9:10]
	v_add_co_u32_e64 v9, s[14:15], s58, v9
	v_addc_co_u32_e64 v10, s[14:15], v11, v10, s[14:15]
	global_load_ushort v9, v[9:10], off
	v_and_b32_e32 v10, 0x60, v92
	v_add_u32_e32 v116, 32, v10
	v_cmp_lt_i32_e64 s[14:15], v115, v116
	v_max_f32_e32 v11, v7, v7
	v_cndmask_b32_e64 v10, v92, v115, s[14:15]
	v_lshlrev_b32_e32 v10, 2, v10
	v_cmp_lt_i32_e64 s[14:15], v0, v116
	v_cndmask_b32_e64 v15, v92, v0, s[14:15]
	v_lshlrev_b32_e32 v15, 2, v15
	v_cmp_lt_i32_e64 s[14:15], v16, v116
	v_cndmask_b32_e64 v16, v92, v16, s[14:15]
	s_waitcnt vmcnt(0)
	s_barrier
	buffer_load_dword v0, off, s[64:67], 0  ; 4-byte Folded Reload
	v_lshlrev_b32_e32 v16, 2, v16
	v_cmp_lt_i32_e64 s[14:15], v113, v116
	v_cndmask_b32_e64 v17, v92, v113, s[14:15]
	v_cmp_lt_i32_e64 s[14:15], v114, v116
	v_cndmask_b32_e64 v18, v92, v114, s[14:15]
	v_cvt_f32_f16_e32 v9, v9
	v_add_f32_e32 v19, v1, v9
	v_add_f32_e32 v20, v2, v9
	;; [unrolled: 1-line block ×8, first 2 shown]
	v_max_f32_e32 v1, v11, v1
	v_max_f32_e32 v2, v12, v2
	v_max_f32_e32 v3, v13, v3
	v_max_f32_e32 v4, v14, v4
	ds_bpermute_b32 v11, v10, v1
	ds_bpermute_b32 v12, v10, v2
	ds_bpermute_b32 v13, v10, v3
	ds_bpermute_b32 v10, v10, v4
	v_lshlrev_b32_e32 v14, 2, v17
	s_waitcnt lgkmcnt(3)
	v_max_f32_e32 v11, v11, v11
	v_max_f32_e32 v1, v1, v11
	s_waitcnt lgkmcnt(2)
	v_max_f32_e32 v12, v12, v12
	s_waitcnt lgkmcnt(0)
	v_max_f32_e32 v10, v10, v10
	v_max_f32_e32 v4, v4, v10
	ds_bpermute_b32 v10, v15, v1
	v_max_f32_e32 v2, v2, v12
	ds_bpermute_b32 v11, v15, v2
	v_max_f32_e32 v13, v13, v13
	v_max_f32_e32 v3, v3, v13
	s_waitcnt lgkmcnt(1)
	v_max_f32_e32 v10, v10, v10
	v_max_f32_e32 v1, v1, v10
	ds_bpermute_b32 v10, v16, v1
	s_waitcnt lgkmcnt(1)
	v_max_f32_e32 v11, v11, v11
	v_max_f32_e32 v2, v2, v11
	ds_bpermute_b32 v12, v15, v3
	ds_bpermute_b32 v11, v16, v2
	s_waitcnt lgkmcnt(2)
	v_max_f32_e32 v10, v10, v10
	v_max_f32_e32 v1, v1, v10
	ds_bpermute_b32 v13, v15, v4
	ds_bpermute_b32 v10, v14, v1
	s_waitcnt lgkmcnt(3)
	v_max_f32_e32 v12, v12, v12
	s_waitcnt lgkmcnt(2)
	v_max_f32_e32 v11, v11, v11
	v_max_f32_e32 v3, v3, v12
	s_waitcnt lgkmcnt(1)
	v_max_f32_e32 v13, v13, v13
	;; [unrolled: 3-line block ×3, first 2 shown]
	v_lshlrev_b32_e32 v15, 2, v18
	v_max_f32_e32 v4, v4, v13
	ds_bpermute_b32 v12, v16, v3
	ds_bpermute_b32 v11, v14, v2
	v_max_f32_e32 v1, v1, v10
	ds_bpermute_b32 v13, v16, v4
	ds_bpermute_b32 v10, v15, v1
	s_waitcnt lgkmcnt(3)
	v_max_f32_e32 v12, v12, v12
	s_waitcnt lgkmcnt(2)
	v_max_f32_e32 v11, v11, v11
	v_max_f32_e32 v3, v3, v12
	;; [unrolled: 1-line block ×3, first 2 shown]
	s_waitcnt lgkmcnt(0)
	v_max_f32_e32 v10, v10, v10
	v_max_f32_e32 v11, v13, v13
	;; [unrolled: 1-line block ×3, first 2 shown]
	ds_bpermute_b32 v10, v14, v3
	v_max_f32_e32 v4, v4, v11
	ds_bpermute_b32 v11, v14, v4
	ds_bpermute_b32 v12, v15, v2
	v_sub_f32_e32 v125, v7, v1
	s_waitcnt lgkmcnt(2)
	v_max_f32_e32 v10, v10, v10
	v_max_f32_e32 v3, v3, v10
	s_waitcnt lgkmcnt(1)
	v_max_f32_e32 v11, v11, v11
	ds_bpermute_b32 v10, v15, v3
	v_max_f32_e32 v4, v4, v11
	ds_bpermute_b32 v11, v15, v4
	s_waitcnt lgkmcnt(2)
	v_max_f32_e32 v12, v12, v12
	v_max_f32_e32 v2, v2, v12
	s_waitcnt lgkmcnt(1)
	v_max_f32_e32 v10, v10, v10
	v_max_f32_e32 v3, v3, v10
	s_waitcnt lgkmcnt(0)
	v_max_f32_e32 v10, v11, v11
	v_max_f32_e32 v4, v4, v10
	v_sub_f32_e32 v10, v19, v1
	v_mul_f32_e32 v11, 0x3fb8aa3b, v10
	v_fma_f32 v12, v10, s53, -v11
	v_rndne_f32_e32 v13, v11
	v_fmac_f32_e32 v12, 0x32a5705f, v10
	v_sub_f32_e32 v11, v11, v13
	v_add_f32_e32 v11, v11, v12
	v_exp_f32_e32 v11, v11
	v_cvt_i32_f32_e32 v12, v13
	v_cmp_ngt_f32_e64 s[18:19], s57, v10
	v_sub_f32_e32 v126, v8, v2
	v_sub_f32_e32 v9, v9, v4
	v_ldexp_f32 v7, v11, v12
	v_cndmask_b32_e64 v7, 0, v7, s[18:19]
	v_cmp_nlt_f32_e64 s[18:19], s60, v10
	v_sub_f32_e32 v10, v20, v2
	v_mul_f32_e32 v11, 0x3fb8aa3b, v10
	v_fma_f32 v12, v10, s53, -v11
	v_rndne_f32_e32 v13, v11
	v_fmac_f32_e32 v12, 0x32a5705f, v10
	v_sub_f32_e32 v11, v11, v13
	v_add_f32_e32 v11, v11, v12
	v_exp_f32_e32 v11, v11
	v_cvt_i32_f32_e32 v12, v13
	v_cmp_ngt_f32_e64 s[22:23], s57, v10
	v_sub_f32_e32 v127, v6, v3
	v_sub_f32_e32 v69, v5, v4
	v_ldexp_f32 v8, v11, v12
	v_cndmask_b32_e64 v8, 0, v8, s[22:23]
	v_cmp_nlt_f32_e64 s[22:23], s60, v10
	v_sub_f32_e32 v10, v21, v3
	v_mul_f32_e32 v11, 0x3fb8aa3b, v10
	v_fma_f32 v12, v10, s53, -v11
	v_rndne_f32_e32 v13, v11
	v_fmac_f32_e32 v12, 0x32a5705f, v10
	v_sub_f32_e32 v11, v11, v13
	v_add_f32_e32 v11, v11, v12
	v_exp_f32_e32 v11, v11
	v_cvt_i32_f32_e32 v12, v13
	v_cmp_ngt_f32_e64 s[26:27], s57, v10
	v_cndmask_b32_e64 v118, v73, v7, s[18:19]
	v_cndmask_b32_e64 v117, v73, v8, s[22:23]
	v_ldexp_f32 v6, v11, v12
	v_mul_f32_e32 v11, 0x3fb8aa3b, v9
	v_fma_f32 v12, v9, s53, -v11
	v_rndne_f32_e32 v13, v11
	v_fmac_f32_e32 v12, 0x32a5705f, v9
	v_sub_f32_e32 v11, v11, v13
	v_add_f32_e32 v11, v11, v12
	v_exp_f32_e32 v11, v11
	v_cvt_i32_f32_e32 v12, v13
	v_cndmask_b32_e64 v6, 0, v6, s[26:27]
	v_cmp_nlt_f32_e64 s[26:27], s60, v10
	v_cndmask_b32_e64 v120, v73, v6, s[26:27]
	v_ldexp_f32 v5, v11, v12
	v_cmp_ngt_f32_e64 s[26:27], s57, v9
	v_cndmask_b32_e64 v5, 0, v5, s[26:27]
	v_cmp_nlt_f32_e64 s[26:27], s60, v9
	v_cndmask_b32_e64 v119, v73, v5, s[26:27]
	v_cvt_f16_f32_e32 v7, v118
	v_cvt_f16_f32_e32 v8, v117
	v_cvt_f16_f32_e32 v6, v120
	v_cvt_f16_f32_e32 v5, v119
	v_cmp_ngt_f32_e64 s[14:15], s57, v125
	v_cmp_nlt_f32_e64 s[16:17], s60, v125
	v_cmp_ngt_f32_e64 s[18:19], s57, v126
	v_cmp_nlt_f32_e64 s[20:21], s60, v126
	;; [unrolled: 2-line block ×4, first 2 shown]
	s_waitcnt vmcnt(0)
	v_add_u32_e32 v9, v99, v0
	v_pack_b32_f16 v6, v6, v5
	v_pack_b32_f16 v5, v7, v8
	ds_write_b64 v9, v[5:6]
	s_and_saveexec_b64 s[38:39], s[8:9]
	s_cbranch_execz .LBB21_21
; %bb.20:                               ;   in Loop: Header=BB21_11 Depth=1
	buffer_load_dword v6, off, s[64:67], 0 offset:80 ; 4-byte Folded Reload
	buffer_load_dword v7, off, s[64:67], 0 offset:84 ; 4-byte Folded Reload
	;; [unrolled: 1-line block ×3, first 2 shown]
	v_mov_b32_e32 v5, s63
	s_waitcnt vmcnt(2)
	v_add_co_u32_e64 v6, s[34:35], s62, v6
	s_waitcnt vmcnt(1)
	v_addc_co_u32_e64 v7, s[34:35], v5, v7, s[34:35]
	s_waitcnt vmcnt(0)
	v_add_co_u32_e64 v5, s[34:35], v6, v0
	v_addc_co_u32_e64 v6, s[34:35], 0, v7, s[34:35]
	global_load_dwordx4 v[5:8], v[5:6], off offset:192
	s_nop 0
	buffer_load_dword v0, off, s[64:67], 0 offset:40 ; 4-byte Folded Reload
	s_waitcnt vmcnt(0)
	ds_write_b128 v0, v[5:8]
.LBB21_21:                              ;   in Loop: Header=BB21_11 Depth=1
	s_or_b64 exec, exec, s[38:39]
	s_and_saveexec_b64 s[38:39], s[10:11]
	s_cbranch_execz .LBB21_23
; %bb.22:                               ;   in Loop: Header=BB21_11 Depth=1
	buffer_load_dword v6, off, s[64:67], 0 offset:88 ; 4-byte Folded Reload
	buffer_load_dword v7, off, s[64:67], 0 offset:92 ; 4-byte Folded Reload
	;; [unrolled: 1-line block ×3, first 2 shown]
	v_mov_b32_e32 v5, s63
	s_waitcnt vmcnt(2)
	v_add_co_u32_e64 v6, s[34:35], s62, v6
	s_waitcnt vmcnt(1)
	v_addc_co_u32_e64 v7, s[34:35], v5, v7, s[34:35]
	s_waitcnt vmcnt(0)
	v_add_co_u32_e64 v5, s[34:35], v6, v0
	v_addc_co_u32_e64 v6, s[34:35], 0, v7, s[34:35]
	global_load_dwordx4 v[5:8], v[5:6], off offset:128
	s_nop 0
	buffer_load_dword v0, off, s[64:67], 0 offset:44 ; 4-byte Folded Reload
	s_waitcnt vmcnt(0)
	ds_write_b128 v0, v[5:8]
.LBB21_23:                              ;   in Loop: Header=BB21_11 Depth=1
	s_or_b64 exec, exec, s[38:39]
	buffer_load_dword v0, off, s[64:67], 0 offset:48 ; 4-byte Folded Reload
	s_waitcnt vmcnt(0)
	v_lshlrev_b32_e32 v83, 2, v0
	s_and_saveexec_b64 s[38:39], s[12:13]
	s_cbranch_execz .LBB21_25
; %bb.24:                               ;   in Loop: Header=BB21_11 Depth=1
	buffer_load_dword v6, off, s[64:67], 0 offset:96 ; 4-byte Folded Reload
	buffer_load_dword v7, off, s[64:67], 0 offset:100 ; 4-byte Folded Reload
	v_mov_b32_e32 v5, s63
	buffer_load_dword v0, off, s[64:67], 0 offset:52 ; 4-byte Folded Reload
	s_waitcnt vmcnt(2)
	v_add_co_u32_e64 v6, s[34:35], s62, v6
	s_waitcnt vmcnt(1)
	v_addc_co_u32_e64 v7, s[34:35], v5, v7, s[34:35]
	v_add_co_u32_e64 v5, s[34:35], v6, v83
	v_addc_co_u32_e64 v6, s[34:35], 0, v7, s[34:35]
	global_load_dwordx4 v[5:8], v[5:6], off
	s_waitcnt vmcnt(0)
	ds_write_b128 v0, v[5:8]
.LBB21_25:                              ;   in Loop: Header=BB21_11 Depth=1
	s_or_b64 exec, exec, s[38:39]
	s_waitcnt lgkmcnt(0)
	s_barrier
	buffer_load_dword v0, off, s[64:67], 0  ; 4-byte Folded Reload
	s_or_b32 s34, s6, 16
	s_mul_hi_i32 s35, s34, s43
	s_mul_i32 s34, s34, s43
	s_lshl_b64 s[34:35], s[34:35], 2
	s_add_u32 s62, s40, s34
	s_addc_u32 s63, s41, s35
	s_waitcnt vmcnt(0)
	v_add_u32_e32 v124, 0x1800, v0
	v_add_u32_e32 v123, 0x1c00, v0
	;; [unrolled: 1-line block ×3, first 2 shown]
	ds_read2_b64 v[33:36], v124 offset0:128 offset1:156
	ds_read_b128 v[65:68], v99
	ds_read_b128 v[61:64], v99 offset:16
	ds_read_b128 v[53:56], v99 offset:32
	;; [unrolled: 1-line block ×3, first 2 shown]
	ds_read2_b64 v[29:32], v124 offset0:184 offset1:212
	ds_read2_b64 v[25:28], v123 offset0:112 offset1:140
	;; [unrolled: 1-line block ×5, first 2 shown]
	ds_read_b128 v[57:60], v99 offset:64
	ds_read_b128 v[49:52], v99 offset:80
	ds_read2_b64 v[9:12], v122 offset0:208 offset1:236
	v_add_u32_e32 v0, 0x2800, v0
	ds_read2_b64 v[5:8], v0 offset0:8 offset1:36
	ds_read_b128 v[45:48], v99 offset:96
	ds_read_b128 v[37:40], v99 offset:112
	v_mov_b32_e32 v112, v0
	s_waitcnt lgkmcnt(0)
	s_barrier
	s_and_saveexec_b64 s[38:39], s[8:9]
	s_cbranch_execnz .LBB21_35
; %bb.26:                               ;   in Loop: Header=BB21_11 Depth=1
	s_or_b64 exec, exec, s[38:39]
	s_and_saveexec_b64 s[38:39], s[10:11]
	s_cbranch_execnz .LBB21_36
.LBB21_27:                              ;   in Loop: Header=BB21_11 Depth=1
	s_or_b64 exec, exec, s[38:39]
	s_and_saveexec_b64 s[38:39], s[12:13]
	s_cbranch_execz .LBB21_29
.LBB21_28:                              ;   in Loop: Header=BB21_11 Depth=1
	buffer_load_dword v70, off, s[64:67], 0 offset:96 ; 4-byte Folded Reload
	buffer_load_dword v71, off, s[64:67], 0 offset:100 ; 4-byte Folded Reload
	v_mov_b32_e32 v100, s63
	buffer_load_dword v0, off, s[64:67], 0 offset:52 ; 4-byte Folded Reload
	s_waitcnt vmcnt(2)
	v_add_co_u32_e64 v101, s[34:35], s62, v70
	s_waitcnt vmcnt(1)
	v_addc_co_u32_e64 v102, s[34:35], v100, v71, s[34:35]
	v_add_co_u32_e64 v100, s[34:35], v101, v83
	v_addc_co_u32_e64 v101, s[34:35], 0, v102, s[34:35]
	global_load_dwordx4 v[100:103], v[100:101], off
	s_waitcnt vmcnt(0)
	ds_write_b128 v0, v[100:103]
.LBB21_29:                              ;   in Loop: Header=BB21_11 Depth=1
	s_or_b64 exec, exec, s[38:39]
	v_mul_f32_e32 v83, 0x3fb8aa3b, v125
	v_fma_f32 v100, v125, s53, -v83
	v_rndne_f32_e32 v101, v83
	v_fmac_f32_e32 v100, 0x32a5705f, v125
	v_sub_f32_e32 v83, v83, v101
	v_add_f32_e32 v83, v83, v100
	v_cvt_i32_f32_e32 v100, v101
	v_exp_f32_e32 v83, v83
	v_mul_u32_u24_sdwa v125, v63, s61 dst_sel:DWORD dst_unused:UNUSED_PAD src0_sel:WORD_0 src1_sel:DWORD
	v_mul_u32_u24_sdwa v63, v63, s61 dst_sel:DWORD dst_unused:UNUSED_PAD src0_sel:WORD_1 src1_sel:DWORD
	v_mul_u32_u24_sdwa v0, v54, s61 dst_sel:DWORD dst_unused:UNUSED_PAD src0_sel:WORD_0 src1_sel:DWORD
	v_ldexp_f32 v83, v83, v100
	v_mul_f32_e32 v100, 0x3fb8aa3b, v126
	v_fma_f32 v101, v126, s53, -v100
	v_rndne_f32_e32 v102, v100
	v_fmac_f32_e32 v101, 0x32a5705f, v126
	v_sub_f32_e32 v100, v100, v102
	v_add_f32_e32 v100, v100, v101
	v_exp_f32_e32 v100, v100
	v_cvt_i32_f32_e32 v101, v102
	v_cndmask_b32_e64 v83, 0, v83, s[14:15]
	v_cndmask_b32_e64 v83, v73, v83, s[16:17]
	v_fmac_f32_e32 v118, v110, v83
	v_ldexp_f32 v100, v100, v101
	v_mul_f32_e32 v101, 0x3fb8aa3b, v127
	v_fma_f32 v102, v127, s53, -v101
	v_rndne_f32_e32 v103, v101
	v_fmac_f32_e32 v102, 0x32a5705f, v127
	v_sub_f32_e32 v101, v101, v103
	v_add_f32_e32 v101, v101, v102
	v_exp_f32_e32 v101, v101
	v_cvt_i32_f32_e32 v102, v103
	v_cndmask_b32_e64 v100, 0, v100, s[18:19]
	v_cndmask_b32_e64 v100, v73, v100, s[20:21]
	v_cvt_f16_f32_e32 v83, v83
	v_ldexp_f32 v101, v101, v102
	v_mul_f32_e32 v102, 0x3fb8aa3b, v69
	v_fma_f32 v103, v69, s53, -v102
	v_fmac_f32_e32 v103, 0x32a5705f, v69
	v_rndne_f32_e32 v69, v102
	v_sub_f32_e32 v102, v102, v69
	v_add_f32_e32 v102, v102, v103
	v_exp_f32_e32 v102, v102
	v_cvt_i32_f32_e32 v69, v69
	v_cndmask_b32_e64 v101, 0, v101, s[22:23]
	v_cndmask_b32_e64 v101, v73, v101, s[24:25]
	v_fmac_f32_e32 v117, v109, v100
	v_ldexp_f32 v69, v102, v69
	v_cndmask_b32_e64 v69, 0, v69, s[26:27]
	v_cndmask_b32_e64 v69, v73, v69, s[28:29]
	v_fmac_f32_e32 v119, v107, v69
	v_cvt_f16_f32_e32 v69, v69
	v_fmac_f32_e32 v120, v108, v101
	v_cvt_f16_f32_e32 v100, v100
	v_cvt_f16_f32_e32 v101, v101
	v_mul_u32_u24_e32 v69, 0x10001, v69
	v_mul_u32_u24_sdwa v102, v65, s61 dst_sel:DWORD dst_unused:UNUSED_PAD src0_sel:WORD_0 src1_sel:DWORD
	v_mul_u32_u24_e32 v83, 0x10001, v83
	v_mul_u32_u24_sdwa v65, v65, s61 dst_sel:DWORD dst_unused:UNUSED_PAD src0_sel:WORD_1 src1_sel:DWORD
	v_pk_mul_f16 v88, v88, v69
	v_pk_mul_f16 v69, v91, v69
	;; [unrolled: 1-line block ×3, first 2 shown]
	v_mul_u32_u24_e32 v100, 0x10001, v100
	v_mul_u32_u24_e32 v101, 0x10001, v101
	v_mul_u32_u24_sdwa v103, v66, s61 dst_sel:DWORD dst_unused:UNUSED_PAD src0_sel:WORD_0 src1_sel:DWORD
	v_pk_mul_f16 v97, v97, v83
	v_pk_fma_f16 v83, v111, v83, v91
	v_pk_mul_f16 v91, v33, v65
	v_mul_u32_u24_sdwa v66, v66, s61 dst_sel:DWORD dst_unused:UNUSED_PAD src0_sel:WORD_1 src1_sel:DWORD
	v_pk_mul_f16 v90, v90, v100
	v_pk_mul_f16 v89, v89, v101
	v_pk_fma_f16 v91, v121, v100, v91
	v_pk_mul_f16 v100, v33, v103
	v_mul_u32_u24_sdwa v107, v67, s61 dst_sel:DWORD dst_unused:UNUSED_PAD src0_sel:WORD_0 src1_sel:DWORD
	v_mul_u32_u24_sdwa v67, v67, s61 dst_sel:DWORD dst_unused:UNUSED_PAD src0_sel:WORD_1 src1_sel:DWORD
	v_mul_u32_u24_sdwa v108, v68, s61 dst_sel:DWORD dst_unused:UNUSED_PAD src0_sel:WORD_0 src1_sel:DWORD
	v_mul_u32_u24_sdwa v68, v68, s61 dst_sel:DWORD dst_unused:UNUSED_PAD src0_sel:WORD_1 src1_sel:DWORD
	v_pk_fma_f16 v100, v106, v101, v100
	v_pk_fma_f16 v33, v33, v66, v88
	;; [unrolled: 1-line block ×6, first 2 shown]
	v_mul_u32_u24_sdwa v109, v61, s61 dst_sel:DWORD dst_unused:UNUSED_PAD src0_sel:WORD_0 src1_sel:DWORD
	v_mul_u32_u24_sdwa v61, v61, s61 dst_sel:DWORD dst_unused:UNUSED_PAD src0_sel:WORD_1 src1_sel:DWORD
	v_mul_u32_u24_sdwa v110, v62, s61 dst_sel:DWORD dst_unused:UNUSED_PAD src0_sel:WORD_0 src1_sel:DWORD
	v_mul_u32_u24_sdwa v62, v62, s61 dst_sel:DWORD dst_unused:UNUSED_PAD src0_sel:WORD_1 src1_sel:DWORD
	v_pk_fma_f16 v66, v35, v107, v83
	v_pk_fma_f16 v69, v35, v67, v91
	;; [unrolled: 1-line block ×8, first 2 shown]
	v_mul_u32_u24_sdwa v126, v64, s61 dst_sel:DWORD dst_unused:UNUSED_PAD src0_sel:WORD_0 src1_sel:DWORD
	v_mul_u32_u24_sdwa v64, v64, s61 dst_sel:DWORD dst_unused:UNUSED_PAD src0_sel:WORD_1 src1_sel:DWORD
	v_pk_fma_f16 v36, v29, v109, v66
	v_pk_fma_f16 v66, v29, v61, v69
	;; [unrolled: 1-line block ×8, first 2 shown]
	v_mul_u32_u24_sdwa v127, v53, s61 dst_sel:DWORD dst_unused:UNUSED_PAD src0_sel:WORD_0 src1_sel:DWORD
	v_mul_u32_u24_sdwa v53, v53, s61 dst_sel:DWORD dst_unused:UNUSED_PAD src0_sel:WORD_1 src1_sel:DWORD
	v_mul_u32_u24_sdwa v54, v54, s61 dst_sel:DWORD dst_unused:UNUSED_PAD src0_sel:WORD_1 src1_sel:DWORD
	v_pk_fma_f16 v34, v31, v125, v36
	v_pk_fma_f16 v36, v31, v63, v66
	v_pk_fma_f16 v62, v31, v126, v68
	v_pk_fma_f16 v29, v31, v64, v29
	v_pk_fma_f16 v31, v32, v125, v33
	v_pk_fma_f16 v33, v32, v63, v35
	v_pk_fma_f16 v35, v32, v126, v61
	v_pk_fma_f16 v30, v32, v64, v30
	v_mul_u32_u24_sdwa v70, v55, s61 dst_sel:DWORD dst_unused:UNUSED_PAD src0_sel:WORD_0 src1_sel:DWORD
	v_mul_u32_u24_sdwa v55, v55, s61 dst_sel:DWORD dst_unused:UNUSED_PAD src0_sel:WORD_1 src1_sel:DWORD
	v_mul_u32_u24_sdwa v95, v56, s61 dst_sel:DWORD dst_unused:UNUSED_PAD src0_sel:WORD_0 src1_sel:DWORD
	v_mul_u32_u24_sdwa v56, v56, s61 dst_sel:DWORD dst_unused:UNUSED_PAD src0_sel:WORD_1 src1_sel:DWORD
	v_pk_fma_f16 v32, v25, v127, v34
	v_pk_fma_f16 v34, v25, v53, v36
	v_pk_fma_f16 v36, v25, v0, v62
	v_pk_fma_f16 v25, v25, v54, v29
	v_pk_fma_f16 v29, v26, v127, v31
	v_pk_fma_f16 v31, v26, v53, v33
	v_pk_fma_f16 v0, v26, v0, v35
	v_pk_fma_f16 v26, v26, v54, v30
	v_mul_u32_u24_sdwa v96, v41, s61 dst_sel:DWORD dst_unused:UNUSED_PAD src0_sel:WORD_0 src1_sel:DWORD
	v_mul_u32_u24_sdwa v41, v41, s61 dst_sel:DWORD dst_unused:UNUSED_PAD src0_sel:WORD_1 src1_sel:DWORD
	v_mul_u32_u24_sdwa v98, v42, s61 dst_sel:DWORD dst_unused:UNUSED_PAD src0_sel:WORD_0 src1_sel:DWORD
	;; [unrolled: 12-line block ×11, first 2 shown]
	v_mul_u32_u24_sdwa v40, v40, s61 dst_sel:DWORD dst_unused:UNUSED_PAD src0_sel:WORD_1 src1_sel:DWORD
	v_pk_fma_f16 v12, v5, v85, v14
	v_pk_fma_f16 v14, v5, v37, v16
	;; [unrolled: 1-line block ×16, first 2 shown]
	s_waitcnt lgkmcnt(0)
	s_barrier
	ds_read_b128 v[5:8], v99 offset:128
	ds_read2_b64 v[9:12], v124 offset0:128 offset1:156
	ds_read_b128 v[13:16], v99 offset:144
	ds_read_b128 v[17:20], v99 offset:160
	;; [unrolled: 1-line block ×3, first 2 shown]
	s_waitcnt lgkmcnt(4)
	v_mul_u32_u24_sdwa v32, v5, s61 dst_sel:DWORD dst_unused:UNUSED_PAD src0_sel:WORD_0 src1_sel:DWORD
	v_mul_u32_u24_sdwa v5, v5, s61 dst_sel:DWORD dst_unused:UNUSED_PAD src0_sel:WORD_1 src1_sel:DWORD
	v_mul_u32_u24_sdwa v33, v6, s61 dst_sel:DWORD dst_unused:UNUSED_PAD src0_sel:WORD_0 src1_sel:DWORD
	v_mul_u32_u24_sdwa v6, v6, s61 dst_sel:DWORD dst_unused:UNUSED_PAD src0_sel:WORD_1 src1_sel:DWORD
	s_waitcnt lgkmcnt(3)
	v_pk_fma_f16 v25, v9, v32, v25
	v_pk_fma_f16 v26, v9, v5, v26
	;; [unrolled: 1-line block ×8, first 2 shown]
	v_mul_u32_u24_sdwa v10, v7, s61 dst_sel:DWORD dst_unused:UNUSED_PAD src0_sel:WORD_0 src1_sel:DWORD
	v_mul_u32_u24_sdwa v7, v7, s61 dst_sel:DWORD dst_unused:UNUSED_PAD src0_sel:WORD_1 src1_sel:DWORD
	v_mul_u32_u24_sdwa v29, v8, s61 dst_sel:DWORD dst_unused:UNUSED_PAD src0_sel:WORD_0 src1_sel:DWORD
	v_mul_u32_u24_sdwa v8, v8, s61 dst_sel:DWORD dst_unused:UNUSED_PAD src0_sel:WORD_1 src1_sel:DWORD
	v_pk_fma_f16 v25, v11, v10, v25
	v_pk_fma_f16 v26, v11, v7, v26
	;; [unrolled: 1-line block ×8, first 2 shown]
	ds_read2_b64 v[5:8], v124 offset0:184 offset1:212
	s_waitcnt lgkmcnt(3)
	v_mul_u32_u24_sdwa v28, v13, s61 dst_sel:DWORD dst_unused:UNUSED_PAD src0_sel:WORD_0 src1_sel:DWORD
	v_mul_u32_u24_sdwa v13, v13, s61 dst_sel:DWORD dst_unused:UNUSED_PAD src0_sel:WORD_1 src1_sel:DWORD
	v_mul_u32_u24_sdwa v29, v14, s61 dst_sel:DWORD dst_unused:UNUSED_PAD src0_sel:WORD_0 src1_sel:DWORD
	v_mul_u32_u24_sdwa v14, v14, s61 dst_sel:DWORD dst_unused:UNUSED_PAD src0_sel:WORD_1 src1_sel:DWORD
	s_waitcnt lgkmcnt(0)
	v_pk_fma_f16 v25, v5, v28, v25
	v_pk_fma_f16 v26, v5, v13, v26
	;; [unrolled: 1-line block ×8, first 2 shown]
	v_mul_u32_u24_sdwa v11, v15, s61 dst_sel:DWORD dst_unused:UNUSED_PAD src0_sel:WORD_0 src1_sel:DWORD
	v_mul_u32_u24_sdwa v12, v15, s61 dst_sel:DWORD dst_unused:UNUSED_PAD src0_sel:WORD_1 src1_sel:DWORD
	v_mul_u32_u24_sdwa v13, v16, s61 dst_sel:DWORD dst_unused:UNUSED_PAD src0_sel:WORD_0 src1_sel:DWORD
	v_mul_u32_u24_sdwa v14, v16, s61 dst_sel:DWORD dst_unused:UNUSED_PAD src0_sel:WORD_1 src1_sel:DWORD
	v_pk_fma_f16 v15, v7, v11, v25
	v_pk_fma_f16 v16, v7, v12, v26
	;; [unrolled: 1-line block ×8, first 2 shown]
	ds_read2_b64 v[5:8], v123 offset0:112 offset1:140
	v_mul_u32_u24_sdwa v12, v17, s61 dst_sel:DWORD dst_unused:UNUSED_PAD src0_sel:WORD_0 src1_sel:DWORD
	v_mul_u32_u24_sdwa v13, v17, s61 dst_sel:DWORD dst_unused:UNUSED_PAD src0_sel:WORD_1 src1_sel:DWORD
	v_mul_u32_u24_sdwa v14, v18, s61 dst_sel:DWORD dst_unused:UNUSED_PAD src0_sel:WORD_0 src1_sel:DWORD
	v_mul_u32_u24_sdwa v17, v18, s61 dst_sel:DWORD dst_unused:UNUSED_PAD src0_sel:WORD_1 src1_sel:DWORD
	s_waitcnt lgkmcnt(0)
	v_pk_fma_f16 v15, v5, v12, v15
	v_pk_fma_f16 v16, v5, v13, v16
	;; [unrolled: 1-line block ×8, first 2 shown]
	v_mul_u32_u24_sdwa v11, v19, s61 dst_sel:DWORD dst_unused:UNUSED_PAD src0_sel:WORD_0 src1_sel:DWORD
	v_mul_u32_u24_sdwa v12, v19, s61 dst_sel:DWORD dst_unused:UNUSED_PAD src0_sel:WORD_1 src1_sel:DWORD
	v_mul_u32_u24_sdwa v13, v20, s61 dst_sel:DWORD dst_unused:UNUSED_PAD src0_sel:WORD_0 src1_sel:DWORD
	v_mul_u32_u24_sdwa v14, v20, s61 dst_sel:DWORD dst_unused:UNUSED_PAD src0_sel:WORD_1 src1_sel:DWORD
	v_pk_fma_f16 v15, v7, v11, v15
	v_pk_fma_f16 v16, v7, v12, v16
	;; [unrolled: 1-line block ×8, first 2 shown]
	ds_read2_b64 v[5:8], v122 offset0:40 offset1:68
	v_mul_u32_u24_sdwa v12, v21, s61 dst_sel:DWORD dst_unused:UNUSED_PAD src0_sel:WORD_0 src1_sel:DWORD
	v_mul_u32_u24_sdwa v13, v21, s61 dst_sel:DWORD dst_unused:UNUSED_PAD src0_sel:WORD_1 src1_sel:DWORD
	v_mul_u32_u24_sdwa v14, v22, s61 dst_sel:DWORD dst_unused:UNUSED_PAD src0_sel:WORD_0 src1_sel:DWORD
	v_mul_u32_u24_sdwa v19, v22, s61 dst_sel:DWORD dst_unused:UNUSED_PAD src0_sel:WORD_1 src1_sel:DWORD
	s_waitcnt lgkmcnt(0)
	v_pk_fma_f16 v15, v5, v12, v15
	v_pk_fma_f16 v16, v5, v13, v16
	;; [unrolled: 1-line block ×6, first 2 shown]
	v_mul_u32_u24_sdwa v11, v23, s61 dst_sel:DWORD dst_unused:UNUSED_PAD src0_sel:WORD_0 src1_sel:DWORD
	v_mul_u32_u24_sdwa v12, v23, s61 dst_sel:DWORD dst_unused:UNUSED_PAD src0_sel:WORD_1 src1_sel:DWORD
	v_pk_fma_f16 v17, v5, v14, v17
	v_pk_fma_f16 v5, v5, v19, v18
	;; [unrolled: 1-line block ×6, first 2 shown]
	ds_read_b128 v[9:12], v99 offset:192
	v_mul_u32_u24_sdwa v13, v24, s61 dst_sel:DWORD dst_unused:UNUSED_PAD src0_sel:WORD_0 src1_sel:DWORD
	v_mul_u32_u24_sdwa v14, v24, s61 dst_sel:DWORD dst_unused:UNUSED_PAD src0_sel:WORD_1 src1_sel:DWORD
	v_pk_fma_f16 v17, v7, v13, v17
	v_pk_fma_f16 v20, v7, v14, v5
	;; [unrolled: 1-line block ×4, first 2 shown]
	ds_read2_b64 v[5:8], v122 offset0:96 offset1:124
	ds_read_b128 v[13:16], v99 offset:208
	s_waitcnt lgkmcnt(2)
	v_mul_u32_u24_sdwa v24, v9, s61 dst_sel:DWORD dst_unused:UNUSED_PAD src0_sel:WORD_0 src1_sel:DWORD
	v_mul_u32_u24_sdwa v9, v9, s61 dst_sel:DWORD dst_unused:UNUSED_PAD src0_sel:WORD_1 src1_sel:DWORD
	v_mul_u32_u24_sdwa v25, v10, s61 dst_sel:DWORD dst_unused:UNUSED_PAD src0_sel:WORD_0 src1_sel:DWORD
	v_mul_u32_u24_sdwa v10, v10, s61 dst_sel:DWORD dst_unused:UNUSED_PAD src0_sel:WORD_1 src1_sel:DWORD
	s_waitcnt lgkmcnt(1)
	v_pk_fma_f16 v18, v5, v24, v18
	v_pk_fma_f16 v19, v5, v9, v19
	v_pk_fma_f16 v17, v5, v25, v17
	v_pk_fma_f16 v5, v5, v10, v20
	v_pk_fma_f16 v20, v6, v24, v21
	v_pk_fma_f16 v9, v6, v9, v22
	v_pk_fma_f16 v0, v6, v25, v0
	v_pk_fma_f16 v6, v6, v10, v23
	v_mul_u32_u24_sdwa v10, v11, s61 dst_sel:DWORD dst_unused:UNUSED_PAD src0_sel:WORD_0 src1_sel:DWORD
	v_mul_u32_u24_sdwa v11, v11, s61 dst_sel:DWORD dst_unused:UNUSED_PAD src0_sel:WORD_1 src1_sel:DWORD
	v_mul_u32_u24_sdwa v21, v12, s61 dst_sel:DWORD dst_unused:UNUSED_PAD src0_sel:WORD_0 src1_sel:DWORD
	v_mul_u32_u24_sdwa v12, v12, s61 dst_sel:DWORD dst_unused:UNUSED_PAD src0_sel:WORD_1 src1_sel:DWORD
	v_pk_fma_f16 v18, v7, v10, v18
	v_pk_fma_f16 v19, v7, v11, v19
	;; [unrolled: 1-line block ×8, first 2 shown]
	ds_read2_b64 v[5:8], v122 offset0:152 offset1:180
	s_waitcnt lgkmcnt(1)
	v_mul_u32_u24_sdwa v12, v13, s61 dst_sel:DWORD dst_unused:UNUSED_PAD src0_sel:WORD_0 src1_sel:DWORD
	v_mul_u32_u24_sdwa v13, v13, s61 dst_sel:DWORD dst_unused:UNUSED_PAD src0_sel:WORD_1 src1_sel:DWORD
	v_mul_u32_u24_sdwa v20, v14, s61 dst_sel:DWORD dst_unused:UNUSED_PAD src0_sel:WORD_0 src1_sel:DWORD
	v_mul_u32_u24_sdwa v14, v14, s61 dst_sel:DWORD dst_unused:UNUSED_PAD src0_sel:WORD_1 src1_sel:DWORD
	s_waitcnt lgkmcnt(0)
	v_pk_fma_f16 v18, v5, v12, v18
	v_pk_fma_f16 v19, v5, v13, v19
	;; [unrolled: 1-line block ×6, first 2 shown]
	v_mul_u32_u24_sdwa v11, v15, s61 dst_sel:DWORD dst_unused:UNUSED_PAD src0_sel:WORD_0 src1_sel:DWORD
	v_mul_u32_u24_sdwa v12, v15, s61 dst_sel:DWORD dst_unused:UNUSED_PAD src0_sel:WORD_1 src1_sel:DWORD
	v_pk_fma_f16 v17, v5, v20, v17
	v_pk_fma_f16 v5, v5, v14, v22
	;; [unrolled: 1-line block ×6, first 2 shown]
	ds_read_b128 v[9:12], v99 offset:224
	v_mul_u32_u24_sdwa v13, v16, s61 dst_sel:DWORD dst_unused:UNUSED_PAD src0_sel:WORD_0 src1_sel:DWORD
	v_mul_u32_u24_sdwa v14, v16, s61 dst_sel:DWORD dst_unused:UNUSED_PAD src0_sel:WORD_1 src1_sel:DWORD
	v_pk_fma_f16 v17, v7, v13, v17
	v_pk_fma_f16 v20, v7, v14, v5
	;; [unrolled: 1-line block ×4, first 2 shown]
	ds_read2_b64 v[5:8], v122 offset0:208 offset1:236
	ds_read_b128 v[13:16], v99 offset:240
	s_waitcnt lgkmcnt(2)
	v_mul_u32_u24_sdwa v24, v9, s61 dst_sel:DWORD dst_unused:UNUSED_PAD src0_sel:WORD_0 src1_sel:DWORD
	v_mul_u32_u24_sdwa v9, v9, s61 dst_sel:DWORD dst_unused:UNUSED_PAD src0_sel:WORD_1 src1_sel:DWORD
	v_mul_u32_u24_sdwa v25, v10, s61 dst_sel:DWORD dst_unused:UNUSED_PAD src0_sel:WORD_0 src1_sel:DWORD
	v_mul_u32_u24_sdwa v10, v10, s61 dst_sel:DWORD dst_unused:UNUSED_PAD src0_sel:WORD_1 src1_sel:DWORD
	s_waitcnt lgkmcnt(1)
	v_pk_fma_f16 v18, v5, v24, v18
	v_pk_fma_f16 v19, v5, v9, v19
	;; [unrolled: 1-line block ×8, first 2 shown]
	v_mul_u32_u24_sdwa v10, v11, s61 dst_sel:DWORD dst_unused:UNUSED_PAD src0_sel:WORD_0 src1_sel:DWORD
	v_mul_u32_u24_sdwa v11, v11, s61 dst_sel:DWORD dst_unused:UNUSED_PAD src0_sel:WORD_1 src1_sel:DWORD
	v_mul_u32_u24_sdwa v21, v12, s61 dst_sel:DWORD dst_unused:UNUSED_PAD src0_sel:WORD_0 src1_sel:DWORD
	v_mul_u32_u24_sdwa v12, v12, s61 dst_sel:DWORD dst_unused:UNUSED_PAD src0_sel:WORD_1 src1_sel:DWORD
	v_pk_fma_f16 v18, v7, v10, v18
	v_pk_fma_f16 v19, v7, v11, v19
	;; [unrolled: 1-line block ×8, first 2 shown]
	ds_read2_b64 v[5:8], v112 offset0:8 offset1:36
	s_waitcnt lgkmcnt(0)
	s_barrier
	s_load_dword s14, s[36:37], 0x4
	v_mul_u32_u24_sdwa v12, v13, s61 dst_sel:DWORD dst_unused:UNUSED_PAD src0_sel:WORD_0 src1_sel:DWORD
	v_mul_u32_u24_sdwa v13, v13, s61 dst_sel:DWORD dst_unused:UNUSED_PAD src0_sel:WORD_1 src1_sel:DWORD
	v_mul_u32_u24_sdwa v20, v14, s61 dst_sel:DWORD dst_unused:UNUSED_PAD src0_sel:WORD_0 src1_sel:DWORD
	v_mul_u32_u24_sdwa v14, v14, s61 dst_sel:DWORD dst_unused:UNUSED_PAD src0_sel:WORD_1 src1_sel:DWORD
	s_waitcnt lgkmcnt(0)
	s_lshl_b32 s14, s14, 5
	v_pk_fma_f16 v18, v5, v12, v18
	v_pk_fma_f16 v19, v5, v13, v19
	;; [unrolled: 1-line block ×8, first 2 shown]
	v_mul_u32_u24_sdwa v11, v15, s61 dst_sel:DWORD dst_unused:UNUSED_PAD src0_sel:WORD_0 src1_sel:DWORD
	v_mul_u32_u24_sdwa v12, v15, s61 dst_sel:DWORD dst_unused:UNUSED_PAD src0_sel:WORD_1 src1_sel:DWORD
	v_mul_u32_u24_sdwa v13, v16, s61 dst_sel:DWORD dst_unused:UNUSED_PAD src0_sel:WORD_0 src1_sel:DWORD
	v_mul_u32_u24_sdwa v14, v16, s61 dst_sel:DWORD dst_unused:UNUSED_PAD src0_sel:WORD_1 src1_sel:DWORD
	s_add_i32 s6, s14, s6
	v_pk_fma_f16 v111, v7, v11, v18
	v_pk_fma_f16 v121, v7, v12, v19
	;; [unrolled: 1-line block ×7, first 2 shown]
	s_cmp_ge_i32 s6, s56
	v_pk_fma_f16 v91, v8, v14, v6
	s_cbranch_scc1 .LBB21_38
; %bb.30:                               ;   in Loop: Header=BB21_11 Depth=1
	v_mov_b32_e32 v7, v1
	v_mov_b32_e32 v8, v2
	;; [unrolled: 1-line block ×9, first 2 shown]
	s_branch .LBB21_11
.LBB21_31:                              ;   in Loop: Header=BB21_11 Depth=1
	buffer_load_dword v3, off, s[64:67], 0 offset:56 ; 4-byte Folded Reload
	buffer_load_dword v4, off, s[64:67], 0 offset:60 ; 4-byte Folded Reload
	v_mov_b32_e32 v2, s19
	buffer_load_dword v0, off, s[64:67], 0 offset:20 ; 4-byte Folded Reload
	s_waitcnt vmcnt(2)
	v_add_co_u32_e64 v1, s[14:15], s18, v3
	s_waitcnt vmcnt(1)
	v_addc_co_u32_e64 v2, s[14:15], v2, v4, s[14:15]
	global_load_dwordx4 v[1:4], v[1:2], off offset:96
	s_waitcnt vmcnt(0)
	ds_write_b128 v0, v[1:4]
	s_or_b64 exec, exec, s[16:17]
	s_and_saveexec_b64 s[16:17], s[2:3]
	s_cbranch_execz .LBB21_13
.LBB21_32:                              ;   in Loop: Header=BB21_11 Depth=1
	buffer_load_dword v2, off, s[64:67], 0 offset:64 ; 4-byte Folded Reload
	buffer_load_dword v3, off, s[64:67], 0 offset:68 ; 4-byte Folded Reload
	;; [unrolled: 1-line block ×3, first 2 shown]
	v_mov_b32_e32 v1, s19
	s_waitcnt vmcnt(2)
	v_add_co_u32_e64 v2, s[14:15], s18, v2
	s_waitcnt vmcnt(1)
	v_addc_co_u32_e64 v3, s[14:15], v1, v3, s[14:15]
	s_waitcnt vmcnt(0)
	v_add_co_u32_e64 v1, s[14:15], v2, v0
	v_addc_co_u32_e64 v2, s[14:15], 0, v3, s[14:15]
	global_load_dwordx4 v[1:4], v[1:2], off offset:64
	s_nop 0
	buffer_load_dword v0, off, s[64:67], 0 offset:24 ; 4-byte Folded Reload
	s_waitcnt vmcnt(0)
	ds_write_b128 v0, v[1:4]
	s_or_b64 exec, exec, s[16:17]
	s_and_saveexec_b64 s[16:17], s[30:31]
	s_cbranch_execnz .LBB21_14
	s_branch .LBB21_15
.LBB21_33:                              ;   in Loop: Header=BB21_11 Depth=1
	buffer_load_dword v11, off, s[64:67], 0 offset:56 ; 4-byte Folded Reload
	buffer_load_dword v12, off, s[64:67], 0 offset:60 ; 4-byte Folded Reload
	v_mov_b32_e32 v10, s19
	buffer_load_dword v0, off, s[64:67], 0 offset:20 ; 4-byte Folded Reload
	s_waitcnt vmcnt(2)
	v_add_co_u32_e64 v9, s[14:15], s18, v11
	s_waitcnt vmcnt(1)
	v_addc_co_u32_e64 v10, s[14:15], v10, v12, s[14:15]
	global_load_dwordx4 v[9:12], v[9:10], off offset:208
	s_waitcnt vmcnt(0)
	ds_write_b128 v0, v[9:12]
	s_or_b64 exec, exec, s[16:17]
	s_and_saveexec_b64 s[16:17], s[2:3]
	s_cbranch_execz .LBB21_17
.LBB21_34:                              ;   in Loop: Header=BB21_11 Depth=1
	buffer_load_dword v10, off, s[64:67], 0 offset:64 ; 4-byte Folded Reload
	buffer_load_dword v11, off, s[64:67], 0 offset:68 ; 4-byte Folded Reload
	;; [unrolled: 1-line block ×3, first 2 shown]
	v_mov_b32_e32 v9, s19
	s_waitcnt vmcnt(2)
	v_add_co_u32_e64 v10, s[14:15], s18, v10
	s_waitcnt vmcnt(1)
	v_addc_co_u32_e64 v11, s[14:15], v9, v11, s[14:15]
	s_waitcnt vmcnt(0)
	v_add_co_u32_e64 v9, s[14:15], v10, v0
	v_addc_co_u32_e64 v10, s[14:15], 0, v11, s[14:15]
	global_load_dwordx4 v[9:12], v[9:10], off offset:176
	s_nop 0
	buffer_load_dword v0, off, s[64:67], 0 offset:24 ; 4-byte Folded Reload
	s_waitcnt vmcnt(0)
	ds_write_b128 v0, v[9:12]
	s_or_b64 exec, exec, s[16:17]
	s_and_saveexec_b64 s[16:17], s[30:31]
	s_cbranch_execnz .LBB21_18
	s_branch .LBB21_19
.LBB21_35:                              ;   in Loop: Header=BB21_11 Depth=1
	buffer_load_dword v74, off, s[64:67], 0 offset:80 ; 4-byte Folded Reload
	buffer_load_dword v75, off, s[64:67], 0 offset:84 ; 4-byte Folded Reload
	buffer_load_dword v0, off, s[64:67], 0 offset:4 ; 4-byte Folded Reload
	v_mov_b32_e32 v100, s63
	s_waitcnt vmcnt(2)
	v_add_co_u32_e64 v101, s[34:35], s62, v74
	s_waitcnt vmcnt(1)
	v_addc_co_u32_e64 v102, s[34:35], v100, v75, s[34:35]
	s_waitcnt vmcnt(0)
	v_add_co_u32_e64 v100, s[34:35], v101, v0
	v_addc_co_u32_e64 v101, s[34:35], 0, v102, s[34:35]
	global_load_dwordx4 v[100:103], v[100:101], off offset:192
	s_nop 0
	buffer_load_dword v0, off, s[64:67], 0 offset:40 ; 4-byte Folded Reload
	s_waitcnt vmcnt(0)
	ds_write_b128 v0, v[100:103]
	s_or_b64 exec, exec, s[38:39]
	s_and_saveexec_b64 s[38:39], s[10:11]
	s_cbranch_execz .LBB21_27
.LBB21_36:                              ;   in Loop: Header=BB21_11 Depth=1
	buffer_load_dword v74, off, s[64:67], 0 offset:88 ; 4-byte Folded Reload
	buffer_load_dword v75, off, s[64:67], 0 offset:92 ; 4-byte Folded Reload
	;; [unrolled: 1-line block ×3, first 2 shown]
	v_mov_b32_e32 v100, s63
	s_waitcnt vmcnt(2)
	v_add_co_u32_e64 v101, s[34:35], s62, v74
	s_waitcnt vmcnt(1)
	v_addc_co_u32_e64 v102, s[34:35], v100, v75, s[34:35]
	s_waitcnt vmcnt(0)
	v_add_co_u32_e64 v100, s[34:35], v101, v0
	v_addc_co_u32_e64 v101, s[34:35], 0, v102, s[34:35]
	global_load_dwordx4 v[100:103], v[100:101], off offset:128
	s_nop 0
	buffer_load_dword v0, off, s[64:67], 0 offset:44 ; 4-byte Folded Reload
	s_waitcnt vmcnt(0)
	ds_write_b128 v0, v[100:103]
	s_or_b64 exec, exec, s[38:39]
	s_and_saveexec_b64 s[38:39], s[12:13]
	s_cbranch_execnz .LBB21_28
	s_branch .LBB21_29
.LBB21_37:
	v_mov_b32_e32 v111, 0
	v_mov_b32_e32 v119, 0
	v_mov_b32_e32 v4, 0xfeffffff
	v_mov_b32_e32 v3, 0xfeffffff
	v_mov_b32_e32 v2, 0xfeffffff
	v_mov_b32_e32 v1, 0xfeffffff
	v_mov_b32_e32 v120, 0
	v_mov_b32_e32 v117, 0
	v_mov_b32_e32 v118, 0
	v_mov_b32_e32 v97, 0
	v_mov_b32_e32 v121, 0
	v_mov_b32_e32 v90, 0
	v_mov_b32_e32 v106, 0
	v_mov_b32_e32 v89, 0
	v_mov_b32_e32 v88, 0
	v_mov_b32_e32 v91, 0
.LBB21_38:
	buffer_load_dword v6, off, s[64:67], 0 offset:12 ; 4-byte Folded Reload
	buffer_load_dword v8, off, s[64:67], 0 offset:16 ; 4-byte Folded Reload
	v_cmp_lt_i32_e32 vcc, v115, v116
	v_cndmask_b32_e32 v0, v92, v115, vcc
	v_lshlrev_b32_e32 v0, 2, v0
	ds_bpermute_b32 v5, v0, v118
	ds_bpermute_b32 v11, v0, v117
	;; [unrolled: 1-line block ×4, first 2 shown]
	s_cmp_lg_u64 s[44:45], 0
	s_waitcnt lgkmcnt(3)
	v_add_f32_e32 v5, v118, v5
	s_waitcnt lgkmcnt(2)
	v_add_f32_e32 v11, v117, v11
	;; [unrolled: 2-line block ×4, first 2 shown]
	s_cselect_b64 s[2:3], -1, 0
	s_cmp_eq_u32 s7, 0
	s_cselect_b64 s[8:9], -1, 0
	s_and_b64 s[2:3], s[8:9], s[2:3]
	s_waitcnt vmcnt(1)
	v_cmp_lt_i32_e32 vcc, v6, v116
	v_cndmask_b32_e32 v6, v92, v6, vcc
	v_lshlrev_b32_e32 v6, 2, v6
	ds_bpermute_b32 v7, v6, v5
	ds_bpermute_b32 v13, v6, v11
	;; [unrolled: 1-line block ×4, first 2 shown]
	s_waitcnt vmcnt(0)
	v_cmp_lt_i32_e32 vcc, v8, v116
	v_cndmask_b32_e32 v8, v92, v8, vcc
	v_lshlrev_b32_e32 v8, 2, v8
	s_waitcnt lgkmcnt(3)
	v_add_f32_e32 v5, v5, v7
	s_waitcnt lgkmcnt(2)
	v_add_f32_e32 v11, v11, v13
	s_waitcnt lgkmcnt(1)
	v_add_f32_e32 v12, v12, v14
	s_waitcnt lgkmcnt(0)
	v_add_f32_e32 v0, v0, v6
	ds_bpermute_b32 v7, v8, v5
	ds_bpermute_b32 v13, v8, v11
	ds_bpermute_b32 v14, v8, v12
	ds_bpermute_b32 v6, v8, v0
	v_cmp_lt_i32_e32 vcc, v113, v116
	v_cndmask_b32_e32 v9, v92, v113, vcc
	v_lshlrev_b32_e32 v9, 2, v9
	s_waitcnt lgkmcnt(3)
	v_add_f32_e32 v5, v5, v7
	s_waitcnt lgkmcnt(2)
	v_add_f32_e32 v8, v11, v13
	s_waitcnt lgkmcnt(1)
	v_add_f32_e32 v12, v12, v14
	s_waitcnt lgkmcnt(0)
	v_add_f32_e32 v0, v0, v6
	ds_bpermute_b32 v7, v9, v5
	ds_bpermute_b32 v11, v9, v8
	ds_bpermute_b32 v13, v9, v12
	ds_bpermute_b32 v6, v9, v0
	;; [unrolled: 15-line block ×3, first 2 shown]
	s_and_b64 vcc, exec, s[2:3]
	s_waitcnt lgkmcnt(3)
	v_add_f32_e32 v5, v5, v7
	s_waitcnt lgkmcnt(2)
	v_add_f32_e32 v6, v8, v9
	;; [unrolled: 2-line block ×4, first 2 shown]
	s_cbranch_vccz .LBB21_41
; %bb.39:
	s_ashr_i32 s43, s42, 31
	s_lshl_b64 s[2:3], s[42:43], 2
	s_add_u32 s2, s44, s2
	s_addc_u32 s3, s45, s3
	v_mov_b32_e32 v0, 0
	global_load_dwordx4 v[9:12], v0, s[2:3]
	v_max_f32_e32 v0, v1, v1
	v_max_f32_e32 v14, v2, v2
	s_mov_b32 s6, 0x3fb8aa3b
	v_max_f32_e32 v15, v3, v3
	s_mov_b32 s3, 0xc2ce8ed0
	s_mov_b32 s2, 0x42b17218
	v_mov_b32_e32 v17, 0x7f800000
	s_waitcnt vmcnt(0)
	v_max_f32_e32 v13, v9, v9
	v_max_f32_e32 v13, v0, v13
	;; [unrolled: 1-line block ×3, first 2 shown]
	v_sub_f32_e32 v0, v1, v13
	v_max_f32_e32 v14, v14, v16
	v_sub_f32_e32 v1, v9, v13
	v_mul_f32_e32 v9, 0x3fb8aa3b, v0
	v_max_f32_e32 v18, v11, v11
	v_sub_f32_e32 v2, v2, v14
	v_mul_f32_e32 v16, 0x3fb8aa3b, v1
	v_fma_f32 v22, v0, s6, -v9
	v_rndne_f32_e32 v23, v9
	v_max_f32_e32 v15, v15, v18
	v_sub_f32_e32 v10, v10, v14
	v_mul_f32_e32 v18, 0x3fb8aa3b, v2
	v_fma_f32 v24, v1, s6, -v16
	v_rndne_f32_e32 v25, v16
	v_fmac_f32_e32 v22, 0x32a5705f, v0
	v_sub_f32_e32 v9, v9, v23
	v_mul_f32_e32 v19, 0x3fb8aa3b, v10
	v_fma_f32 v26, v2, s6, -v18
	v_rndne_f32_e32 v27, v18
	v_fmac_f32_e32 v24, 0x32a5705f, v1
	v_sub_f32_e32 v16, v16, v25
	v_add_f32_e32 v9, v9, v22
	v_fma_f32 v28, v10, s6, -v19
	v_rndne_f32_e32 v29, v19
	v_cvt_i32_f32_e32 v23, v23
	v_fmac_f32_e32 v26, 0x32a5705f, v2
	v_sub_f32_e32 v18, v18, v27
	v_add_f32_e32 v16, v16, v24
	v_exp_f32_e32 v9, v9
	v_cvt_i32_f32_e32 v25, v25
	v_fmac_f32_e32 v28, 0x32a5705f, v10
	v_sub_f32_e32 v19, v19, v29
	v_add_f32_e32 v18, v18, v26
	v_exp_f32_e32 v16, v16
	v_cvt_i32_f32_e32 v27, v27
	v_add_f32_e32 v19, v19, v28
	v_exp_f32_e32 v18, v18
	v_cvt_i32_f32_e32 v29, v29
	v_exp_f32_e32 v19, v19
	v_ldexp_f32 v9, v9, v23
	v_cmp_ngt_f32_e32 vcc, s3, v0
	v_ldexp_f32 v16, v16, v25
	v_cndmask_b32_e32 v9, 0, v9, vcc
	v_cmp_ngt_f32_e32 vcc, s3, v1
	v_sub_f32_e32 v3, v3, v15
	v_ldexp_f32 v18, v18, v27
	v_cndmask_b32_e32 v16, 0, v16, vcc
	v_cmp_ngt_f32_e32 vcc, s3, v2
	v_mul_f32_e32 v20, 0x3fb8aa3b, v3
	v_ldexp_f32 v19, v19, v29
	v_cndmask_b32_e32 v18, 0, v18, vcc
	v_cmp_ngt_f32_e32 vcc, s3, v10
	v_sub_f32_e32 v11, v11, v15
	v_fma_f32 v30, v3, s6, -v20
	v_rndne_f32_e32 v31, v20
	v_cndmask_b32_e32 v19, 0, v19, vcc
	v_cmp_nlt_f32_e32 vcc, s2, v0
	v_mul_f32_e32 v21, 0x3fb8aa3b, v11
	v_fmac_f32_e32 v30, 0x32a5705f, v3
	v_sub_f32_e32 v20, v20, v31
	v_cndmask_b32_e32 v0, v17, v9, vcc
	v_cmp_nlt_f32_e32 vcc, s2, v1
	v_fma_f32 v32, v11, s6, -v21
	v_rndne_f32_e32 v33, v21
	v_add_f32_e32 v20, v20, v30
	v_cndmask_b32_e32 v9, v17, v16, vcc
	v_cmp_nlt_f32_e32 vcc, s2, v2
	v_cvt_i32_f32_e32 v31, v31
	v_fmac_f32_e32 v32, 0x32a5705f, v11
	v_sub_f32_e32 v21, v21, v33
	v_exp_f32_e32 v20, v20
	v_cndmask_b32_e32 v1, v17, v18, vcc
	v_cvt_f16_f32_e32 v2, v0
	v_add_f32_e32 v21, v21, v32
	v_cvt_f16_f32_e32 v16, v1
	v_cvt_i32_f32_e32 v33, v33
	v_exp_f32_e32 v21, v21
	v_cmp_nlt_f32_e32 vcc, s2, v10
	v_ldexp_f32 v20, v20, v31
	v_cndmask_b32_e32 v10, v17, v19, vcc
	v_fmac_f32_e32 v9, v5, v0
	v_mul_u32_u24_e32 v0, 0x10001, v2
	v_cmp_ngt_f32_e32 vcc, s3, v3
	v_fmac_f32_e32 v10, v6, v1
	v_mul_u32_u24_e32 v1, 0x10001, v16
	v_pk_mul_f16 v111, v111, v0
	v_pk_mul_f16 v97, v97, v0
	v_cndmask_b32_e32 v0, 0, v20, vcc
	v_cmp_nlt_f32_e32 vcc, s2, v3
	v_pk_mul_f16 v121, v121, v1
	v_pk_mul_f16 v90, v90, v1
	v_cndmask_b32_e32 v0, v17, v0, vcc
	v_ldexp_f32 v1, v21, v33
	v_cmp_ngt_f32_e32 vcc, s3, v11
	v_cndmask_b32_e32 v1, 0, v1, vcc
	v_cmp_nlt_f32_e32 vcc, s2, v11
	v_cndmask_b32_e32 v11, v17, v1, vcc
	v_max_f32_e32 v1, v12, v12
	v_max_f32_e32 v2, v4, v4
	;; [unrolled: 1-line block ×3, first 2 shown]
	v_sub_f32_e32 v1, v4, v16
	v_mul_f32_e32 v2, 0x3fb8aa3b, v1
	v_fma_f32 v3, v1, s6, -v2
	v_rndne_f32_e32 v4, v2
	v_fmac_f32_e32 v3, 0x32a5705f, v1
	v_sub_f32_e32 v2, v2, v4
	v_fmac_f32_e32 v11, v7, v0
	v_cvt_f16_f32_e32 v0, v0
	v_add_f32_e32 v2, v2, v3
	v_exp_f32_e32 v2, v2
	v_cvt_i32_f32_e32 v3, v4
	v_mul_u32_u24_e32 v0, 0x10001, v0
	v_pk_mul_f16 v106, v106, v0
	v_pk_mul_f16 v89, v89, v0
	v_ldexp_f32 v0, v2, v3
	v_sub_f32_e32 v2, v12, v16
	v_mul_f32_e32 v3, 0x3fb8aa3b, v2
	v_fma_f32 v4, v2, s6, -v3
	v_rndne_f32_e32 v5, v3
	v_fmac_f32_e32 v4, 0x32a5705f, v2
	v_sub_f32_e32 v3, v3, v5
	v_add_f32_e32 v3, v3, v4
	v_exp_f32_e32 v3, v3
	v_cvt_i32_f32_e32 v4, v5
	v_cmp_ngt_f32_e32 vcc, s3, v1
	v_cndmask_b32_e32 v0, 0, v0, vcc
	v_cmp_nlt_f32_e32 vcc, s2, v1
	v_cndmask_b32_e32 v0, v17, v0, vcc
	v_ldexp_f32 v1, v3, v4
	v_cvt_f16_f32_e32 v3, v0
	v_cmp_ngt_f32_e32 vcc, s3, v2
	v_cndmask_b32_e32 v1, 0, v1, vcc
	v_cmp_nlt_f32_e32 vcc, s2, v2
	v_cndmask_b32_e32 v12, v17, v1, vcc
	v_fmac_f32_e32 v12, v8, v0
	v_mul_u32_u24_e32 v0, 0x10001, v3
	v_mov_b32_e32 v1, v13
	v_pk_mul_f16 v88, v88, v0
	v_pk_mul_f16 v91, v91, v0
	v_mov_b32_e32 v2, v14
	v_mov_b32_e32 v3, v15
	;; [unrolled: 1-line block ×7, first 2 shown]
	buffer_load_dword v17, off, s[64:67], 0 offset:104 ; 4-byte Folded Reload
	s_waitcnt vmcnt(0)
	v_cmp_gt_i32_e32 vcc, s54, v17
	s_and_saveexec_b64 s[2:3], vcc
	s_cbranch_execnz .LBB21_42
.LBB21_40:
	s_endpgm
.LBB21_41:
	v_mov_b32_e32 v12, v8
	v_mov_b32_e32 v11, v7
	;; [unrolled: 1-line block ×4, first 2 shown]
	buffer_load_dword v17, off, s[64:67], 0 offset:104 ; 4-byte Folded Reload
	s_waitcnt vmcnt(0)
	v_cmp_gt_i32_e32 vcc, s54, v17
	s_and_saveexec_b64 s[2:3], vcc
	s_cbranch_execz .LBB21_40
.LBB21_42:
	s_load_dword s6, s[4:5], 0xd4
	v_mov_b32_e32 v14, 1.0
	s_waitcnt lgkmcnt(0)
	s_cmp_lg_u32 s6, 1
	s_cselect_b64 s[2:3], -1, 0
	s_cmp_eq_u32 s6, 1
	s_cselect_b64 s[8:9], -1, 0
	s_and_b64 vcc, exec, s[2:3]
	s_cbranch_vccnz .LBB21_44
; %bb.43:
	v_div_scale_f32 v0, s[4:5], v5, v5, 1.0
	v_div_scale_f32 v13, vcc, 1.0, v5, 1.0
	v_rcp_f32_e32 v14, v0
	v_fma_f32 v15, -v0, v14, 1.0
	v_fmac_f32_e32 v14, v15, v14
	v_mul_f32_e32 v15, v13, v14
	v_fma_f32 v16, -v0, v15, v13
	v_fmac_f32_e32 v15, v16, v14
	v_fma_f32 v0, -v0, v15, v13
	v_div_fmas_f32 v0, v0, v14, v15
	v_div_fixup_f32 v14, v0, v5, 1.0
.LBB21_44:
	s_mul_i32 s33, s33, s54
	v_add_u32_e32 v0, s33, v17
	v_mul_lo_u32 v0, v0, s55
	v_add_u32_e32 v0, s42, v0
	v_mul_lo_u32 v5, s6, v0
	v_add_u32_e32 v13, s7, v5
	s_and_saveexec_b64 s[4:5], s[0:1]
	s_cbranch_execz .LBB21_46
; %bb.45:
	buffer_load_dword v15, off, s[64:67], 0 offset:108 ; 4-byte Folded Reload
	buffer_load_dword v16, off, s[64:67], 0 offset:112 ; 4-byte Folded Reload
	s_movk_i32 s10, 0x70
	v_cvt_f32_f16_sdwa v20, v111 dst_sel:DWORD dst_unused:UNUSED_PAD src0_sel:WORD_1
	v_cvt_f32_f16_e32 v21, v111
	s_waitcnt vmcnt(1)
	v_lshlrev_b32_e32 v0, 2, v15
	s_waitcnt vmcnt(0)
	v_mad_u64_u32 v[15:16], s[10:11], v13, s10, v[0:1]
	v_mov_b32_e32 v16, 0
	v_mov_b32_e32 v0, s49
	v_lshlrev_b64 v[15:16], 2, v[15:16]
	v_add_co_u32_e32 v18, vcc, s48, v15
	v_addc_co_u32_e32 v19, vcc, v0, v16, vcc
	v_cvt_f32_f16_sdwa v0, v97 dst_sel:DWORD dst_unused:UNUSED_PAD src0_sel:WORD_1
	v_cvt_f32_f16_e32 v15, v97
	v_mul_f32_e32 v17, v14, v0
	v_mul_f32_e32 v16, v14, v15
	;; [unrolled: 1-line block ×4, first 2 shown]
	global_store_dwordx4 v[18:19], v[14:17], off
.LBB21_46:
	s_or_b64 exec, exec, s[4:5]
	buffer_load_dword v14, off, s[64:67], 0 offset:108 ; 4-byte Folded Reload
	buffer_load_dword v15, off, s[64:67], 0 offset:112 ; 4-byte Folded Reload
	s_waitcnt vmcnt(1)
	v_cmp_eq_u32_e32 vcc, 0, v14
	s_and_b64 s[4:5], vcc, s[2:3]
	s_and_saveexec_b64 s[2:3], s[4:5]
	s_cbranch_execz .LBB21_48
; %bb.47:
	v_ashrrev_i32_e32 v14, 31, v13
	v_lshlrev_b64 v[13:14], 3, v[13:14]
	v_mov_b32_e32 v0, s51
	v_add_co_u32_e32 v13, vcc, s50, v13
	v_addc_co_u32_e32 v14, vcc, v0, v14, vcc
	v_mov_b32_e32 v0, v1
	v_mov_b32_e32 v1, v9
	global_store_dwordx2 v[13:14], v[0:1], off
.LBB21_48:
	s_or_b64 exec, exec, s[2:3]
	buffer_load_dword v20, off, s[64:67], 0 offset:116 ; 4-byte Folded Reload
	buffer_load_dword v21, off, s[64:67], 0 offset:120 ; 4-byte Folded Reload
	v_cndmask_b32_e64 v0, 0, 1, s[8:9]
	v_cmp_ne_u32_e64 s[2:3], 1, v0
	s_andn2_b64 vcc, exec, s[8:9]
	v_mov_b32_e32 v1, 1.0
	s_cbranch_vccz .LBB21_57
; %bb.49:
	v_add_u32_e32 v5, s6, v5
	v_add_u32_e32 v0, s7, v5
	s_and_saveexec_b64 s[8:9], s[0:1]
	s_cbranch_execnz .LBB21_58
.LBB21_50:
	s_or_b64 exec, exec, s[8:9]
	s_and_saveexec_b64 s[8:9], s[4:5]
	s_cbranch_execnz .LBB21_59
.LBB21_51:
	s_or_b64 exec, exec, s[8:9]
	s_and_b64 vcc, exec, s[2:3]
	v_mov_b32_e32 v1, 1.0
	s_cbranch_vccz .LBB21_60
.LBB21_52:
	v_add_u32_e32 v2, s6, v5
	v_add_u32_e32 v0, s7, v2
	s_and_saveexec_b64 s[8:9], s[0:1]
	s_cbranch_execnz .LBB21_61
.LBB21_53:
	s_or_b64 exec, exec, s[8:9]
	s_and_saveexec_b64 s[8:9], s[4:5]
	s_cbranch_execnz .LBB21_62
.LBB21_54:
	s_or_b64 exec, exec, s[8:9]
	s_and_b64 vcc, exec, s[2:3]
	v_mov_b32_e32 v1, 1.0
	s_cbranch_vccz .LBB21_63
.LBB21_55:
	s_add_i32 s7, s7, s6
	v_add_u32_e32 v0, s7, v2
	s_and_saveexec_b64 s[2:3], s[0:1]
	s_cbranch_execnz .LBB21_64
.LBB21_56:
	s_or_b64 exec, exec, s[2:3]
	s_and_b64 exec, exec, s[4:5]
	s_cbranch_execz .LBB21_40
	s_branch .LBB21_65
.LBB21_57:
	v_div_scale_f32 v0, s[8:9], v6, v6, 1.0
	v_div_scale_f32 v1, vcc, 1.0, v6, 1.0
	v_rcp_f32_e32 v9, v0
	v_fma_f32 v13, -v0, v9, 1.0
	v_fmac_f32_e32 v9, v13, v9
	v_mul_f32_e32 v13, v1, v9
	v_fma_f32 v14, -v0, v13, v1
	v_fmac_f32_e32 v13, v14, v9
	v_fma_f32 v0, -v0, v13, v1
	v_div_fmas_f32 v0, v0, v9, v13
	v_div_fixup_f32 v1, v0, v6, 1.0
	v_add_u32_e32 v5, s6, v5
	v_add_u32_e32 v0, s7, v5
	s_and_saveexec_b64 s[8:9], s[0:1]
	s_cbranch_execz .LBB21_50
.LBB21_58:
	s_movk_i32 s10, 0x70
	s_waitcnt vmcnt(0)
	v_mad_u64_u32 v[13:14], s[10:11], v0, s10, v[20:21]
	v_mov_b32_e32 v14, 0
	v_mov_b32_e32 v6, s49
	v_lshlrev_b64 v[13:14], 2, v[13:14]
	v_cvt_f32_f16_e32 v9, v90
	v_add_co_u32_e32 v17, vcc, s48, v13
	v_addc_co_u32_e32 v18, vcc, v6, v14, vcc
	v_cvt_f32_f16_sdwa v6, v90 dst_sel:DWORD dst_unused:UNUSED_PAD src0_sel:WORD_1
	v_cvt_f32_f16_sdwa v13, v121 dst_sel:DWORD dst_unused:UNUSED_PAD src0_sel:WORD_1
	v_cvt_f32_f16_e32 v19, v121
	v_mul_f32_e32 v15, v1, v9
	v_mul_f32_e32 v16, v1, v6
	;; [unrolled: 1-line block ×4, first 2 shown]
	global_store_dwordx4 v[17:18], v[13:16], off
	s_or_b64 exec, exec, s[8:9]
	s_and_saveexec_b64 s[8:9], s[4:5]
	s_cbranch_execz .LBB21_51
.LBB21_59:
	v_ashrrev_i32_e32 v1, 31, v0
	v_lshlrev_b64 v[0:1], 3, v[0:1]
	v_mov_b32_e32 v6, s51
	v_add_co_u32_e32 v0, vcc, s50, v0
	v_addc_co_u32_e32 v1, vcc, v6, v1, vcc
	v_mov_b32_e32 v9, v2
	global_store_dwordx2 v[0:1], v[9:10], off
	s_or_b64 exec, exec, s[8:9]
	s_and_b64 vcc, exec, s[2:3]
	v_mov_b32_e32 v1, 1.0
	s_cbranch_vccnz .LBB21_52
.LBB21_60:
	v_div_scale_f32 v0, s[8:9], v7, v7, 1.0
	v_div_scale_f32 v1, vcc, 1.0, v7, 1.0
	v_rcp_f32_e32 v2, v0
	v_fma_f32 v6, -v0, v2, 1.0
	v_fmac_f32_e32 v2, v6, v2
	v_mul_f32_e32 v6, v1, v2
	v_fma_f32 v9, -v0, v6, v1
	v_fmac_f32_e32 v6, v9, v2
	v_fma_f32 v0, -v0, v6, v1
	v_div_fmas_f32 v0, v0, v2, v6
	v_div_fixup_f32 v1, v0, v7, 1.0
	v_add_u32_e32 v2, s6, v5
	v_add_u32_e32 v0, s7, v2
	s_and_saveexec_b64 s[8:9], s[0:1]
	s_cbranch_execz .LBB21_53
.LBB21_61:
	s_movk_i32 s10, 0x70
	s_waitcnt vmcnt(0)
	v_mad_u64_u32 v[5:6], s[10:11], v0, s10, v[20:21]
	v_mov_b32_e32 v6, 0
	v_mov_b32_e32 v7, s49
	v_lshlrev_b64 v[5:6], 2, v[5:6]
	v_cvt_f32_f16_e32 v9, v89
	v_add_co_u32_e32 v5, vcc, s48, v5
	v_addc_co_u32_e32 v6, vcc, v7, v6, vcc
	v_cvt_f32_f16_sdwa v7, v89 dst_sel:DWORD dst_unused:UNUSED_PAD src0_sel:WORD_1
	v_cvt_f32_f16_sdwa v10, v106 dst_sel:DWORD dst_unused:UNUSED_PAD src0_sel:WORD_1
	v_cvt_f32_f16_e32 v13, v106
	v_mul_f32_e32 v15, v1, v9
	v_mul_f32_e32 v16, v1, v7
	;; [unrolled: 1-line block ×4, first 2 shown]
	global_store_dwordx4 v[5:6], v[13:16], off
	s_or_b64 exec, exec, s[8:9]
	s_and_saveexec_b64 s[8:9], s[4:5]
	s_cbranch_execz .LBB21_54
.LBB21_62:
	v_ashrrev_i32_e32 v1, 31, v0
	v_lshlrev_b64 v[0:1], 3, v[0:1]
	v_mov_b32_e32 v5, s51
	v_add_co_u32_e32 v0, vcc, s50, v0
	v_addc_co_u32_e32 v1, vcc, v5, v1, vcc
	v_mov_b32_e32 v10, v3
	global_store_dwordx2 v[0:1], v[10:11], off
	s_or_b64 exec, exec, s[8:9]
	s_and_b64 vcc, exec, s[2:3]
	v_mov_b32_e32 v1, 1.0
	s_cbranch_vccnz .LBB21_55
.LBB21_63:
	v_div_scale_f32 v0, s[2:3], v8, v8, 1.0
	v_div_scale_f32 v1, vcc, 1.0, v8, 1.0
	v_rcp_f32_e32 v3, v0
	v_fma_f32 v5, -v0, v3, 1.0
	v_fmac_f32_e32 v3, v5, v3
	v_mul_f32_e32 v5, v1, v3
	v_fma_f32 v6, -v0, v5, v1
	v_fmac_f32_e32 v5, v6, v3
	v_fma_f32 v0, -v0, v5, v1
	v_div_fmas_f32 v0, v0, v3, v5
	v_div_fixup_f32 v1, v0, v8, 1.0
	s_add_i32 s7, s7, s6
	v_add_u32_e32 v0, s7, v2
	s_and_saveexec_b64 s[2:3], s[0:1]
	s_cbranch_execz .LBB21_56
.LBB21_64:
	s_movk_i32 s0, 0x70
	s_waitcnt vmcnt(0)
	v_mad_u64_u32 v[2:3], s[0:1], v0, s0, v[20:21]
	v_mov_b32_e32 v3, 0
	v_mov_b32_e32 v5, s49
	v_lshlrev_b64 v[2:3], 2, v[2:3]
	v_cvt_f32_f16_e32 v6, v91
	v_add_co_u32_e32 v2, vcc, s48, v2
	v_addc_co_u32_e32 v3, vcc, v5, v3, vcc
	v_cvt_f32_f16_sdwa v5, v91 dst_sel:DWORD dst_unused:UNUSED_PAD src0_sel:WORD_1
	v_cvt_f32_f16_sdwa v9, v88 dst_sel:DWORD dst_unused:UNUSED_PAD src0_sel:WORD_1
	v_cvt_f32_f16_e32 v10, v88
	v_mul_f32_e32 v7, v1, v6
	v_mul_f32_e32 v8, v1, v5
	;; [unrolled: 1-line block ×4, first 2 shown]
	global_store_dwordx4 v[2:3], v[5:8], off
	s_or_b64 exec, exec, s[2:3]
	s_and_b64 exec, exec, s[4:5]
	s_cbranch_execz .LBB21_40
.LBB21_65:
	v_ashrrev_i32_e32 v1, 31, v0
	v_lshlrev_b64 v[0:1], 3, v[0:1]
	v_mov_b32_e32 v2, s51
	v_add_co_u32_e32 v0, vcc, s50, v0
	v_addc_co_u32_e32 v1, vcc, v2, v1, vcc
	v_mov_b32_e32 v11, v4
	global_store_dwordx2 v[0:1], v[11:12], off
	s_endpgm
	.section	.rodata,"a",@progbits
	.p2align	6, 0x0
	.amdhsa_kernel _ZL15flash_attn_tileILi112ELi112ELi8ELi4ELb0EEvPKcS1_S1_S1_S1_PKiPfP15HIP_vector_typeIfLj2EEffffjfiS5_IjLj3EEiiiiiiiiiiiliiliiiiil
		.amdhsa_group_segment_fixed_size 13376
		.amdhsa_private_segment_fixed_size 128
		.amdhsa_kernarg_size 464
		.amdhsa_user_sgpr_count 6
		.amdhsa_user_sgpr_private_segment_buffer 1
		.amdhsa_user_sgpr_dispatch_ptr 0
		.amdhsa_user_sgpr_queue_ptr 0
		.amdhsa_user_sgpr_kernarg_segment_ptr 1
		.amdhsa_user_sgpr_dispatch_id 0
		.amdhsa_user_sgpr_flat_scratch_init 0
		.amdhsa_user_sgpr_private_segment_size 0
		.amdhsa_uses_dynamic_stack 0
		.amdhsa_system_sgpr_private_segment_wavefront_offset 1
		.amdhsa_system_sgpr_workgroup_id_x 1
		.amdhsa_system_sgpr_workgroup_id_y 1
		.amdhsa_system_sgpr_workgroup_id_z 1
		.amdhsa_system_sgpr_workgroup_info 0
		.amdhsa_system_vgpr_workitem_id 1
		.amdhsa_next_free_vgpr 128
		.amdhsa_next_free_sgpr 98
		.amdhsa_reserve_vcc 1
		.amdhsa_reserve_flat_scratch 0
		.amdhsa_float_round_mode_32 0
		.amdhsa_float_round_mode_16_64 0
		.amdhsa_float_denorm_mode_32 3
		.amdhsa_float_denorm_mode_16_64 3
		.amdhsa_dx10_clamp 1
		.amdhsa_ieee_mode 1
		.amdhsa_fp16_overflow 0
		.amdhsa_exception_fp_ieee_invalid_op 0
		.amdhsa_exception_fp_denorm_src 0
		.amdhsa_exception_fp_ieee_div_zero 0
		.amdhsa_exception_fp_ieee_overflow 0
		.amdhsa_exception_fp_ieee_underflow 0
		.amdhsa_exception_fp_ieee_inexact 0
		.amdhsa_exception_int_div_zero 0
	.end_amdhsa_kernel
	.section	.text._ZL15flash_attn_tileILi112ELi112ELi8ELi4ELb0EEvPKcS1_S1_S1_S1_PKiPfP15HIP_vector_typeIfLj2EEffffjfiS5_IjLj3EEiiiiiiiiiiiliiliiiiil,"axG",@progbits,_ZL15flash_attn_tileILi112ELi112ELi8ELi4ELb0EEvPKcS1_S1_S1_S1_PKiPfP15HIP_vector_typeIfLj2EEffffjfiS5_IjLj3EEiiiiiiiiiiiliiliiiiil,comdat
.Lfunc_end21:
	.size	_ZL15flash_attn_tileILi112ELi112ELi8ELi4ELb0EEvPKcS1_S1_S1_S1_PKiPfP15HIP_vector_typeIfLj2EEffffjfiS5_IjLj3EEiiiiiiiiiiiliiliiiiil, .Lfunc_end21-_ZL15flash_attn_tileILi112ELi112ELi8ELi4ELb0EEvPKcS1_S1_S1_S1_PKiPfP15HIP_vector_typeIfLj2EEffffjfiS5_IjLj3EEiiiiiiiiiiiliiliiiiil
                                        ; -- End function
	.set _ZL15flash_attn_tileILi112ELi112ELi8ELi4ELb0EEvPKcS1_S1_S1_S1_PKiPfP15HIP_vector_typeIfLj2EEffffjfiS5_IjLj3EEiiiiiiiiiiiliiliiiiil.num_vgpr, 128
	.set _ZL15flash_attn_tileILi112ELi112ELi8ELi4ELb0EEvPKcS1_S1_S1_S1_PKiPfP15HIP_vector_typeIfLj2EEffffjfiS5_IjLj3EEiiiiiiiiiiiliiliiiiil.num_agpr, 0
	.set _ZL15flash_attn_tileILi112ELi112ELi8ELi4ELb0EEvPKcS1_S1_S1_S1_PKiPfP15HIP_vector_typeIfLj2EEffffjfiS5_IjLj3EEiiiiiiiiiiiliiliiiiil.numbered_sgpr, 68
	.set _ZL15flash_attn_tileILi112ELi112ELi8ELi4ELb0EEvPKcS1_S1_S1_S1_PKiPfP15HIP_vector_typeIfLj2EEffffjfiS5_IjLj3EEiiiiiiiiiiiliiliiiiil.num_named_barrier, 0
	.set _ZL15flash_attn_tileILi112ELi112ELi8ELi4ELb0EEvPKcS1_S1_S1_S1_PKiPfP15HIP_vector_typeIfLj2EEffffjfiS5_IjLj3EEiiiiiiiiiiiliiliiiiil.private_seg_size, 128
	.set _ZL15flash_attn_tileILi112ELi112ELi8ELi4ELb0EEvPKcS1_S1_S1_S1_PKiPfP15HIP_vector_typeIfLj2EEffffjfiS5_IjLj3EEiiiiiiiiiiiliiliiiiil.uses_vcc, 1
	.set _ZL15flash_attn_tileILi112ELi112ELi8ELi4ELb0EEvPKcS1_S1_S1_S1_PKiPfP15HIP_vector_typeIfLj2EEffffjfiS5_IjLj3EEiiiiiiiiiiiliiliiiiil.uses_flat_scratch, 0
	.set _ZL15flash_attn_tileILi112ELi112ELi8ELi4ELb0EEvPKcS1_S1_S1_S1_PKiPfP15HIP_vector_typeIfLj2EEffffjfiS5_IjLj3EEiiiiiiiiiiiliiliiiiil.has_dyn_sized_stack, 0
	.set _ZL15flash_attn_tileILi112ELi112ELi8ELi4ELb0EEvPKcS1_S1_S1_S1_PKiPfP15HIP_vector_typeIfLj2EEffffjfiS5_IjLj3EEiiiiiiiiiiiliiliiiiil.has_recursion, 0
	.set _ZL15flash_attn_tileILi112ELi112ELi8ELi4ELb0EEvPKcS1_S1_S1_S1_PKiPfP15HIP_vector_typeIfLj2EEffffjfiS5_IjLj3EEiiiiiiiiiiiliiliiiiil.has_indirect_call, 0
	.section	.AMDGPU.csdata,"",@progbits
; Kernel info:
; codeLenInByte = 14112
; TotalNumSgprs: 72
; NumVgprs: 128
; ScratchSize: 128
; MemoryBound: 0
; FloatMode: 240
; IeeeMode: 1
; LDSByteSize: 13376 bytes/workgroup (compile time only)
; SGPRBlocks: 12
; VGPRBlocks: 31
; NumSGPRsForWavesPerEU: 102
; NumVGPRsForWavesPerEU: 128
; Occupancy: 2
; WaveLimiterHint : 1
; COMPUTE_PGM_RSRC2:SCRATCH_EN: 1
; COMPUTE_PGM_RSRC2:USER_SGPR: 6
; COMPUTE_PGM_RSRC2:TRAP_HANDLER: 0
; COMPUTE_PGM_RSRC2:TGID_X_EN: 1
; COMPUTE_PGM_RSRC2:TGID_Y_EN: 1
; COMPUTE_PGM_RSRC2:TGID_Z_EN: 1
; COMPUTE_PGM_RSRC2:TIDIG_COMP_CNT: 1
	.section	.text._ZL33flash_attn_stream_k_fixup_uniformILi112ELi8ELi4EEvPfPK15HIP_vector_typeIfLj2EEiiiiiiS1_IjLj3EES5_S5_,"axG",@progbits,_ZL33flash_attn_stream_k_fixup_uniformILi112ELi8ELi4EEvPfPK15HIP_vector_typeIfLj2EEiiiiiiS1_IjLj3EES5_S5_,comdat
	.globl	_ZL33flash_attn_stream_k_fixup_uniformILi112ELi8ELi4EEvPfPK15HIP_vector_typeIfLj2EEiiiiiiS1_IjLj3EES5_S5_ ; -- Begin function _ZL33flash_attn_stream_k_fixup_uniformILi112ELi8ELi4EEvPfPK15HIP_vector_typeIfLj2EEiiiiiiS1_IjLj3EES5_S5_
	.p2align	8
	.type	_ZL33flash_attn_stream_k_fixup_uniformILi112ELi8ELi4EEvPfPK15HIP_vector_typeIfLj2EEiiiiiiS1_IjLj3EES5_S5_,@function
_ZL33flash_attn_stream_k_fixup_uniformILi112ELi8ELi4EEvPfPK15HIP_vector_typeIfLj2EEiiiiiiS1_IjLj3EES5_S5_: ; @_ZL33flash_attn_stream_k_fixup_uniformILi112ELi8ELi4EEvPfPK15HIP_vector_typeIfLj2EEiiiiiiS1_IjLj3EES5_S5_
; %bb.0:
	s_load_dwordx8 s[12:19], s[4:5], 0x1c
	s_load_dwordx2 s[10:11], s[4:5], 0x10
	s_load_dwordx4 s[0:3], s[4:5], 0x3c
	s_waitcnt lgkmcnt(0)
	s_mul_hi_u32 s9, s15, s6
	s_add_i32 s9, s6, s9
	s_lshr_b32 s9, s9, s16
	s_mul_i32 s15, s9, s17
	s_sub_i32 s16, s6, s15
	s_mul_hi_u32 s15, s16, s18
	s_add_i32 s15, s16, s15
	s_lshr_b32 s15, s15, s19
	s_mul_i32 s0, s15, s0
	s_sub_i32 s0, s16, s0
	;; [unrolled: 5-line block ×3, first 2 shown]
	s_lshl_b32 s0, s16, 3
	s_lshl_b32 s17, s1, 2
	s_add_i32 s0, s0, s7
	s_cmp_lt_i32 s0, s10
	s_cselect_b64 s[0:1], -1, 0
	s_add_i32 s17, s17, s8
	s_cmp_lt_i32 s17, s13
	s_cselect_b64 s[2:3], -1, 0
	s_and_b64 s[0:1], s[0:1], s[2:3]
	s_andn2_b64 vcc, exec, s[0:1]
	s_cbranch_vccnz .LBB22_6
; %bb.1:
	s_load_dwordx4 s[0:3], s[4:5], 0x0
	s_mul_i32 s4, s9, s10
	s_mul_i32 s15, s15, s13
	s_add_i32 s4, s4, s7
	s_mul_i32 s4, s4, s11
	s_add_i32 s9, s17, s15
	;; [unrolled: 2-line block ×3, first 2 shown]
	s_mulk_i32 s5, 0x380
	s_mulk_i32 s4, 0x70
	s_add_i32 s4, s4, s5
	v_add_u32_e32 v1, s4, v0
	v_ashrrev_i32_e32 v2, 31, v1
	v_lshlrev_b64 v[1:2], 2, v[1:2]
	s_waitcnt lgkmcnt(0)
	v_mov_b32_e32 v3, s1
	v_add_co_u32_e32 v1, vcc, s0, v1
	v_addc_co_u32_e32 v2, vcc, v3, v2, vcc
	global_load_dword v8, v[1:2], off
	s_mul_i32 s9, s14, s6
	s_lshl_b32 s4, s7, 2
	s_add_i32 s11, s9, s14
	s_add_i32 s0, s4, s8
	s_lshl_b32 s1, s11, 5
	s_add_i32 s0, s0, s1
	s_sub_i32 s0, s0, 32
	s_ashr_i32 s1, s0, 31
	s_lshl_b64 s[0:1], s[0:1], 3
	s_add_u32 s0, s2, s0
	s_addc_u32 s1, s3, s1
	s_load_dword s5, s[0:1], 0x4
	s_add_i32 s10, s11, -2
	s_cmp_lt_i32 s10, s9
	s_cbranch_scc1 .LBB22_4
; %bb.2:
	s_lshl_b32 s16, s12, 7
	s_ashr_i32 s17, s16, 31
	s_lshl_b64 s[16:17], s[16:17], 2
	s_add_u32 s10, s2, s16
	s_addc_u32 s13, s3, s17
	s_add_i32 s6, s6, 1
	s_load_dword s0, s[0:1], 0x0
	s_mul_i32 s1, s14, s6
	s_lshl_b32 s6, s1, 5
	s_add_i32 s6, s8, s6
	s_lshl_b32 s12, s12, 5
	s_add_i32 s6, s6, s12
	s_add_i32 s6, s6, s4
	s_sub_i32 s4, s6, 64
	s_mulk_i32 s7, 0x1c0
	s_mul_i32 s6, s8, 0x70
	s_mulk_i32 s1, 0xe00
	s_add_i32 s6, s6, s7
	s_add_i32 s6, s6, s1
	v_add_u32_e32 v0, s6, v0
	s_add_i32 s11, s11, -1
	v_add_u32_e32 v3, 0xffffe400, v0
	s_waitcnt lgkmcnt(0)
	v_mov_b32_e32 v7, s5
	v_mov_b32_e32 v6, s0
	;; [unrolled: 1-line block ×3, first 2 shown]
	s_mov_b32 s6, 0x3fb8aa3b
	s_mov_b32 s7, 0xc2ce8ed0
	;; [unrolled: 1-line block ×3, first 2 shown]
	v_mov_b32_e32 v5, 0x7f800000
	s_mov_b32 s12, 0xc1a00000
.LBB22_3:                               ; =>This Inner Loop Header: Depth=1
	v_ashrrev_i32_e32 v4, 31, v3
	v_lshlrev_b64 v[9:10], 2, v[3:4]
	s_ashr_i32 s5, s4, 31
	v_add_co_u32_e32 v9, vcc, s10, v9
	v_addc_co_u32_e32 v10, vcc, v0, v10, vcc
	global_load_dword v4, v[9:10], off
	s_lshl_b64 s[0:1], s[4:5], 3
	s_add_u32 s0, s2, s0
	s_addc_u32 s1, s3, s1
	s_load_dwordx2 s[14:15], s[0:1], 0x0
	s_waitcnt vmcnt(1)
	v_mov_b32_e32 v9, v8
	v_max_f32_e32 v8, v6, v6
	v_mov_b32_e32 v10, v7
	s_add_i32 s11, s11, -1
	s_waitcnt lgkmcnt(0)
	v_max_f32_e64 v7, s14, s14
	v_max_f32_e32 v7, v8, v7
	v_sub_f32_e32 v11, s14, v7
	v_sub_f32_e32 v8, v6, v7
	v_mul_f32_e32 v12, 0x3fb8aa3b, v11
	v_mov_b32_e32 v6, v7
	v_mul_f32_e32 v7, 0x3fb8aa3b, v8
	v_fma_f32 v15, v11, s6, -v12
	v_rndne_f32_e32 v16, v12
	v_fma_f32 v13, v8, s6, -v7
	v_rndne_f32_e32 v14, v7
	v_fmac_f32_e32 v15, 0x32a5705f, v11
	v_sub_f32_e32 v12, v12, v16
	v_fmac_f32_e32 v13, 0x32a5705f, v8
	v_sub_f32_e32 v7, v7, v14
	v_add_f32_e32 v12, v12, v15
	v_cvt_i32_f32_e32 v16, v16
	v_add_f32_e32 v7, v7, v13
	v_exp_f32_e32 v12, v12
	v_cvt_i32_f32_e32 v14, v14
	v_exp_f32_e32 v7, v7
	v_cmp_ngt_f32_e32 vcc, s7, v11
	v_ldexp_f32 v12, v12, v16
	v_cmp_ngt_f32_e64 s[0:1], s7, v8
	v_ldexp_f32 v7, v7, v14
	v_cndmask_b32_e32 v12, 0, v12, vcc
	v_cmp_nlt_f32_e32 vcc, s8, v11
	v_cndmask_b32_e64 v7, 0, v7, s[0:1]
	v_cmp_nlt_f32_e64 s[0:1], s8, v8
	v_cndmask_b32_e32 v12, v5, v12, vcc
	v_cmp_le_f32_e32 vcc, s12, v11
	v_cndmask_b32_e64 v7, v5, v7, s[0:1]
	v_cmp_le_f32_e64 s[0:1], s12, v8
	v_cndmask_b32_e32 v8, 0, v12, vcc
	s_sub_i32 s4, s4, 32
	v_cndmask_b32_e64 v11, 0, v7, s[0:1]
	v_mul_f32_e32 v7, s15, v8
	v_add_u32_e32 v3, 0xfffff200, v3
	s_cmp_le_i32 s11, s9
	v_fmac_f32_e32 v7, v10, v11
	s_waitcnt vmcnt(0)
	v_mul_f32_e32 v8, v4, v8
	v_fmac_f32_e32 v8, v9, v11
	s_cbranch_scc0 .LBB22_3
	s_branch .LBB22_5
.LBB22_4:
	s_waitcnt lgkmcnt(0)
	v_mov_b32_e32 v7, s5
.LBB22_5:
	s_waitcnt vmcnt(0)
	v_div_scale_f32 v0, s[0:1], v7, v7, v8
	v_div_scale_f32 v3, vcc, v8, v7, v8
	v_rcp_f32_e32 v4, v0
	v_fma_f32 v5, -v0, v4, 1.0
	v_fmac_f32_e32 v4, v5, v4
	v_mul_f32_e32 v5, v3, v4
	v_fma_f32 v6, -v0, v5, v3
	v_fmac_f32_e32 v5, v6, v4
	v_fma_f32 v0, -v0, v5, v3
	v_div_fmas_f32 v0, v0, v4, v5
	v_div_fixup_f32 v0, v0, v7, v8
	global_store_dword v[1:2], v0, off
.LBB22_6:
	s_endpgm
	.section	.rodata,"a",@progbits
	.p2align	6, 0x0
	.amdhsa_kernel _ZL33flash_attn_stream_k_fixup_uniformILi112ELi8ELi4EEvPfPK15HIP_vector_typeIfLj2EEiiiiiiS1_IjLj3EES5_S5_
		.amdhsa_group_segment_fixed_size 0
		.amdhsa_private_segment_fixed_size 0
		.amdhsa_kernarg_size 76
		.amdhsa_user_sgpr_count 6
		.amdhsa_user_sgpr_private_segment_buffer 1
		.amdhsa_user_sgpr_dispatch_ptr 0
		.amdhsa_user_sgpr_queue_ptr 0
		.amdhsa_user_sgpr_kernarg_segment_ptr 1
		.amdhsa_user_sgpr_dispatch_id 0
		.amdhsa_user_sgpr_flat_scratch_init 0
		.amdhsa_user_sgpr_private_segment_size 0
		.amdhsa_uses_dynamic_stack 0
		.amdhsa_system_sgpr_private_segment_wavefront_offset 0
		.amdhsa_system_sgpr_workgroup_id_x 1
		.amdhsa_system_sgpr_workgroup_id_y 1
		.amdhsa_system_sgpr_workgroup_id_z 1
		.amdhsa_system_sgpr_workgroup_info 0
		.amdhsa_system_vgpr_workitem_id 0
		.amdhsa_next_free_vgpr 17
		.amdhsa_next_free_sgpr 20
		.amdhsa_reserve_vcc 1
		.amdhsa_reserve_flat_scratch 0
		.amdhsa_float_round_mode_32 0
		.amdhsa_float_round_mode_16_64 0
		.amdhsa_float_denorm_mode_32 3
		.amdhsa_float_denorm_mode_16_64 3
		.amdhsa_dx10_clamp 1
		.amdhsa_ieee_mode 1
		.amdhsa_fp16_overflow 0
		.amdhsa_exception_fp_ieee_invalid_op 0
		.amdhsa_exception_fp_denorm_src 0
		.amdhsa_exception_fp_ieee_div_zero 0
		.amdhsa_exception_fp_ieee_overflow 0
		.amdhsa_exception_fp_ieee_underflow 0
		.amdhsa_exception_fp_ieee_inexact 0
		.amdhsa_exception_int_div_zero 0
	.end_amdhsa_kernel
	.section	.text._ZL33flash_attn_stream_k_fixup_uniformILi112ELi8ELi4EEvPfPK15HIP_vector_typeIfLj2EEiiiiiiS1_IjLj3EES5_S5_,"axG",@progbits,_ZL33flash_attn_stream_k_fixup_uniformILi112ELi8ELi4EEvPfPK15HIP_vector_typeIfLj2EEiiiiiiS1_IjLj3EES5_S5_,comdat
.Lfunc_end22:
	.size	_ZL33flash_attn_stream_k_fixup_uniformILi112ELi8ELi4EEvPfPK15HIP_vector_typeIfLj2EEiiiiiiS1_IjLj3EES5_S5_, .Lfunc_end22-_ZL33flash_attn_stream_k_fixup_uniformILi112ELi8ELi4EEvPfPK15HIP_vector_typeIfLj2EEiiiiiiS1_IjLj3EES5_S5_
                                        ; -- End function
	.set _ZL33flash_attn_stream_k_fixup_uniformILi112ELi8ELi4EEvPfPK15HIP_vector_typeIfLj2EEiiiiiiS1_IjLj3EES5_S5_.num_vgpr, 17
	.set _ZL33flash_attn_stream_k_fixup_uniformILi112ELi8ELi4EEvPfPK15HIP_vector_typeIfLj2EEiiiiiiS1_IjLj3EES5_S5_.num_agpr, 0
	.set _ZL33flash_attn_stream_k_fixup_uniformILi112ELi8ELi4EEvPfPK15HIP_vector_typeIfLj2EEiiiiiiS1_IjLj3EES5_S5_.numbered_sgpr, 20
	.set _ZL33flash_attn_stream_k_fixup_uniformILi112ELi8ELi4EEvPfPK15HIP_vector_typeIfLj2EEiiiiiiS1_IjLj3EES5_S5_.num_named_barrier, 0
	.set _ZL33flash_attn_stream_k_fixup_uniformILi112ELi8ELi4EEvPfPK15HIP_vector_typeIfLj2EEiiiiiiS1_IjLj3EES5_S5_.private_seg_size, 0
	.set _ZL33flash_attn_stream_k_fixup_uniformILi112ELi8ELi4EEvPfPK15HIP_vector_typeIfLj2EEiiiiiiS1_IjLj3EES5_S5_.uses_vcc, 1
	.set _ZL33flash_attn_stream_k_fixup_uniformILi112ELi8ELi4EEvPfPK15HIP_vector_typeIfLj2EEiiiiiiS1_IjLj3EES5_S5_.uses_flat_scratch, 0
	.set _ZL33flash_attn_stream_k_fixup_uniformILi112ELi8ELi4EEvPfPK15HIP_vector_typeIfLj2EEiiiiiiS1_IjLj3EES5_S5_.has_dyn_sized_stack, 0
	.set _ZL33flash_attn_stream_k_fixup_uniformILi112ELi8ELi4EEvPfPK15HIP_vector_typeIfLj2EEiiiiiiS1_IjLj3EES5_S5_.has_recursion, 0
	.set _ZL33flash_attn_stream_k_fixup_uniformILi112ELi8ELi4EEvPfPK15HIP_vector_typeIfLj2EEiiiiiiS1_IjLj3EES5_S5_.has_indirect_call, 0
	.section	.AMDGPU.csdata,"",@progbits
; Kernel info:
; codeLenInByte = 856
; TotalNumSgprs: 24
; NumVgprs: 17
; ScratchSize: 0
; MemoryBound: 0
; FloatMode: 240
; IeeeMode: 1
; LDSByteSize: 0 bytes/workgroup (compile time only)
; SGPRBlocks: 2
; VGPRBlocks: 4
; NumSGPRsForWavesPerEU: 24
; NumVGPRsForWavesPerEU: 17
; Occupancy: 10
; WaveLimiterHint : 0
; COMPUTE_PGM_RSRC2:SCRATCH_EN: 0
; COMPUTE_PGM_RSRC2:USER_SGPR: 6
; COMPUTE_PGM_RSRC2:TRAP_HANDLER: 0
; COMPUTE_PGM_RSRC2:TGID_X_EN: 1
; COMPUTE_PGM_RSRC2:TGID_Y_EN: 1
; COMPUTE_PGM_RSRC2:TGID_Z_EN: 1
; COMPUTE_PGM_RSRC2:TIDIG_COMP_CNT: 0
	.section	.text._ZL33flash_attn_stream_k_fixup_generalILi112ELi8ELi4EEvPfPK15HIP_vector_typeIfLj2EEiiiiS1_IjLj3EES5_S5_S5_,"axG",@progbits,_ZL33flash_attn_stream_k_fixup_generalILi112ELi8ELi4EEvPfPK15HIP_vector_typeIfLj2EEiiiiS1_IjLj3EES5_S5_S5_,comdat
	.globl	_ZL33flash_attn_stream_k_fixup_generalILi112ELi8ELi4EEvPfPK15HIP_vector_typeIfLj2EEiiiiS1_IjLj3EES5_S5_S5_ ; -- Begin function _ZL33flash_attn_stream_k_fixup_generalILi112ELi8ELi4EEvPfPK15HIP_vector_typeIfLj2EEiiiiS1_IjLj3EES5_S5_S5_
	.p2align	8
	.type	_ZL33flash_attn_stream_k_fixup_generalILi112ELi8ELi4EEvPfPK15HIP_vector_typeIfLj2EEiiiiS1_IjLj3EES5_S5_S5_,@function
_ZL33flash_attn_stream_k_fixup_generalILi112ELi8ELi4EEvPfPK15HIP_vector_typeIfLj2EEiiiiS1_IjLj3EES5_S5_S5_: ; @_ZL33flash_attn_stream_k_fixup_generalILi112ELi8ELi4EEvPfPK15HIP_vector_typeIfLj2EEiiiiS1_IjLj3EES5_S5_S5_
; %bb.0:
	s_load_dwordx4 s[0:3], s[4:5], 0x10
	s_load_dword s22, s[4:5], 0x50
	s_mov_b32 s12, 0
	s_waitcnt lgkmcnt(0)
	s_mul_hi_i32 s13, s3, s6
	s_cmp_lg_u64 s[12:13], 0
	s_mul_i32 s9, s3, s6
	s_cbranch_scc0 .LBB23_20
; %bb.1:
	s_add_u32 s10, s22, 0
	s_addc_u32 s11, 0, 0
	s_xor_b64 s[10:11], s[10:11], 0
	v_cvt_f32_u32_e32 v1, s10
	v_cvt_f32_u32_e32 v2, s11
	s_sub_u32 s12, 0, s10
	s_subb_u32 s18, 0, s11
	v_madmk_f32 v1, v2, 0x4f800000, v1
	v_rcp_f32_e32 v1, v1
	v_mul_f32_e32 v1, 0x5f7ffffc, v1
	v_mul_f32_e32 v2, 0x2f800000, v1
	v_trunc_f32_e32 v2, v2
	v_madmk_f32 v1, v2, 0xcf800000, v1
	v_cvt_u32_f32_e32 v2, v2
	v_cvt_u32_f32_e32 v1, v1
	v_readfirstlane_b32 s19, v2
	v_readfirstlane_b32 s14, v1
	s_mul_i32 s15, s12, s19
	s_mul_hi_u32 s21, s12, s14
	s_mul_i32 s20, s18, s14
	s_add_i32 s15, s21, s15
	s_add_i32 s15, s15, s20
	s_mul_i32 s23, s12, s14
	s_mul_i32 s21, s14, s15
	s_mul_hi_u32 s24, s14, s23
	s_mul_hi_u32 s20, s14, s15
	s_add_u32 s21, s24, s21
	s_addc_u32 s20, 0, s20
	s_mul_hi_u32 s25, s19, s23
	s_mul_i32 s23, s19, s23
	s_add_u32 s21, s21, s23
	s_mul_hi_u32 s24, s19, s15
	s_addc_u32 s20, s20, s25
	s_addc_u32 s21, s24, 0
	s_mul_i32 s15, s19, s15
	s_add_u32 s15, s20, s15
	s_addc_u32 s20, 0, s21
	s_add_u32 s21, s14, s15
	s_cselect_b64 s[14:15], -1, 0
	s_cmp_lg_u64 s[14:15], 0
	s_addc_u32 s19, s19, s20
	s_mul_i32 s14, s12, s19
	s_mul_hi_u32 s15, s12, s21
	s_add_i32 s14, s15, s14
	s_mul_i32 s18, s18, s21
	s_add_i32 s14, s14, s18
	s_mul_i32 s12, s12, s21
	s_mul_hi_u32 s18, s19, s12
	s_mul_i32 s20, s19, s12
	s_mul_i32 s24, s21, s14
	s_mul_hi_u32 s12, s21, s12
	s_mul_hi_u32 s23, s21, s14
	s_add_u32 s12, s12, s24
	s_addc_u32 s23, 0, s23
	s_add_u32 s12, s12, s20
	s_mul_hi_u32 s15, s19, s14
	s_addc_u32 s12, s23, s18
	s_addc_u32 s15, s15, 0
	s_mul_i32 s14, s19, s14
	s_add_u32 s12, s12, s14
	s_addc_u32 s18, 0, s15
	s_add_u32 s20, s21, s12
	s_cselect_b64 s[14:15], -1, 0
	s_cmp_lg_u64 s[14:15], 0
	s_addc_u32 s18, s19, s18
	s_ashr_i32 s14, s13, 31
	s_add_u32 s12, s9, s14
	s_mov_b32 s15, s14
	s_addc_u32 s13, s13, s14
	s_xor_b64 s[12:13], s[12:13], s[14:15]
	s_mul_i32 s21, s12, s18
	s_mul_hi_u32 s23, s12, s20
	s_mul_hi_u32 s19, s12, s18
	s_add_u32 s21, s23, s21
	s_addc_u32 s19, 0, s19
	s_mul_hi_u32 s24, s13, s20
	s_mul_i32 s20, s13, s20
	s_add_u32 s20, s21, s20
	s_mul_hi_u32 s23, s13, s18
	s_addc_u32 s19, s19, s24
	s_addc_u32 s20, s23, 0
	s_mul_i32 s18, s13, s18
	s_add_u32 s23, s19, s18
	s_addc_u32 s24, 0, s20
	s_mul_i32 s18, s10, s24
	s_mul_hi_u32 s19, s10, s23
	s_add_i32 s18, s19, s18
	s_mul_i32 s19, s11, s23
	s_add_i32 s25, s18, s19
	s_sub_i32 s20, s13, s25
	s_mul_i32 s18, s10, s23
	s_sub_u32 s12, s12, s18
	s_cselect_b64 s[18:19], -1, 0
	s_cmp_lg_u64 s[18:19], 0
	s_subb_u32 s26, s20, s11
	s_sub_u32 s27, s12, s10
	s_cselect_b64 s[20:21], -1, 0
	s_cmp_lg_u64 s[20:21], 0
	s_subb_u32 s20, s26, 0
	s_cmp_ge_u32 s20, s11
	s_cselect_b32 s21, -1, 0
	s_cmp_ge_u32 s27, s10
	s_cselect_b32 s26, -1, 0
	s_cmp_eq_u32 s20, s11
	s_cselect_b32 s20, s26, s21
	s_add_u32 s21, s23, 1
	s_addc_u32 s26, s24, 0
	s_add_u32 s27, s23, 2
	s_addc_u32 s28, s24, 0
	s_cmp_lg_u32 s20, 0
	s_cselect_b32 s20, s27, s21
	s_cselect_b32 s21, s28, s26
	s_cmp_lg_u64 s[18:19], 0
	s_subb_u32 s13, s13, s25
	s_cmp_ge_u32 s13, s11
	s_cselect_b32 s18, -1, 0
	s_cmp_ge_u32 s12, s10
	s_cselect_b32 s10, -1, 0
	s_cmp_eq_u32 s13, s11
	s_cselect_b32 s10, s10, s18
	s_cmp_lg_u32 s10, 0
	s_cselect_b32 s11, s21, s24
	s_cselect_b32 s10, s20, s23
	s_xor_b64 s[12:13], s[14:15], 0
	s_xor_b64 s[10:11], s[10:11], s[12:13]
	s_sub_u32 s10, s10, s12
	s_load_dwordx4 s[12:15], s[4:5], 0x44
	s_cbranch_execnz .LBB23_3
.LBB23_2:
	v_cvt_f32_u32_e32 v1, s22
	s_sub_i32 s10, 0, s22
	v_rcp_iflag_f32_e32 v1, v1
	v_mul_f32_e32 v1, 0x4f7ffffe, v1
	v_cvt_u32_f32_e32 v1, v1
	v_readfirstlane_b32 s11, v1
	s_mul_i32 s10, s10, s11
	s_mul_hi_u32 s10, s11, s10
	s_add_i32 s11, s11, s10
	s_mul_hi_u32 s10, s9, s11
	s_waitcnt lgkmcnt(0)
	s_mul_i32 s15, s10, s22
	s_sub_i32 s9, s9, s15
	s_add_i32 s11, s10, 1
	s_sub_i32 s15, s9, s22
	s_cmp_ge_u32 s9, s22
	s_cselect_b32 s10, s11, s10
	s_cselect_b32 s9, s15, s9
	s_add_i32 s11, s10, 1
	s_cmp_ge_u32 s9, s22
	s_cselect_b32 s10, s11, s10
.LBB23_3:
	s_add_i32 s9, s6, 1
	s_mul_hi_i32 s21, s3, s9
	s_mov_b32 s20, 0
	s_cmp_lg_u64 s[20:21], 0
	s_mul_i32 s9, s3, s9
	s_cbranch_scc0 .LBB23_21
; %bb.4:
	s_add_u32 s16, s22, 0
	s_addc_u32 s17, 0, 0
	s_xor_b64 s[18:19], s[16:17], 0
	v_cvt_f32_u32_e32 v1, s18
	v_cvt_f32_u32_e32 v2, s19
	s_sub_u32 s11, 0, s18
	s_waitcnt lgkmcnt(0)
	s_subb_u32 s15, 0, s19
	v_madmk_f32 v1, v2, 0x4f800000, v1
	v_rcp_f32_e32 v1, v1
	v_mul_f32_e32 v1, 0x5f7ffffc, v1
	v_mul_f32_e32 v2, 0x2f800000, v1
	v_trunc_f32_e32 v2, v2
	v_madmk_f32 v1, v2, 0xcf800000, v1
	v_cvt_u32_f32_e32 v2, v2
	v_cvt_u32_f32_e32 v1, v1
	v_readfirstlane_b32 s20, v2
	v_readfirstlane_b32 s23, v1
	s_mul_i32 s24, s11, s20
	s_mul_hi_u32 s26, s11, s23
	s_mul_i32 s25, s15, s23
	s_add_i32 s24, s26, s24
	s_add_i32 s24, s24, s25
	s_mul_i32 s27, s11, s23
	s_mul_i32 s26, s23, s24
	s_mul_hi_u32 s28, s23, s27
	s_mul_hi_u32 s25, s23, s24
	s_add_u32 s26, s28, s26
	s_addc_u32 s25, 0, s25
	s_mul_hi_u32 s29, s20, s27
	s_mul_i32 s27, s20, s27
	s_add_u32 s26, s26, s27
	s_mul_hi_u32 s28, s20, s24
	s_addc_u32 s25, s25, s29
	s_addc_u32 s26, s28, 0
	s_mul_i32 s24, s20, s24
	s_add_u32 s24, s25, s24
	s_addc_u32 s26, 0, s26
	s_add_u32 s23, s23, s24
	s_cselect_b64 s[24:25], -1, 0
	s_cmp_lg_u64 s[24:25], 0
	s_addc_u32 s20, s20, s26
	s_mul_i32 s24, s11, s20
	s_mul_hi_u32 s25, s11, s23
	s_add_i32 s24, s25, s24
	s_mul_i32 s15, s15, s23
	s_add_i32 s24, s24, s15
	s_mul_i32 s11, s11, s23
	s_mul_hi_u32 s25, s20, s11
	s_mul_i32 s26, s20, s11
	s_mul_i32 s28, s23, s24
	s_mul_hi_u32 s11, s23, s11
	s_mul_hi_u32 s27, s23, s24
	s_add_u32 s11, s11, s28
	s_addc_u32 s27, 0, s27
	s_add_u32 s11, s11, s26
	s_mul_hi_u32 s15, s20, s24
	s_addc_u32 s11, s27, s25
	s_addc_u32 s15, s15, 0
	s_mul_i32 s24, s20, s24
	s_add_u32 s11, s11, s24
	s_addc_u32 s15, 0, s15
	s_add_u32 s11, s23, s11
	s_cselect_b64 s[24:25], -1, 0
	s_cmp_lg_u64 s[24:25], 0
	s_addc_u32 s15, s20, s15
	s_ashr_i32 s24, s21, 31
	s_add_u32 s20, s9, s24
	s_mov_b32 s25, s24
	s_addc_u32 s21, s21, s24
	s_xor_b64 s[20:21], s[20:21], s[24:25]
	s_mul_i32 s26, s20, s15
	s_mul_hi_u32 s27, s20, s11
	s_mul_hi_u32 s23, s20, s15
	s_add_u32 s26, s27, s26
	s_addc_u32 s23, 0, s23
	s_mul_hi_u32 s28, s21, s11
	s_mul_i32 s11, s21, s11
	s_add_u32 s11, s26, s11
	s_mul_hi_u32 s27, s21, s15
	s_addc_u32 s11, s23, s28
	s_addc_u32 s23, s27, 0
	s_mul_i32 s15, s21, s15
	s_add_u32 s11, s11, s15
	s_addc_u32 s15, 0, s23
	s_mul_i32 s23, s18, s15
	s_mul_hi_u32 s26, s18, s11
	s_add_i32 s23, s26, s23
	s_mul_i32 s26, s19, s11
	s_add_i32 s23, s23, s26
	s_sub_i32 s28, s21, s23
	s_mul_i32 s26, s18, s11
	s_sub_u32 s20, s20, s26
	s_cselect_b64 s[26:27], -1, 0
	s_cmp_lg_u64 s[26:27], 0
	s_subb_u32 s30, s28, s19
	s_sub_u32 s31, s20, s18
	s_cselect_b64 s[28:29], -1, 0
	s_cmp_lg_u64 s[28:29], 0
	s_subb_u32 s28, s30, 0
	s_cmp_ge_u32 s28, s19
	s_cselect_b32 s29, -1, 0
	s_cmp_ge_u32 s31, s18
	s_cselect_b32 s30, -1, 0
	s_cmp_eq_u32 s28, s19
	s_cselect_b32 s28, s30, s29
	s_add_u32 s29, s11, 1
	s_addc_u32 s30, s15, 0
	s_add_u32 s31, s11, 2
	s_addc_u32 s33, s15, 0
	s_cmp_lg_u32 s28, 0
	s_cselect_b32 s28, s31, s29
	s_cselect_b32 s29, s33, s30
	s_cmp_lg_u64 s[26:27], 0
	s_subb_u32 s21, s21, s23
	s_cmp_ge_u32 s21, s19
	s_cselect_b32 s23, -1, 0
	s_cmp_ge_u32 s20, s18
	s_cselect_b32 s18, -1, 0
	s_cmp_eq_u32 s21, s19
	s_cselect_b32 s18, s18, s23
	s_cmp_lg_u32 s18, 0
	s_cselect_b32 s19, s29, s15
	s_cselect_b32 s18, s28, s11
	s_xor_b64 s[20:21], s[24:25], 0
	s_xor_b64 s[18:19], s[18:19], s[20:21]
	s_sub_u32 s18, s18, s20
	s_cbranch_execnz .LBB23_6
.LBB23_5:
	v_cvt_f32_u32_e32 v1, s22
	s_sub_i32 s11, 0, s22
	v_rcp_iflag_f32_e32 v1, v1
	v_mul_f32_e32 v1, 0x4f7ffffe, v1
	v_cvt_u32_f32_e32 v1, v1
	s_waitcnt lgkmcnt(0)
	v_readfirstlane_b32 s15, v1
	s_mul_i32 s11, s11, s15
	s_mul_hi_u32 s11, s15, s11
	s_add_i32 s15, s15, s11
	s_mul_hi_u32 s11, s9, s15
	s_mul_i32 s16, s11, s22
	s_sub_i32 s9, s9, s16
	s_add_i32 s15, s11, 1
	s_sub_i32 s16, s9, s22
	s_cmp_ge_u32 s9, s22
	s_cselect_b32 s11, s15, s11
	s_cselect_b32 s9, s16, s9
	s_add_i32 s15, s11, 1
	s_cmp_ge_u32 s9, s22
	s_cselect_b32 s18, s15, s11
.LBB23_6:
	s_cmp_eq_u32 s10, s18
	s_waitcnt lgkmcnt(0)
	s_mul_hi_u32 s9, s10, s12
	s_cselect_b64 s[16:17], -1, 0
	s_add_i32 s9, s9, s10
	s_lshr_b32 s11, s9, s13
	s_mul_i32 s9, s11, s14
	s_cmp_eq_u32 s9, s10
	s_mul_hi_u32 s9, s18, s12
	s_cselect_b64 s[20:21], -1, 0
	s_add_i32 s9, s9, s18
	s_lshr_b32 s9, s9, s13
	s_cmp_eq_u32 s11, s9
	s_mul_i32 s9, s9, s14
	s_cselect_b64 s[24:25], -1, 0
	s_cmp_lg_u32 s9, s18
	s_cselect_b64 s[18:19], -1, 0
	s_and_b64 s[18:19], s[24:25], s[18:19]
	s_or_b64 s[16:17], s[16:17], s[20:21]
	s_or_b64 s[16:17], s[16:17], s[18:19]
	s_and_b64 vcc, exec, s[16:17]
	s_cbranch_vccnz .LBB23_23
; %bb.7:
	s_load_dwordx8 s[24:31], s[4:5], 0x20
	s_load_dword s15, s[4:5], 0x40
	s_waitcnt lgkmcnt(0)
	s_mul_hi_u32 s9, s10, s24
	s_add_i32 s9, s9, s10
	s_lshr_b32 s9, s9, s25
	s_mul_i32 s16, s9, s26
	s_sub_i32 s16, s10, s16
	s_mul_hi_u32 s17, s16, s27
	s_add_i32 s17, s16, s17
	s_lshr_b32 s23, s17, s28
	s_mul_i32 s17, s23, s29
	s_sub_i32 s16, s16, s17
	;; [unrolled: 5-line block ×3, first 2 shown]
	s_mul_hi_u32 s16, s15, s12
	s_add_i32 s15, s15, s16
	s_lshr_b32 s24, s15, s13
	s_lshl_b32 s15, s24, 3
	s_lshl_b32 s25, s17, 2
	s_add_i32 s15, s15, s7
	s_cmp_lt_i32 s15, s0
	s_cselect_b64 s[16:17], -1, 0
	s_add_i32 s25, s25, s8
	s_cmp_lt_i32 s25, s2
	s_cselect_b64 s[18:19], -1, 0
	s_and_b64 s[16:17], s[16:17], s[18:19]
	s_andn2_b64 vcc, exec, s[16:17]
	s_cbranch_vccnz .LBB23_23
; %bb.8:
	s_load_dwordx4 s[16:19], s[4:5], 0x0
	s_mov_b32 s4, 0
	s_lshl_b32 s15, s7, 2
	s_lshl_b32 s20, s22, 7
	s_mov_b32 s21, s4
	s_add_i32 s15, s15, s8
	s_lshl_b64 s[20:21], s[20:21], 2
	s_waitcnt lgkmcnt(0)
	s_add_u32 s20, s18, s20
	s_mul_i32 s0, s9, s0
	s_addc_u32 s21, s19, s21
	s_mul_i32 s23, s23, s2
	s_add_i32 s0, s0, s7
	s_mul_i32 s2, s1, s24
	s_mul_i32 s0, s0, s1
	s_add_i32 s1, s25, s23
	s_add_i32 s0, s1, s0
	s_mulk_i32 s2, 0x380
	s_mulk_i32 s0, 0x70
	s_add_i32 s2, s2, s0
	v_add_u32_e32 v1, s2, v0
	v_ashrrev_i32_e32 v2, 31, v1
	v_lshlrev_b64 v[1:2], 2, v[1:2]
	v_mov_b32_e32 v3, s17
	v_add_co_u32_e32 v1, vcc, s16, v1
	v_addc_co_u32_e32 v2, vcc, v3, v2, vcc
	global_load_dword v3, v[1:2], off
	v_cvt_f32_u32_e32 v4, s22
	s_lshl_b32 s0, s6, 5
	s_add_i32 s0, s15, s0
	s_ashr_i32 s1, s0, 31
	s_lshl_b64 s[0:1], s[0:1], 3
	v_rcp_iflag_f32_e32 v4, v4
	s_add_u32 s0, s18, s0
	s_addc_u32 s1, s19, s1
	s_load_dwordx2 s[0:1], s[0:1], 0x0
	v_mul_f32_e32 v4, 0x4f7ffffe, v4
	v_cvt_u32_f32_e32 v4, v4
	s_mul_i32 s2, s15, 0x70
	s_add_i32 s24, s6, -1
	v_add_u32_e32 v0, s2, v0
	s_waitcnt lgkmcnt(0)
	v_mov_b32_e32 v6, s1
	v_mov_b32_e32 v7, s0
	s_mov_b32 s2, 0x3fb8aa3b
	s_mov_b32 s16, 0xc2ce8ed0
	;; [unrolled: 1-line block ×4, first 2 shown]
	v_mov_b32_e32 v5, 0x7f800000
	s_mul_hi_i32 s5, s24, s3
	s_cmp_lg_u64 s[4:5], 0
	s_mul_i32 s8, s24, s3
	s_cbranch_scc0 .LBB23_19
.LBB23_9:
	s_add_u32 s0, s22, 0
	s_addc_u32 s1, 0, 0
	s_xor_b64 s[0:1], s[0:1], 0
	v_cvt_f32_u32_e32 v8, s0
	v_cvt_f32_u32_e32 v9, s1
	s_sub_u32 s9, 0, s0
	s_subb_u32 s25, 0, s1
	v_mac_f32_e32 v8, 0x4f800000, v9
	v_rcp_f32_e32 v8, v8
	v_mul_f32_e32 v8, 0x5f7ffffc, v8
	v_mul_f32_e32 v9, 0x2f800000, v8
	v_trunc_f32_e32 v9, v9
	v_mac_f32_e32 v8, 0xcf800000, v9
	v_cvt_u32_f32_e32 v9, v9
	v_cvt_u32_f32_e32 v8, v8
	v_readfirstlane_b32 s26, v9
	v_readfirstlane_b32 s6, v8
	s_mul_i32 s7, s9, s26
	s_mul_hi_u32 s28, s9, s6
	s_mul_i32 s27, s25, s6
	s_add_i32 s7, s28, s7
	s_mul_i32 s29, s9, s6
	s_add_i32 s7, s7, s27
	s_mul_i32 s28, s6, s7
	s_mul_hi_u32 s30, s6, s29
	s_mul_hi_u32 s27, s6, s7
	s_add_u32 s28, s30, s28
	s_addc_u32 s27, 0, s27
	s_mul_hi_u32 s31, s26, s29
	s_mul_i32 s29, s26, s29
	s_add_u32 s28, s28, s29
	s_mul_hi_u32 s30, s26, s7
	s_addc_u32 s27, s27, s31
	s_addc_u32 s28, s30, 0
	s_mul_i32 s7, s26, s7
	s_add_u32 s7, s27, s7
	s_addc_u32 s27, 0, s28
	s_add_u32 s28, s6, s7
	s_cselect_b64 s[6:7], -1, 0
	s_cmp_lg_u64 s[6:7], 0
	s_addc_u32 s26, s26, s27
	s_mul_i32 s6, s9, s26
	s_mul_hi_u32 s7, s9, s28
	s_add_i32 s6, s7, s6
	s_mul_i32 s25, s25, s28
	s_add_i32 s6, s6, s25
	s_mul_i32 s9, s9, s28
	s_mul_hi_u32 s25, s26, s9
	s_mul_i32 s27, s26, s9
	s_mul_i32 s30, s28, s6
	s_mul_hi_u32 s9, s28, s9
	s_mul_hi_u32 s29, s28, s6
	s_add_u32 s9, s9, s30
	s_addc_u32 s29, 0, s29
	s_add_u32 s9, s9, s27
	s_mul_hi_u32 s7, s26, s6
	s_addc_u32 s9, s29, s25
	s_addc_u32 s7, s7, 0
	s_mul_i32 s6, s26, s6
	s_add_u32 s6, s9, s6
	s_addc_u32 s9, 0, s7
	s_add_u32 s25, s28, s6
	s_cselect_b64 s[6:7], -1, 0
	s_cmp_lg_u64 s[6:7], 0
	s_addc_u32 s9, s26, s9
	s_ashr_i32 s6, s5, 31
	s_add_u32 s26, s8, s6
	s_mov_b32 s7, s6
	s_addc_u32 s27, s5, s6
	s_xor_b64 s[26:27], s[26:27], s[6:7]
	s_mul_i32 s28, s26, s9
	s_mul_hi_u32 s29, s26, s25
	s_mul_hi_u32 s5, s26, s9
	s_add_u32 s28, s29, s28
	s_addc_u32 s5, 0, s5
	s_mul_hi_u32 s30, s27, s25
	s_mul_i32 s25, s27, s25
	s_add_u32 s25, s28, s25
	s_mul_hi_u32 s29, s27, s9
	s_addc_u32 s5, s5, s30
	s_addc_u32 s25, s29, 0
	s_mul_i32 s9, s27, s9
	s_add_u32 s5, s5, s9
	s_addc_u32 s9, 0, s25
	s_mul_i32 s25, s0, s9
	s_mul_hi_u32 s28, s0, s5
	s_add_i32 s25, s28, s25
	s_mul_i32 s28, s1, s5
	s_add_i32 s25, s25, s28
	s_sub_i32 s30, s27, s25
	s_mul_i32 s28, s0, s5
	s_sub_u32 s26, s26, s28
	s_cselect_b64 s[28:29], -1, 0
	s_cmp_lg_u64 s[28:29], 0
	s_subb_u32 s33, s30, s1
	s_sub_u32 s34, s26, s0
	s_cselect_b64 s[30:31], -1, 0
	s_cmp_lg_u64 s[30:31], 0
	s_subb_u32 s30, s33, 0
	s_cmp_ge_u32 s30, s1
	s_cselect_b32 s31, -1, 0
	s_cmp_ge_u32 s34, s0
	s_cselect_b32 s33, -1, 0
	s_cmp_eq_u32 s30, s1
	s_cselect_b32 s30, s33, s31
	s_add_u32 s31, s5, 1
	s_addc_u32 s33, s9, 0
	s_add_u32 s34, s5, 2
	s_addc_u32 s35, s9, 0
	s_cmp_lg_u32 s30, 0
	s_cselect_b32 s30, s34, s31
	s_cselect_b32 s31, s35, s33
	s_cmp_lg_u64 s[28:29], 0
	s_subb_u32 s25, s27, s25
	s_cmp_ge_u32 s25, s1
	s_cselect_b32 s27, -1, 0
	s_cmp_ge_u32 s26, s0
	s_cselect_b32 s0, -1, 0
	s_cmp_eq_u32 s25, s1
	s_cselect_b32 s0, s0, s27
	s_cmp_lg_u32 s0, 0
	s_cselect_b32 s1, s31, s9
	s_cselect_b32 s0, s30, s5
	s_xor_b64 s[6:7], s[6:7], 0
	s_xor_b64 s[0:1], s[0:1], s[6:7]
	s_sub_u32 s6, s0, s6
	s_cbranch_execnz .LBB23_11
.LBB23_10:
	s_sub_i32 s0, 0, s22
	v_readfirstlane_b32 s1, v4
	s_mul_i32 s0, s0, s1
	s_mul_hi_u32 s0, s1, s0
	s_add_i32 s1, s1, s0
	s_mul_hi_u32 s0, s8, s1
	s_mul_i32 s5, s0, s22
	s_sub_i32 s5, s8, s5
	s_add_i32 s1, s0, 1
	s_sub_i32 s6, s5, s22
	s_cmp_ge_u32 s5, s22
	s_cselect_b32 s0, s1, s0
	s_cselect_b32 s5, s6, s5
	s_add_i32 s1, s0, 1
	s_cmp_ge_u32 s5, s22
	s_cselect_b32 s6, s1, s0
.LBB23_11:
	s_cmp_lg_u32 s10, s6
	s_mov_b64 s[8:9], -1
                                        ; implicit-def: $sgpr0_sgpr1
                                        ; implicit-def: $vgpr10
                                        ; implicit-def: $vgpr8
                                        ; implicit-def: $vgpr9
                                        ; implicit-def: $sgpr5
                                        ; implicit-def: $sgpr7
	s_cbranch_scc1 .LBB23_14
; %bb.12:
	s_andn2_b64 vcc, exec, s[8:9]
	s_cbranch_vccz .LBB23_17
.LBB23_13:
	s_andn2_b64 vcc, exec, s[0:1]
	s_cbranch_vccnz .LBB23_18
	s_branch .LBB23_22
.LBB23_14:
	s_add_i32 s0, s24, s22
	s_lshl_b32 s0, s0, 5
	s_add_i32 s0, s0, s15
	s_mov_b32 s1, s4
	s_lshl_b64 s[0:1], s[0:1], 3
	s_add_u32 s8, s18, s0
	s_mul_hi_u32 s0, s6, s12
	s_addc_u32 s9, s19, s1
	s_add_i32 s0, s0, s6
	s_lshr_b32 s5, s0, s13
	s_mul_i32 s0, s5, s14
	s_cmp_eq_u32 s0, s6
	s_cselect_b64 s[0:1], -1, 0
	s_cmp_lt_u32 s5, s11
	s_cselect_b64 s[26:27], -1, 0
	s_or_b64 s[26:27], s[26:27], s[0:1]
	s_mov_b64 s[0:1], -1
	s_and_b64 vcc, exec, s[26:27]
	s_mov_b32 s5, s24
	s_mov_b32 s7, s10
	s_cbranch_vccnz .LBB23_16
; %bb.15:
	s_add_i32 s5, s24, -1
	s_mov_b64 s[0:1], 0
	s_mov_b32 s7, s6
.LBB23_16:
	s_mul_i32 s6, s24, 0xe00
	v_add_u32_e32 v8, s6, v0
	v_ashrrev_i32_e32 v9, 31, v8
	v_lshlrev_b64 v[8:9], 2, v[8:9]
	v_mov_b32_e32 v10, s21
	v_add_co_u32_e32 v8, vcc, s20, v8
	v_addc_co_u32_e32 v9, vcc, v10, v9, vcc
	global_load_dword v10, v[8:9], off
	s_load_dwordx2 s[8:9], s[8:9], 0x0
	v_max_f32_e32 v8, v7, v7
	s_waitcnt lgkmcnt(0)
	v_max_f32_e64 v9, s8, s8
	v_max_f32_e32 v8, v8, v9
	v_sub_f32_e32 v9, v7, v8
	v_sub_f32_e32 v11, s8, v8
	v_mul_f32_e32 v12, 0x3fb8aa3b, v9
	v_mul_f32_e32 v13, 0x3fb8aa3b, v11
	v_fma_f32 v14, v9, s2, -v12
	v_rndne_f32_e32 v15, v12
	v_fma_f32 v16, v11, s2, -v13
	v_rndne_f32_e32 v17, v13
	v_fmac_f32_e32 v14, 0x32a5705f, v9
	v_sub_f32_e32 v12, v12, v15
	v_fmac_f32_e32 v16, 0x32a5705f, v11
	v_sub_f32_e32 v13, v13, v17
	v_add_f32_e32 v12, v12, v14
	v_cvt_i32_f32_e32 v15, v15
	v_add_f32_e32 v13, v13, v16
	v_exp_f32_e32 v12, v12
	v_cvt_i32_f32_e32 v17, v17
	v_exp_f32_e32 v13, v13
	v_cmp_ngt_f32_e32 vcc, s16, v9
	v_ldexp_f32 v12, v12, v15
	v_cndmask_b32_e32 v12, 0, v12, vcc
	v_ldexp_f32 v13, v13, v17
	v_cmp_ngt_f32_e32 vcc, s16, v11
	v_cndmask_b32_e32 v13, 0, v13, vcc
	v_cmp_nlt_f32_e32 vcc, s17, v9
	v_cndmask_b32_e32 v12, v5, v12, vcc
	v_cmp_nlt_f32_e32 vcc, s17, v11
	v_cndmask_b32_e32 v13, v5, v13, vcc
	v_cmp_le_f32_e32 vcc, s23, v9
	v_cndmask_b32_e32 v12, 0, v12, vcc
	v_cmp_le_f32_e32 vcc, s23, v11
	v_cndmask_b32_e32 v11, 0, v13, vcc
	v_mul_f32_e32 v9, s9, v11
	v_fmac_f32_e32 v9, v6, v12
	s_waitcnt vmcnt(0)
	v_mul_f32_e32 v10, v10, v11
	v_fmac_f32_e32 v10, v3, v12
	s_cbranch_execnz .LBB23_13
.LBB23_17:
	s_add_i32 s5, s24, -1
	s_mov_b32 s7, s10
	v_mov_b32_e32 v9, v6
	v_mov_b32_e32 v8, v7
	s_waitcnt vmcnt(0)
	v_mov_b32_e32 v10, v3
	s_cbranch_execz .LBB23_22
.LBB23_18:
	s_mov_b32 s10, s7
	s_mov_b32 s24, s5
	v_mov_b32_e32 v6, v9
	v_mov_b32_e32 v7, v8
	s_waitcnt vmcnt(0)
	v_mov_b32_e32 v3, v10
	s_mul_hi_i32 s5, s24, s3
	s_cmp_lg_u64 s[4:5], 0
	s_mul_i32 s8, s24, s3
	s_cbranch_scc1 .LBB23_9
.LBB23_19:
                                        ; implicit-def: $sgpr6_sgpr7
	s_branch .LBB23_10
.LBB23_20:
                                        ; implicit-def: $sgpr10_sgpr11
	s_load_dwordx4 s[12:15], s[4:5], 0x44
	s_branch .LBB23_2
.LBB23_21:
                                        ; implicit-def: $sgpr18_sgpr19
	s_branch .LBB23_5
.LBB23_22:
	v_div_scale_f32 v0, s[0:1], v9, v9, v10
	s_waitcnt vmcnt(0)
	v_div_scale_f32 v3, vcc, v10, v9, v10
	v_rcp_f32_e32 v4, v0
	v_fma_f32 v5, -v0, v4, 1.0
	v_fmac_f32_e32 v4, v5, v4
	v_mul_f32_e32 v5, v3, v4
	v_fma_f32 v6, -v0, v5, v3
	v_fmac_f32_e32 v5, v6, v4
	v_fma_f32 v0, -v0, v5, v3
	v_div_fmas_f32 v0, v0, v4, v5
	v_div_fixup_f32 v0, v0, v9, v10
	global_store_dword v[1:2], v0, off
.LBB23_23:
	s_endpgm
	.section	.rodata,"a",@progbits
	.p2align	6, 0x0
	.amdhsa_kernel _ZL33flash_attn_stream_k_fixup_generalILi112ELi8ELi4EEvPfPK15HIP_vector_typeIfLj2EEiiiiS1_IjLj3EES5_S5_S5_
		.amdhsa_group_segment_fixed_size 0
		.amdhsa_private_segment_fixed_size 0
		.amdhsa_kernarg_size 336
		.amdhsa_user_sgpr_count 6
		.amdhsa_user_sgpr_private_segment_buffer 1
		.amdhsa_user_sgpr_dispatch_ptr 0
		.amdhsa_user_sgpr_queue_ptr 0
		.amdhsa_user_sgpr_kernarg_segment_ptr 1
		.amdhsa_user_sgpr_dispatch_id 0
		.amdhsa_user_sgpr_flat_scratch_init 0
		.amdhsa_user_sgpr_private_segment_size 0
		.amdhsa_uses_dynamic_stack 0
		.amdhsa_system_sgpr_private_segment_wavefront_offset 0
		.amdhsa_system_sgpr_workgroup_id_x 1
		.amdhsa_system_sgpr_workgroup_id_y 1
		.amdhsa_system_sgpr_workgroup_id_z 1
		.amdhsa_system_sgpr_workgroup_info 0
		.amdhsa_system_vgpr_workitem_id 0
		.amdhsa_next_free_vgpr 18
		.amdhsa_next_free_sgpr 36
		.amdhsa_reserve_vcc 1
		.amdhsa_reserve_flat_scratch 0
		.amdhsa_float_round_mode_32 0
		.amdhsa_float_round_mode_16_64 0
		.amdhsa_float_denorm_mode_32 3
		.amdhsa_float_denorm_mode_16_64 3
		.amdhsa_dx10_clamp 1
		.amdhsa_ieee_mode 1
		.amdhsa_fp16_overflow 0
		.amdhsa_exception_fp_ieee_invalid_op 0
		.amdhsa_exception_fp_denorm_src 0
		.amdhsa_exception_fp_ieee_div_zero 0
		.amdhsa_exception_fp_ieee_overflow 0
		.amdhsa_exception_fp_ieee_underflow 0
		.amdhsa_exception_fp_ieee_inexact 0
		.amdhsa_exception_int_div_zero 0
	.end_amdhsa_kernel
	.section	.text._ZL33flash_attn_stream_k_fixup_generalILi112ELi8ELi4EEvPfPK15HIP_vector_typeIfLj2EEiiiiS1_IjLj3EES5_S5_S5_,"axG",@progbits,_ZL33flash_attn_stream_k_fixup_generalILi112ELi8ELi4EEvPfPK15HIP_vector_typeIfLj2EEiiiiS1_IjLj3EES5_S5_S5_,comdat
.Lfunc_end23:
	.size	_ZL33flash_attn_stream_k_fixup_generalILi112ELi8ELi4EEvPfPK15HIP_vector_typeIfLj2EEiiiiS1_IjLj3EES5_S5_S5_, .Lfunc_end23-_ZL33flash_attn_stream_k_fixup_generalILi112ELi8ELi4EEvPfPK15HIP_vector_typeIfLj2EEiiiiS1_IjLj3EES5_S5_S5_
                                        ; -- End function
	.set _ZL33flash_attn_stream_k_fixup_generalILi112ELi8ELi4EEvPfPK15HIP_vector_typeIfLj2EEiiiiS1_IjLj3EES5_S5_S5_.num_vgpr, 18
	.set _ZL33flash_attn_stream_k_fixup_generalILi112ELi8ELi4EEvPfPK15HIP_vector_typeIfLj2EEiiiiS1_IjLj3EES5_S5_S5_.num_agpr, 0
	.set _ZL33flash_attn_stream_k_fixup_generalILi112ELi8ELi4EEvPfPK15HIP_vector_typeIfLj2EEiiiiS1_IjLj3EES5_S5_S5_.numbered_sgpr, 36
	.set _ZL33flash_attn_stream_k_fixup_generalILi112ELi8ELi4EEvPfPK15HIP_vector_typeIfLj2EEiiiiS1_IjLj3EES5_S5_S5_.num_named_barrier, 0
	.set _ZL33flash_attn_stream_k_fixup_generalILi112ELi8ELi4EEvPfPK15HIP_vector_typeIfLj2EEiiiiS1_IjLj3EES5_S5_S5_.private_seg_size, 0
	.set _ZL33flash_attn_stream_k_fixup_generalILi112ELi8ELi4EEvPfPK15HIP_vector_typeIfLj2EEiiiiS1_IjLj3EES5_S5_S5_.uses_vcc, 1
	.set _ZL33flash_attn_stream_k_fixup_generalILi112ELi8ELi4EEvPfPK15HIP_vector_typeIfLj2EEiiiiS1_IjLj3EES5_S5_S5_.uses_flat_scratch, 0
	.set _ZL33flash_attn_stream_k_fixup_generalILi112ELi8ELi4EEvPfPK15HIP_vector_typeIfLj2EEiiiiS1_IjLj3EES5_S5_S5_.has_dyn_sized_stack, 0
	.set _ZL33flash_attn_stream_k_fixup_generalILi112ELi8ELi4EEvPfPK15HIP_vector_typeIfLj2EEiiiiS1_IjLj3EES5_S5_S5_.has_recursion, 0
	.set _ZL33flash_attn_stream_k_fixup_generalILi112ELi8ELi4EEvPfPK15HIP_vector_typeIfLj2EEiiiiS1_IjLj3EES5_S5_S5_.has_indirect_call, 0
	.section	.AMDGPU.csdata,"",@progbits
; Kernel info:
; codeLenInByte = 2944
; TotalNumSgprs: 40
; NumVgprs: 18
; ScratchSize: 0
; MemoryBound: 0
; FloatMode: 240
; IeeeMode: 1
; LDSByteSize: 0 bytes/workgroup (compile time only)
; SGPRBlocks: 4
; VGPRBlocks: 4
; NumSGPRsForWavesPerEU: 40
; NumVGPRsForWavesPerEU: 18
; Occupancy: 10
; WaveLimiterHint : 0
; COMPUTE_PGM_RSRC2:SCRATCH_EN: 0
; COMPUTE_PGM_RSRC2:USER_SGPR: 6
; COMPUTE_PGM_RSRC2:TRAP_HANDLER: 0
; COMPUTE_PGM_RSRC2:TGID_X_EN: 1
; COMPUTE_PGM_RSRC2:TGID_Y_EN: 1
; COMPUTE_PGM_RSRC2:TGID_Z_EN: 1
; COMPUTE_PGM_RSRC2:TIDIG_COMP_CNT: 0
	.section	.text._ZL15flash_attn_tileILi112ELi112ELi4ELi4ELb0EEvPKcS1_S1_S1_S1_PKiPfP15HIP_vector_typeIfLj2EEffffjfiS5_IjLj3EEiiiiiiiiiiiliiliiiiil,"axG",@progbits,_ZL15flash_attn_tileILi112ELi112ELi4ELi4ELb0EEvPKcS1_S1_S1_S1_PKiPfP15HIP_vector_typeIfLj2EEffffjfiS5_IjLj3EEiiiiiiiiiiiliiliiiiil,comdat
	.globl	_ZL15flash_attn_tileILi112ELi112ELi4ELi4ELb0EEvPKcS1_S1_S1_S1_PKiPfP15HIP_vector_typeIfLj2EEffffjfiS5_IjLj3EEiiiiiiiiiiiliiliiiiil ; -- Begin function _ZL15flash_attn_tileILi112ELi112ELi4ELi4ELb0EEvPKcS1_S1_S1_S1_PKiPfP15HIP_vector_typeIfLj2EEffffjfiS5_IjLj3EEiiiiiiiiiiiliiliiiiil
	.p2align	8
	.type	_ZL15flash_attn_tileILi112ELi112ELi4ELi4ELb0EEvPKcS1_S1_S1_S1_PKiPfP15HIP_vector_typeIfLj2EEffffjfiS5_IjLj3EEiiiiiiiiiiiliiliiiiil,@function
_ZL15flash_attn_tileILi112ELi112ELi4ELi4ELb0EEvPKcS1_S1_S1_S1_PKiPfP15HIP_vector_typeIfLj2EEffffjfiS5_IjLj3EEiiiiiiiiiiiliiliiiiil: ; @_ZL15flash_attn_tileILi112ELi112ELi4ELi4ELb0EEvPKcS1_S1_S1_S1_PKiPfP15HIP_vector_typeIfLj2EEffffjfiS5_IjLj3EEiiiiiiiiiiiliiliiiiil
; %bb.0:
	s_load_dwordx4 s[24:27], s[4:5], 0x5c
	s_load_dwordx2 s[28:29], s[4:5], 0x80
	s_load_dwordx16 s[36:51], s[4:5], 0x0
	s_mov_b64 s[30:31], 0
	s_waitcnt lgkmcnt(0)
	s_ashr_i32 s0, s27, 31
	s_lshr_b32 s0, s0, 30
	s_add_i32 s0, s27, s0
	s_ashr_i32 s0, s0, 2
	v_cvt_f32_u32_e32 v2, s0
	s_sub_i32 s1, 0, s0
	v_rcp_iflag_f32_e32 v2, v2
	v_mul_f32_e32 v2, 0x4f7ffffe, v2
	v_cvt_u32_f32_e32 v2, v2
	v_readfirstlane_b32 s2, v2
	s_mul_i32 s1, s1, s2
	s_mul_hi_u32 s1, s2, s1
	s_add_i32 s2, s2, s1
	s_mul_hi_u32 s1, s8, s2
	s_mul_i32 s2, s1, s0
	s_sub_i32 s2, s8, s2
	s_add_i32 s3, s1, 1
	s_sub_i32 s9, s2, s0
	s_cmp_ge_u32 s2, s0
	s_cselect_b32 s1, s3, s1
	s_cselect_b32 s2, s9, s2
	s_add_i32 s3, s1, 1
	s_cmp_ge_u32 s2, s0
	s_cselect_b32 s33, s3, s1
	s_abs_i32 s1, s29
	v_cvt_f32_u32_e32 v2, s1
	s_lshl_b32 s0, s8, 2
	s_sub_i32 s8, 0, s1
	s_abs_i32 s3, s27
	v_rcp_iflag_f32_e32 v2, v2
	s_xor_b32 s2, s27, s29
	s_ashr_i32 s2, s2, 31
	v_mul_f32_e32 v2, 0x4f7ffffe, v2
	v_cvt_u32_f32_e32 v2, v2
	v_readfirstlane_b32 s9, v2
	s_mul_i32 s8, s8, s9
	s_mul_hi_u32 s8, s9, s8
	s_add_i32 s9, s9, s8
	s_mul_hi_u32 s8, s3, s9
	s_mul_i32 s9, s8, s1
	s_sub_i32 s3, s3, s9
	s_add_i32 s10, s8, 1
	s_sub_i32 s9, s3, s1
	s_cmp_ge_u32 s3, s1
	s_cselect_b32 s8, s10, s8
	s_cselect_b32 s3, s9, s3
	s_add_i32 s9, s8, 1
	s_cmp_ge_u32 s3, s1
	s_cselect_b32 s1, s9, s8
	s_xor_b32 s1, s1, s2
	s_sub_i32 s11, s1, s2
	s_abs_i32 s10, s11
	v_cvt_f32_u32_e32 v2, s10
	s_load_dwordx2 s[2:3], s[4:5], 0xb8
	s_mul_i32 s1, s33, s27
	s_cmp_eq_u64 s[42:43], 0
	v_rcp_iflag_f32_e32 v2, v2
	v_mul_f32_e32 v2, 0x4f7ffffe, v2
	v_cvt_u32_f32_e32 v2, v2
	v_readfirstlane_b32 s12, v2
	s_cbranch_scc1 .LBB24_2
; %bb.1:
	s_waitcnt lgkmcnt(0)
	s_abs_i32 s2, s2
	v_cvt_f32_u32_e32 v2, s2
	s_sub_i32 s15, 0, s2
	s_abs_i32 s14, s33
	s_ashr_i32 s13, s33, 31
	v_rcp_iflag_f32_e32 v2, v2
	s_load_dwordx2 s[8:9], s[4:5], 0xc8
	v_mul_f32_e32 v2, 0x4f7ffffe, v2
	v_cvt_u32_f32_e32 v2, v2
	v_readfirstlane_b32 s16, v2
	s_mul_i32 s15, s15, s16
	s_mul_hi_u32 s15, s16, s15
	s_add_i32 s16, s16, s15
	s_mul_hi_u32 s15, s14, s16
	s_mul_i32 s15, s15, s2
	s_sub_i32 s14, s14, s15
	s_sub_i32 s15, s14, s2
	s_cmp_ge_u32 s14, s2
	s_cselect_b32 s14, s15, s14
	s_sub_i32 s15, s14, s2
	s_cmp_ge_u32 s14, s2
	s_cselect_b32 s2, s15, s14
	s_xor_b32 s2, s2, s13
	s_sub_i32 s2, s2, s13
	s_ashr_i32 s13, s2, 31
	s_waitcnt lgkmcnt(0)
	s_mul_hi_u32 s14, s8, s2
	s_mul_i32 s13, s8, s13
	s_mul_i32 s9, s9, s2
	s_add_i32 s13, s14, s13
	s_add_i32 s13, s13, s9
	s_mul_i32 s2, s8, s2
	s_add_u32 s30, s42, s2
	s_addc_u32 s31, s43, s13
.LBB24_2:
	v_lshrrev_b32_e32 v2, 1, v1
	v_lshl_add_u32 v65, s6, 2, v2
	v_mul_hi_u32 v2, s24, v65
	v_lshlrev_b32_e32 v3, 1, v1
	s_sub_i32 s29, s0, s1
	v_cmp_gt_u32_e64 s[0:1], 28, v0
	v_add_u32_e32 v2, v65, v2
	v_lshrrev_b32_e32 v2, s25, v2
	v_mul_lo_u32 v2, v2, s26
	v_lshlrev_b32_e32 v49, 2, v0
	v_lshlrev_b32_e32 v67, 3, v0
	v_and_b32_e32 v66, 2, v3
	v_sub_u32_e32 v2, v65, v2
	s_and_saveexec_b64 s[8:9], s[0:1]
	s_cbranch_execz .LBB24_4
; %bb.3:
	s_load_dwordx4 s[16:19], s[4:5], 0x70
	v_or_b32_e32 v12, 1, v3
	v_and_b32_e32 v13, 3, v12
	v_lshlrev_b32_e32 v10, 2, v49
	s_waitcnt lgkmcnt(0)
	s_mul_i32 s2, s33, s18
	s_ashr_i32 s15, s2, 31
	s_mul_i32 s13, s29, s17
	s_add_u32 s2, s36, s2
	s_addc_u32 s15, s37, s15
	s_ashr_i32 s18, s13, 31
	s_add_u32 s2, s2, s13
	s_mov_b32 s14, s16
	s_addc_u32 s13, s15, s18
	s_ashr_i32 s15, s16, 31
	s_lshr_b64 s[18:19], s[14:15], 2
	v_mad_u64_u32 v[4:5], s[18:19], s18, v2, 0
	s_lshr_b32 s14, s15, 2
	v_mad_u64_u32 v[5:6], s[14:15], s14, v2, v[5:6]
	s_ashr_i32 s15, s17, 31
	s_mov_b32 s14, s17
	v_lshlrev_b64 v[4:5], 2, v[4:5]
	v_mov_b32_e32 v6, s13
	v_add_co_u32_e32 v9, vcc, s2, v4
	s_lshr_b64 s[16:17], s[14:15], 2
	s_lshr_b32 s2, s15, 2
	v_addc_co_u32_e32 v6, vcc, v6, v5, vcc
	v_mul_lo_u32 v11, s2, v66
	v_mad_u64_u32 v[4:5], s[14:15], s16, v66, 0
	v_mad_u64_u32 v[7:8], s[14:15], s16, v13, 0
	v_or_b32_e32 v5, v5, v11
	v_lshlrev_b64 v[3:4], 2, v[4:5]
	v_mov_b32_e32 v5, v8
	v_add_co_u32_e32 v10, vcc, v9, v10
	v_mad_u64_u32 v[8:9], s[14:15], s2, v13, v[5:6]
	v_addc_co_u32_e32 v14, vcc, 0, v6, vcc
	v_add_co_u32_e32 v3, vcc, v10, v3
	v_lshlrev_b64 v[7:8], 2, v[7:8]
	v_addc_co_u32_e32 v4, vcc, v14, v4, vcc
	v_add_co_u32_e32 v7, vcc, v10, v7
	global_load_dwordx4 v[3:6], v[3:4], off
	v_addc_co_u32_e32 v8, vcc, v14, v8, vcc
	global_load_dwordx4 v[7:10], v[7:8], off
	s_load_dword s2, s[4:5], 0x40
	v_add_u32_e32 v11, 0x1040, v67
	s_movk_i32 s13, 0x1c0
	s_movk_i32 s14, 0xe0
	v_mad_u32_u24 v13, v1, s13, v11
	v_mad_u32_u24 v11, v12, s14, v11
	s_waitcnt vmcnt(1) lgkmcnt(0)
	v_fma_mixlo_f16 v3, s2, v3, 0
	v_fma_mixlo_f16 v4, s2, v4, 0
	v_fma_mixlo_f16 v5, s2, v5, 0
	v_fma_mixlo_f16 v6, s2, v6, 0
	s_waitcnt vmcnt(0)
	v_fma_mixlo_f16 v7, s2, v7, 0
	v_fma_mixlo_f16 v8, s2, v8, 0
	v_lshlrev_b32_e32 v4, 16, v4
	v_and_b32_e32 v3, 0xffff, v3
	v_fma_mixlo_f16 v9, s2, v9, 0
	v_fma_mixlo_f16 v10, s2, v10, 0
	v_lshlrev_b32_e32 v6, 16, v6
	v_and_b32_e32 v5, 0xffff, v5
	v_lshlrev_b32_e32 v8, 16, v8
	v_and_b32_e32 v7, 0xffff, v7
	v_or_b32_e32 v3, v4, v3
	v_lshlrev_b32_e32 v10, 16, v10
	v_and_b32_e32 v9, 0xffff, v9
	v_or3_b32 v4, v6, v5, 0
	v_or_b32_e32 v5, v8, v7
	v_or3_b32 v3, 0, 0, v3
	v_or3_b32 v6, v10, v9, 0
	;; [unrolled: 1-line block ×3, first 2 shown]
	ds_write_b64 v13, v[3:4]
	ds_write_b64 v11, v[5:6]
.LBB24_4:
	s_or_b64 exec, exec, s[8:9]
	s_cmp_eq_u64 s[46:47], 0
	s_waitcnt lgkmcnt(0)
	s_barrier
	s_cbranch_scc1 .LBB24_6
; %bb.5:
	s_load_dword s2, s[4:5], 0xd0
	s_mov_b32 s9, 0
	s_waitcnt lgkmcnt(0)
	s_mul_i32 s2, s2, s33
	s_add_i32 s8, s2, s6
	s_lshl_b64 s[8:9], s[8:9], 2
	s_add_u32 s8, s46, s8
	s_addc_u32 s9, s47, s9
	s_load_dword s28, s[8:9], 0x0
.LBB24_6:
	s_lshl_b32 s6, s7, 5
	s_waitcnt lgkmcnt(0)
	s_cmp_lt_i32 s6, s28
	v_mbcnt_lo_u32_b32 v3, -1, 0
	s_cbranch_scc1 .LBB24_12
; %bb.7:
	v_mbcnt_hi_u32_b32 v72, -1, v3
	v_and_b32_e32 v4, 0x60, v72
	v_add_u32_e32 v93, 32, v4
	v_xor_b32_e32 v92, 16, v72
	v_xor_b32_e32 v91, 8, v72
	;; [unrolled: 1-line block ×5, first 2 shown]
	s_cbranch_execz .LBB24_13
; %bb.8:
	v_mov_b32_e32 v70, 0
	v_mov_b32_e32 v94, 0
	;; [unrolled: 1-line block ×8, first 2 shown]
.LBB24_9:
	v_cmp_lt_i32_e32 vcc, v92, v93
	v_cndmask_b32_e32 v1, v72, v92, vcc
	v_lshlrev_b32_e32 v1, 2, v1
	ds_bpermute_b32 v2, v1, v95
	ds_bpermute_b32 v1, v1, v94
	v_cmp_lt_i32_e32 vcc, v91, v93
	v_cndmask_b32_e32 v3, v72, v91, vcc
	v_lshlrev_b32_e32 v3, 2, v3
	s_waitcnt lgkmcnt(1)
	v_add_f32_e32 v2, v95, v2
	s_waitcnt lgkmcnt(0)
	v_add_f32_e32 v1, v94, v1
	ds_bpermute_b32 v4, v3, v2
	ds_bpermute_b32 v3, v3, v1
	v_cmp_lt_i32_e32 vcc, v90, v93
	v_cndmask_b32_e32 v5, v72, v90, vcc
	v_lshlrev_b32_e32 v5, 2, v5
	s_waitcnt lgkmcnt(1)
	v_add_f32_e32 v2, v2, v4
	s_waitcnt lgkmcnt(0)
	v_add_f32_e32 v1, v1, v3
	;; [unrolled: 9-line block ×4, first 2 shown]
	ds_bpermute_b32 v4, v5, v2
	ds_bpermute_b32 v5, v5, v3
	s_cmp_lg_u64 s[44:45], 0
	s_cselect_b64 s[2:3], -1, 0
	s_cmp_eq_u32 s7, 0
	s_cselect_b64 s[8:9], -1, 0
	s_and_b64 s[2:3], s[8:9], s[2:3]
	s_waitcnt lgkmcnt(1)
	v_add_f32_e32 v1, v2, v4
	s_waitcnt lgkmcnt(0)
	v_add_f32_e32 v2, v3, v5
	s_and_b64 vcc, exec, s[2:3]
	s_cbranch_vccz .LBB24_40
; %bb.10:
	v_add_u32_e32 v3, s29, v66
	v_ashrrev_i32_e32 v4, 31, v3
	v_lshlrev_b64 v[3:4], 2, v[3:4]
	v_mov_b32_e32 v5, s45
	v_add_co_u32_e32 v3, vcc, s44, v3
	v_addc_co_u32_e32 v4, vcc, v5, v4, vcc
	global_load_dwordx2 v[3:4], v[3:4], off
	v_max_f32_e32 v5, v63, v63
	v_max_f32_e32 v6, v64, v64
	s_mov_b32 s2, 0x3fb8aa3b
	s_mov_b32 s3, 0xc2ce8ed0
	s_mov_b32 s6, 0x42b17218
	v_mov_b32_e32 v7, 0x7f800000
	s_waitcnt vmcnt(0)
	v_max_f32_e32 v8, v3, v3
	v_max_f32_e32 v9, v4, v4
	v_max_f32_e32 v5, v5, v8
	v_max_f32_e32 v6, v6, v9
	v_sub_f32_e32 v8, v63, v5
	v_sub_f32_e32 v9, v64, v6
	v_mov_b32_e32 v64, v6
	v_sub_f32_e32 v3, v3, v5
	v_mov_b32_e32 v63, v5
	v_mul_f32_e32 v5, 0x3fb8aa3b, v8
	v_sub_f32_e32 v4, v4, v6
	v_mul_f32_e32 v6, 0x3fb8aa3b, v3
	v_fma_f32 v12, v8, s2, -v5
	v_rndne_f32_e32 v13, v5
	v_mul_f32_e32 v10, 0x3fb8aa3b, v9
	v_fma_f32 v14, v3, s2, -v6
	v_rndne_f32_e32 v15, v6
	v_fmac_f32_e32 v12, 0x32a5705f, v8
	v_sub_f32_e32 v5, v5, v13
	v_mul_f32_e32 v11, 0x3fb8aa3b, v4
	v_fma_f32 v16, v9, s2, -v10
	v_rndne_f32_e32 v17, v10
	v_fmac_f32_e32 v14, 0x32a5705f, v3
	v_sub_f32_e32 v6, v6, v15
	v_add_f32_e32 v5, v5, v12
	v_fma_f32 v18, v4, s2, -v11
	v_rndne_f32_e32 v19, v11
	v_cvt_i32_f32_e32 v13, v13
	v_fmac_f32_e32 v16, 0x32a5705f, v9
	v_sub_f32_e32 v10, v10, v17
	v_add_f32_e32 v6, v6, v14
	v_exp_f32_e32 v5, v5
	v_cvt_i32_f32_e32 v15, v15
	v_fmac_f32_e32 v18, 0x32a5705f, v4
	v_sub_f32_e32 v11, v11, v19
	v_add_f32_e32 v10, v10, v16
	v_exp_f32_e32 v6, v6
	v_cvt_i32_f32_e32 v17, v17
	v_add_f32_e32 v11, v11, v18
	v_exp_f32_e32 v10, v10
	v_cvt_i32_f32_e32 v19, v19
	v_exp_f32_e32 v11, v11
	v_ldexp_f32 v5, v5, v13
	v_cmp_ngt_f32_e32 vcc, s3, v8
	v_ldexp_f32 v6, v6, v15
	v_cndmask_b32_e32 v5, 0, v5, vcc
	v_cmp_ngt_f32_e32 vcc, s3, v3
	v_ldexp_f32 v10, v10, v17
	v_cndmask_b32_e32 v6, 0, v6, vcc
	;; [unrolled: 3-line block ×3, first 2 shown]
	v_cmp_ngt_f32_e32 vcc, s3, v4
	v_cndmask_b32_e32 v11, 0, v11, vcc
	v_cmp_nlt_f32_e32 vcc, s6, v8
	v_cndmask_b32_e32 v5, v7, v5, vcc
	v_cmp_nlt_f32_e32 vcc, s6, v3
	;; [unrolled: 2-line block ×4, first 2 shown]
	v_cndmask_b32_e32 v4, v7, v11, vcc
	v_fmac_f32_e32 v3, v1, v5
	v_cvt_f16_f32_e32 v5, v5
	v_cvt_f16_f32_e32 v7, v6
	v_fmac_f32_e32 v4, v2, v6
	v_mov_b32_e32 v1, v3
	v_mul_u32_u24_e32 v2, 0x10001, v5
	v_mul_u32_u24_e32 v5, 0x10001, v7
	v_pk_mul_f16 v70, v70, v2
	v_pk_mul_f16 v71, v71, v2
	;; [unrolled: 1-line block ×4, first 2 shown]
	v_mov_b32_e32 v2, v4
	v_cmp_gt_i32_e32 vcc, s26, v65
	s_and_saveexec_b64 s[2:3], vcc
	s_cbranch_execnz .LBB24_41
.LBB24_11:
	s_endpgm
.LBB24_12:
                                        ; implicit-def: $vgpr72
                                        ; implicit-def: $vgpr93
                                        ; implicit-def: $vgpr92
                                        ; implicit-def: $vgpr91
                                        ; implicit-def: $vgpr90
                                        ; implicit-def: $vgpr89
                                        ; implicit-def: $vgpr88
.LBB24_13:
	s_sub_i32 s2, 0, s10
	s_mul_i32 s2, s2, s12
	s_mul_hi_u32 s2, s12, s2
	s_add_i32 s2, s12, s2
	s_load_dwordx2 s[8:9], s[4:5], 0x8c
	s_load_dwordx4 s[12:15], s[4:5], 0x98
	s_abs_i32 s18, s29
	s_mul_hi_u32 s2, s18, s2
	s_ashr_i32 s19, s29, 31
	s_waitcnt lgkmcnt(0)
	s_ashr_i32 s43, s8, 2
	s_ashr_i32 s42, s14, 2
	;; [unrolled: 1-line block ×4, first 2 shown]
	s_mul_hi_u32 s8, s12, s33
	s_mul_i32 s20, s12, s3
	s_add_i32 s8, s8, s20
	s_mul_i32 s13, s13, s33
	s_ashr_i32 s11, s11, 31
	s_add_i32 s8, s8, s13
	s_mul_i32 s12, s12, s33
	s_add_u32 s12, s38, s12
	s_mul_i32 s13, s2, s10
	s_addc_u32 s8, s39, s8
	s_sub_i32 s13, s18, s13
	s_xor_b32 s11, s19, s11
	s_add_i32 s18, s2, 1
	s_sub_i32 s19, s13, s10
	s_cmp_ge_u32 s13, s10
	s_cselect_b32 s2, s18, s2
	s_cselect_b32 s13, s19, s13
	s_add_i32 s18, s2, 1
	s_cmp_ge_u32 s13, s10
	s_cselect_b32 s2, s18, s2
	s_load_dwordx2 s[16:17], s[4:5], 0xa8
	s_xor_b32 s2, s2, s11
	s_sub_i32 s2, s2, s11
	s_mul_i32 s9, s2, s9
	s_ashr_i32 s10, s9, 31
	s_add_u32 s38, s12, s9
	s_addc_u32 s39, s8, s10
	s_waitcnt lgkmcnt(0)
	s_mul_hi_u32 s8, s16, s33
	s_mul_i32 s3, s16, s3
	s_add_i32 s3, s8, s3
	s_mul_i32 s8, s17, s33
	s_add_i32 s3, s3, s8
	s_mul_i32 s8, s16, s33
	s_add_u32 s8, s40, s8
	s_mul_i32 s2, s2, s15
	s_addc_u32 s3, s41, s3
	s_ashr_i32 s9, s2, 31
	s_add_u32 s40, s8, s2
	s_movk_i32 s8, 0x1c0
	v_mov_b32_e32 v16, 0x1040
	s_addc_u32 s41, s3, s9
	v_lshrrev_b32_e32 v5, 1, v0
	v_mad_u32_u24 v77, v1, s8, v16
	v_mad_u64_u32 v[50:51], s[8:9], v2, s14, v[0:1]
	v_mov_b32_e32 v2, 0x1e40
	v_lshl_add_u32 v10, v1, 4, v5
	v_lshrrev_b32_e32 v5, 2, v0
	v_and_b32_e32 v14, 4, v49
	v_lshl_add_u32 v78, v1, 7, v2
	v_lshrrev_b32_e32 v2, 3, v0
	v_lshl_add_u32 v4, v1, 5, v0
	v_lshl_add_u32 v11, v1, 3, v5
	v_lshlrev_b32_e32 v12, 2, v14
	v_and_b32_e32 v15, 12, v49
	v_lshl_add_u32 v2, v1, 2, v2
	v_mul_u32_u24_e32 v1, 0xe0, v10
	v_cmp_gt_u32_e64 s[2:3], 32, v10
	v_mul_lo_u32 v6, s43, v10
	v_lshlrev_b32_e32 v7, 7, v10
	v_lshlrev_b32_e32 v13, 2, v15
	v_cmp_gt_u32_e64 s[8:9], 16, v10
	v_or_b32_e32 v16, v1, v12
	v_mul_lo_u32 v1, s42, v10
	v_mul_u32_u24_e32 v10, 0xe0, v11
	s_movk_i32 s15, 0x80
	v_cmp_gt_u32_e32 vcc, 32, v4
	v_mul_lo_u32 v4, s43, v4
	v_or3_b32 v75, v7, v12, 64
	v_mul_lo_u32 v8, s43, v11
	v_add3_u32 v79, v10, v13, s15
	v_mul_lo_u32 v10, s42, v11
	v_mul_lo_u32 v12, s42, v2
	v_and_b32_e32 v80, 28, v49
	v_cmp_gt_u32_e64 s[22:23], 32, v11
	v_lshl_or_b32 v76, v11, 7, v13
	v_cmp_gt_u32_e64 s[10:11], 16, v11
	s_movk_i32 s14, 0xe0
	v_lshlrev_b32_e32 v11, 2, v80
	v_ashrrev_i32_e32 v5, 31, v4
	v_ashrrev_i32_e32 v7, 31, v6
	;; [unrolled: 1-line block ×3, first 2 shown]
	v_cmp_gt_u32_e64 s[12:13], 16, v2
	v_mad_u32_u24 v81, v2, s14, v11
	v_ashrrev_i32_e32 v2, 31, v1
	v_ashrrev_i32_e32 v11, 31, v10
	;; [unrolled: 1-line block ×3, first 2 shown]
	v_lshlrev_b32_e32 v73, 7, v0
	s_add_u32 s34, s4, 0xd0
	v_lshlrev_b64 v[51:52], 2, v[4:5]
	v_lshlrev_b64 v[53:54], 2, v[6:7]
	;; [unrolled: 1-line block ×6, first 2 shown]
	v_or_b32_e32 v74, 0x60, v73
	v_mov_b32_e32 v68, 0
	v_add_u32_e32 v82, 0xc0, v16
	s_addc_u32 s35, s5, 0
	s_mov_b32 s46, 0x3fb8aa3b
	s_mov_b32 s47, 0xc2ce8ed0
	;; [unrolled: 1-line block ×4, first 2 shown]
	v_lshlrev_b32_e32 v83, 2, v14
	v_lshlrev_b32_e32 v84, 2, v15
	v_mbcnt_hi_u32_b32 v72, -1, v3
	v_mov_b32_e32 v2, 0xfeffffff
	v_mov_b32_e32 v85, 0x7f800000
	;; [unrolled: 1-line block ×8, first 2 shown]
.LBB24_14:                              ; =>This Inner Loop Header: Depth=1
	s_mul_hi_i32 s15, s6, s43
	s_mul_i32 s14, s6, s43
	s_lshl_b64 s[14:15], s[14:15], 2
	s_add_u32 s18, s38, s14
	s_addc_u32 s19, s39, s15
	s_and_saveexec_b64 s[16:17], vcc
	s_cbranch_execnz .LBB24_32
; %bb.15:                               ;   in Loop: Header=BB24_14 Depth=1
	s_or_b64 exec, exec, s[16:17]
	s_and_saveexec_b64 s[16:17], s[2:3]
	s_cbranch_execnz .LBB24_33
.LBB24_16:                              ;   in Loop: Header=BB24_14 Depth=1
	s_or_b64 exec, exec, s[16:17]
	s_and_saveexec_b64 s[16:17], s[22:23]
	s_cbranch_execz .LBB24_18
.LBB24_17:                              ;   in Loop: Header=BB24_14 Depth=1
	v_mov_b32_e32 v3, s19
	v_add_co_u32_e64 v4, s[14:15], s18, v55
	v_addc_co_u32_e64 v5, s[14:15], v3, v56, s[14:15]
	v_add_co_u32_e64 v3, s[14:15], v4, v84
	v_addc_co_u32_e64 v4, s[14:15], 0, v5, s[14:15]
	global_load_dwordx4 v[3:6], v[3:4], off
	s_waitcnt vmcnt(0)
	ds_write_b128 v76, v[3:6]
.LBB24_18:                              ;   in Loop: Header=BB24_14 Depth=1
	s_or_b64 exec, exec, s[16:17]
	s_waitcnt lgkmcnt(0)
	s_barrier
	ds_read_b128 v[5:8], v73
	ds_read_b128 v[9:12], v77
	ds_read_b128 v[13:16], v77 offset:224
	v_mov_b32_e32 v3, 0
	s_waitcnt lgkmcnt(1)
	;;#ASMSTART
	v_dot2_f32_f16 v3, v5, v9, v3
	;;#ASMEND
	;;#ASMSTART
	v_dot2_f32_f16 v3, v6, v10, v3
	;;#ASMEND
	;; [unrolled: 3-line block ×3, first 2 shown]
	v_mov_b32_e32 v4, 0
	;;#ASMSTART
	v_dot2_f32_f16 v3, v8, v12, v3
	;;#ASMEND
	s_waitcnt lgkmcnt(0)
	;;#ASMSTART
	v_dot2_f32_f16 v4, v5, v13, v4
	;;#ASMEND
	;;#ASMSTART
	v_dot2_f32_f16 v4, v6, v14, v4
	;;#ASMEND
	;;#ASMSTART
	v_dot2_f32_f16 v4, v7, v15, v4
	;;#ASMEND
	;;#ASMSTART
	v_dot2_f32_f16 v4, v8, v16, v4
	;;#ASMEND
	ds_read_b128 v[5:8], v73 offset:16
	ds_read_b128 v[9:12], v77 offset:16
	ds_read_b128 v[13:16], v77 offset:240
	s_waitcnt lgkmcnt(1)
	;;#ASMSTART
	v_dot2_f32_f16 v3, v5, v9, v3
	;;#ASMEND
	;;#ASMSTART
	v_dot2_f32_f16 v3, v6, v10, v3
	;;#ASMEND
	;;#ASMSTART
	v_dot2_f32_f16 v3, v7, v11, v3
	;;#ASMEND
	;;#ASMSTART
	v_dot2_f32_f16 v3, v8, v12, v3
	;;#ASMEND
	s_waitcnt lgkmcnt(0)
	;;#ASMSTART
	v_dot2_f32_f16 v4, v5, v13, v4
	;;#ASMEND
	;;#ASMSTART
	v_dot2_f32_f16 v4, v6, v14, v4
	;;#ASMEND
	;;#ASMSTART
	v_dot2_f32_f16 v4, v7, v15, v4
	;;#ASMEND
	;;#ASMSTART
	v_dot2_f32_f16 v4, v8, v16, v4
	;;#ASMEND
	ds_read_b128 v[5:8], v73 offset:32
	ds_read_b128 v[9:12], v77 offset:32
	ds_read_b128 v[13:16], v77 offset:256
	s_waitcnt lgkmcnt(1)
	;;#ASMSTART
	v_dot2_f32_f16 v3, v5, v9, v3
	;;#ASMEND
	;;#ASMSTART
	v_dot2_f32_f16 v3, v6, v10, v3
	;;#ASMEND
	;;#ASMSTART
	v_dot2_f32_f16 v3, v7, v11, v3
	;;#ASMEND
	;; [unrolled: 29-line block ×6, first 2 shown]
	;;#ASMSTART
	v_dot2_f32_f16 v3, v8, v12, v3
	;;#ASMEND
	s_waitcnt lgkmcnt(0)
	;;#ASMSTART
	v_dot2_f32_f16 v4, v5, v13, v4
	;;#ASMEND
	;;#ASMSTART
	v_dot2_f32_f16 v4, v6, v14, v4
	;;#ASMEND
	;; [unrolled: 3-line block ×4, first 2 shown]
	s_barrier
	s_and_saveexec_b64 s[16:17], vcc
	s_cbranch_execnz .LBB24_34
; %bb.19:                               ;   in Loop: Header=BB24_14 Depth=1
	s_or_b64 exec, exec, s[16:17]
	s_and_saveexec_b64 s[16:17], s[2:3]
	s_cbranch_execnz .LBB24_35
.LBB24_20:                              ;   in Loop: Header=BB24_14 Depth=1
	s_or_b64 exec, exec, s[16:17]
	s_and_saveexec_b64 s[16:17], s[22:23]
	s_cbranch_execz .LBB24_22
.LBB24_21:                              ;   in Loop: Header=BB24_14 Depth=1
	v_mov_b32_e32 v5, s19
	v_add_co_u32_e64 v6, s[14:15], s18, v55
	v_addc_co_u32_e64 v7, s[14:15], v5, v56, s[14:15]
	v_add_co_u32_e64 v5, s[14:15], v6, v84
	v_addc_co_u32_e64 v6, s[14:15], 0, v7, s[14:15]
	global_load_dwordx4 v[5:8], v[5:6], off offset:112
	s_waitcnt vmcnt(0)
	ds_write_b128 v76, v[5:8]
.LBB24_22:                              ;   in Loop: Header=BB24_14 Depth=1
	s_or_b64 exec, exec, s[16:17]
	s_waitcnt lgkmcnt(0)
	s_barrier
	ds_read_b128 v[5:8], v73
	ds_read_b128 v[9:12], v77 offset:112
	ds_read_b128 v[13:16], v77 offset:336
	s_waitcnt lgkmcnt(1)
	;;#ASMSTART
	v_dot2_f32_f16 v3, v5, v9, v3
	;;#ASMEND
	;;#ASMSTART
	v_dot2_f32_f16 v3, v6, v10, v3
	;;#ASMEND
	;;#ASMSTART
	v_dot2_f32_f16 v3, v7, v11, v3
	;;#ASMEND
	;;#ASMSTART
	v_dot2_f32_f16 v3, v8, v12, v3
	;;#ASMEND
	s_waitcnt lgkmcnt(0)
	;;#ASMSTART
	v_dot2_f32_f16 v4, v5, v13, v4
	;;#ASMEND
	;;#ASMSTART
	v_dot2_f32_f16 v4, v6, v14, v4
	;;#ASMEND
	;;#ASMSTART
	v_dot2_f32_f16 v4, v7, v15, v4
	;;#ASMEND
	;;#ASMSTART
	v_dot2_f32_f16 v4, v8, v16, v4
	;;#ASMEND
	ds_read_b128 v[5:8], v73 offset:16
	ds_read_b128 v[9:12], v77 offset:128
	ds_read_b128 v[13:16], v77 offset:352
	s_waitcnt lgkmcnt(1)
	;;#ASMSTART
	v_dot2_f32_f16 v3, v5, v9, v3
	;;#ASMEND
	;;#ASMSTART
	v_dot2_f32_f16 v3, v6, v10, v3
	;;#ASMEND
	;;#ASMSTART
	v_dot2_f32_f16 v3, v7, v11, v3
	;;#ASMEND
	;;#ASMSTART
	v_dot2_f32_f16 v3, v8, v12, v3
	;;#ASMEND
	s_waitcnt lgkmcnt(0)
	;;#ASMSTART
	v_dot2_f32_f16 v4, v5, v13, v4
	;;#ASMEND
	;;#ASMSTART
	v_dot2_f32_f16 v4, v6, v14, v4
	;;#ASMEND
	;;#ASMSTART
	v_dot2_f32_f16 v4, v7, v15, v4
	;;#ASMEND
	;;#ASMSTART
	v_dot2_f32_f16 v4, v8, v16, v4
	;;#ASMEND
	ds_read_b128 v[5:8], v73 offset:32
	;; [unrolled: 29-line block ×6, first 2 shown]
	ds_read_b128 v[9:12], v77 offset:208
	ds_read_b128 v[13:16], v77 offset:432
	s_waitcnt lgkmcnt(1)
	;;#ASMSTART
	v_dot2_f32_f16 v3, v5, v9, v3
	;;#ASMEND
	;;#ASMSTART
	v_dot2_f32_f16 v3, v6, v10, v3
	;;#ASMEND
	;; [unrolled: 3-line block ×4, first 2 shown]
	s_waitcnt lgkmcnt(0)
	;;#ASMSTART
	v_dot2_f32_f16 v4, v5, v13, v4
	;;#ASMEND
	v_add_u32_e32 v5, s6, v50
	;;#ASMSTART
	v_dot2_f32_f16 v4, v6, v14, v4
	;;#ASMEND
	v_ashrrev_i32_e32 v6, 31, v5
	v_lshlrev_b64 v[5:6], 1, v[5:6]
	;;#ASMSTART
	v_dot2_f32_f16 v4, v7, v15, v4
	;;#ASMEND
	v_mov_b32_e32 v7, s31
	v_add_co_u32_e64 v5, s[14:15], s30, v5
	v_addc_co_u32_e64 v6, s[14:15], v7, v6, s[14:15]
	;;#ASMSTART
	v_dot2_f32_f16 v4, v8, v16, v4
	;;#ASMEND
	global_load_ushort v5, v[5:6], off
	v_and_b32_e32 v6, 0x60, v72
	v_xor_b32_e32 v92, 16, v72
	s_mul_hi_i32 s15, s6, s42
	s_mul_i32 s14, s6, s42
	v_add_u32_e32 v93, 32, v6
	s_lshl_b64 s[24:25], s[14:15], 2
	v_cmp_lt_i32_e64 s[14:15], v92, v93
	v_max_f32_e32 v7, v2, v2
	v_cndmask_b32_e64 v6, v72, v92, s[14:15]
	v_max_f32_e32 v8, v1, v1
	v_lshlrev_b32_e32 v6, 2, v6
	v_xor_b32_e32 v91, 8, v72
	v_cmp_lt_i32_e64 s[14:15], v91, v93
	v_xor_b32_e32 v90, 4, v72
	v_xor_b32_e32 v89, 2, v72
	;; [unrolled: 1-line block ×3, first 2 shown]
	s_add_u32 s54, s40, s24
	v_add_u32_e32 v9, v78, v49
	s_addc_u32 s55, s41, s25
	s_waitcnt vmcnt(0)
	s_barrier
	v_cvt_f32_f16_e32 v5, v5
	v_add_f32_e32 v3, v3, v5
	v_add_f32_e32 v4, v4, v5
	;; [unrolled: 1-line block ×4, first 2 shown]
	v_max_f32_e32 v5, v7, v5
	v_max_f32_e32 v7, v8, v10
	ds_bpermute_b32 v8, v6, v5
	ds_bpermute_b32 v6, v6, v7
	v_cndmask_b32_e64 v10, v72, v91, s[14:15]
	v_lshlrev_b32_e32 v10, 2, v10
	v_cmp_lt_i32_e64 s[14:15], v90, v93
	s_waitcnt lgkmcnt(1)
	v_max_f32_e32 v8, v8, v8
	s_waitcnt lgkmcnt(0)
	v_max_f32_e32 v6, v6, v6
	v_max_f32_e32 v5, v5, v8
	v_max_f32_e32 v6, v7, v6
	ds_bpermute_b32 v7, v10, v5
	ds_bpermute_b32 v8, v10, v6
	v_cndmask_b32_e64 v10, v72, v90, s[14:15]
	v_lshlrev_b32_e32 v10, 2, v10
	v_cmp_lt_i32_e64 s[14:15], v89, v93
	s_waitcnt lgkmcnt(1)
	v_max_f32_e32 v7, v7, v7
	s_waitcnt lgkmcnt(0)
	v_max_f32_e32 v8, v8, v8
	;; [unrolled: 11-line block ×3, first 2 shown]
	v_max_f32_e32 v5, v5, v7
	v_max_f32_e32 v6, v6, v8
	ds_bpermute_b32 v7, v10, v5
	ds_bpermute_b32 v8, v10, v6
	v_cndmask_b32_e64 v10, v72, v88, s[14:15]
	v_lshlrev_b32_e32 v10, 2, v10
	s_waitcnt lgkmcnt(1)
	v_max_f32_e32 v7, v7, v7
	s_waitcnt lgkmcnt(0)
	v_max_f32_e32 v8, v8, v8
	v_max_f32_e32 v5, v5, v7
	;; [unrolled: 1-line block ×3, first 2 shown]
	ds_bpermute_b32 v7, v10, v5
	ds_bpermute_b32 v8, v10, v6
	s_waitcnt lgkmcnt(1)
	v_max_f32_e32 v7, v7, v7
	s_waitcnt lgkmcnt(0)
	v_max_f32_e32 v8, v8, v8
	v_max_f32_e32 v63, v5, v7
	;; [unrolled: 1-line block ×3, first 2 shown]
	v_sub_f32_e32 v97, v2, v63
	v_sub_f32_e32 v2, v3, v63
	;; [unrolled: 1-line block ×3, first 2 shown]
	v_mul_f32_e32 v4, 0x3fb8aa3b, v2
	v_mul_f32_e32 v5, 0x3fb8aa3b, v3
	v_fma_f32 v6, v2, s46, -v4
	v_rndne_f32_e32 v7, v4
	v_fma_f32 v8, v3, s46, -v5
	v_rndne_f32_e32 v10, v5
	v_fmac_f32_e32 v6, 0x32a5705f, v2
	v_sub_f32_e32 v4, v4, v7
	v_fmac_f32_e32 v8, 0x32a5705f, v3
	v_sub_f32_e32 v5, v5, v10
	v_add_f32_e32 v4, v4, v6
	v_cvt_i32_f32_e32 v7, v7
	v_add_f32_e32 v5, v5, v8
	v_exp_f32_e32 v4, v4
	v_cvt_i32_f32_e32 v10, v10
	v_exp_f32_e32 v5, v5
	v_sub_f32_e32 v98, v1, v64
	v_ldexp_f32 v1, v4, v7
	v_cmp_ngt_f32_e64 s[16:17], s47, v2
	v_ldexp_f32 v4, v5, v10
	v_cndmask_b32_e64 v1, 0, v1, s[16:17]
	v_cmp_ngt_f32_e64 s[16:17], s47, v3
	v_cndmask_b32_e64 v4, 0, v4, s[16:17]
	v_cmp_nlt_f32_e64 s[16:17], s52, v2
	v_cndmask_b32_e64 v95, v85, v1, s[16:17]
	v_cmp_nlt_f32_e64 s[16:17], s52, v3
	v_cndmask_b32_e64 v94, v85, v4, s[16:17]
	v_cvt_f16_f32_e32 v1, v95
	v_cvt_f16_f32_e32 v2, v94
	v_cmp_ngt_f32_e64 s[14:15], s47, v97
	v_cmp_nlt_f32_e64 s[20:21], s52, v97
	v_cmp_ngt_f32_e64 s[16:17], s47, v98
	v_cmp_nlt_f32_e64 s[18:19], s52, v98
	v_pack_b32_f16 v1, v1, v2
	ds_write_b32 v9, v1
	s_and_saveexec_b64 s[36:37], s[8:9]
	s_cbranch_execnz .LBB24_36
; %bb.23:                               ;   in Loop: Header=BB24_14 Depth=1
	s_or_b64 exec, exec, s[36:37]
	s_and_saveexec_b64 s[36:37], s[10:11]
	s_cbranch_execnz .LBB24_37
.LBB24_24:                              ;   in Loop: Header=BB24_14 Depth=1
	s_or_b64 exec, exec, s[36:37]
	v_lshlrev_b32_e32 v99, 2, v80
	s_and_saveexec_b64 s[36:37], s[12:13]
	s_cbranch_execz .LBB24_26
.LBB24_25:                              ;   in Loop: Header=BB24_14 Depth=1
	v_mov_b32_e32 v1, s55
	v_add_co_u32_e64 v2, s[24:25], s54, v61
	v_addc_co_u32_e64 v3, s[24:25], v1, v62, s[24:25]
	v_add_co_u32_e64 v1, s[24:25], v2, v99
	v_addc_co_u32_e64 v2, s[24:25], 0, v3, s[24:25]
	global_load_dwordx4 v[1:4], v[1:2], off
	s_waitcnt vmcnt(0)
	ds_write_b128 v81, v[1:4]
.LBB24_26:                              ;   in Loop: Header=BB24_14 Depth=1
	s_or_b64 exec, exec, s[36:37]
	s_waitcnt lgkmcnt(0)
	s_barrier
	ds_read2_b64 v[29:32], v67 offset1:28
	ds_read_b128 v[45:48], v78
	ds_read_b128 v[41:44], v78 offset:16
	ds_read_b128 v[37:40], v78 offset:32
	;; [unrolled: 1-line block ×3, first 2 shown]
	ds_read2_b64 v[25:28], v67 offset0:56 offset1:84
	ds_read2_b64 v[21:24], v67 offset0:112 offset1:140
	;; [unrolled: 1-line block ×4, first 2 shown]
	v_add_u32_e32 v96, 0x800, v67
	ds_read2_b64 v[9:12], v96 offset0:24 offset1:52
	ds_read2_b64 v[5:8], v96 offset0:80 offset1:108
	;; [unrolled: 1-line block ×3, first 2 shown]
	s_or_b32 s24, s6, 16
	s_mul_hi_i32 s25, s24, s42
	s_mul_i32 s24, s24, s42
	s_lshl_b64 s[24:25], s[24:25], 2
	s_add_u32 s54, s40, s24
	s_addc_u32 s55, s41, s25
	s_waitcnt lgkmcnt(0)
	s_barrier
	s_and_saveexec_b64 s[36:37], s[8:9]
	s_cbranch_execnz .LBB24_38
; %bb.27:                               ;   in Loop: Header=BB24_14 Depth=1
	s_or_b64 exec, exec, s[36:37]
	s_and_saveexec_b64 s[36:37], s[10:11]
	s_cbranch_execnz .LBB24_39
.LBB24_28:                              ;   in Loop: Header=BB24_14 Depth=1
	s_or_b64 exec, exec, s[36:37]
	s_and_saveexec_b64 s[36:37], s[12:13]
	s_cbranch_execz .LBB24_30
.LBB24_29:                              ;   in Loop: Header=BB24_14 Depth=1
	v_mov_b32_e32 v100, s55
	v_add_co_u32_e64 v101, s[24:25], s54, v61
	v_addc_co_u32_e64 v100, s[24:25], v100, v62, s[24:25]
	v_add_co_u32_e64 v99, s[24:25], v101, v99
	v_addc_co_u32_e64 v100, s[24:25], 0, v100, s[24:25]
	global_load_dwordx4 v[99:102], v[99:100], off
	s_waitcnt vmcnt(0)
	ds_write_b128 v81, v[99:102]
.LBB24_30:                              ;   in Loop: Header=BB24_14 Depth=1
	s_or_b64 exec, exec, s[36:37]
	v_mul_f32_e32 v99, 0x3fb8aa3b, v97
	v_fma_f32 v100, v97, s46, -v99
	v_fmac_f32_e32 v100, 0x32a5705f, v97
	v_rndne_f32_e32 v97, v99
	v_sub_f32_e32 v99, v99, v97
	v_add_f32_e32 v99, v99, v100
	v_mul_f32_e32 v100, 0x3fb8aa3b, v98
	v_fma_f32 v101, v98, s46, -v100
	v_fmac_f32_e32 v101, 0x32a5705f, v98
	v_rndne_f32_e32 v98, v100
	v_sub_f32_e32 v100, v100, v98
	v_add_f32_e32 v100, v100, v101
	v_exp_f32_e32 v99, v99
	v_cvt_i32_f32_e32 v97, v97
	v_exp_f32_e32 v100, v100
	v_cvt_i32_f32_e32 v98, v98
	v_mul_u32_u24_sdwa v101, v41, s53 dst_sel:DWORD dst_unused:UNUSED_PAD src0_sel:WORD_0 src1_sel:DWORD
	v_ldexp_f32 v97, v99, v97
	v_cndmask_b32_e64 v97, 0, v97, s[14:15]
	v_ldexp_f32 v98, v100, v98
	v_cndmask_b32_e64 v98, 0, v98, s[16:17]
	v_cndmask_b32_e64 v97, v85, v97, s[20:21]
	;; [unrolled: 1-line block ×3, first 2 shown]
	v_cvt_f16_f32_e32 v99, v97
	v_cvt_f16_f32_e32 v100, v98
	v_fmac_f32_e32 v95, v86, v97
	v_fmac_f32_e32 v94, v87, v98
	v_mul_u32_u24_e32 v86, 0x10001, v99
	v_mul_u32_u24_e32 v87, 0x10001, v100
	v_mul_u32_u24_sdwa v97, v45, s53 dst_sel:DWORD dst_unused:UNUSED_PAD src0_sel:WORD_0 src1_sel:DWORD
	v_mul_u32_u24_sdwa v45, v45, s53 dst_sel:DWORD dst_unused:UNUSED_PAD src0_sel:WORD_1 src1_sel:DWORD
	v_pk_mul_f16 v71, v71, v86
	v_pk_mul_f16 v68, v68, v87
	;; [unrolled: 1-line block ×4, first 2 shown]
	v_mul_u32_u24_sdwa v98, v46, s53 dst_sel:DWORD dst_unused:UNUSED_PAD src0_sel:WORD_0 src1_sel:DWORD
	v_mul_u32_u24_sdwa v46, v46, s53 dst_sel:DWORD dst_unused:UNUSED_PAD src0_sel:WORD_1 src1_sel:DWORD
	v_pk_fma_f16 v70, v70, v86, v113
	v_pk_fma_f16 v29, v69, v87, v29
	v_pk_fma_f16 v69, v30, v97, v71
	v_pk_fma_f16 v30, v30, v45, v68
	v_mul_u32_u24_sdwa v99, v47, s53 dst_sel:DWORD dst_unused:UNUSED_PAD src0_sel:WORD_0 src1_sel:DWORD
	v_mul_u32_u24_sdwa v47, v47, s53 dst_sel:DWORD dst_unused:UNUSED_PAD src0_sel:WORD_1 src1_sel:DWORD
	v_pk_fma_f16 v45, v31, v98, v70
	v_pk_fma_f16 v29, v31, v46, v29
	v_pk_fma_f16 v31, v32, v98, v69
	v_pk_fma_f16 v30, v32, v46, v30
	;; [unrolled: 6-line block ×3, first 2 shown]
	v_mul_u32_u24_sdwa v41, v41, s53 dst_sel:DWORD dst_unused:UNUSED_PAD src0_sel:WORD_1 src1_sel:DWORD
	v_pk_fma_f16 v30, v27, v100, v32
	v_pk_fma_f16 v25, v27, v48, v25
	v_pk_fma_f16 v27, v28, v100, v29
	v_pk_fma_f16 v26, v28, v48, v26
	v_mul_u32_u24_sdwa v102, v42, s53 dst_sel:DWORD dst_unused:UNUSED_PAD src0_sel:WORD_0 src1_sel:DWORD
	v_mul_u32_u24_sdwa v42, v42, s53 dst_sel:DWORD dst_unused:UNUSED_PAD src0_sel:WORD_1 src1_sel:DWORD
	v_pk_fma_f16 v28, v21, v101, v30
	v_pk_fma_f16 v21, v21, v41, v25
	v_pk_fma_f16 v25, v22, v101, v27
	v_pk_fma_f16 v22, v22, v41, v26
	v_mul_u32_u24_sdwa v103, v43, s53 dst_sel:DWORD dst_unused:UNUSED_PAD src0_sel:WORD_0 src1_sel:DWORD
	v_mul_u32_u24_sdwa v43, v43, s53 dst_sel:DWORD dst_unused:UNUSED_PAD src0_sel:WORD_1 src1_sel:DWORD
	v_pk_fma_f16 v26, v23, v102, v28
	v_pk_fma_f16 v21, v23, v42, v21
	v_pk_fma_f16 v23, v24, v102, v25
	v_pk_fma_f16 v22, v24, v42, v22
	v_mul_u32_u24_sdwa v104, v44, s53 dst_sel:DWORD dst_unused:UNUSED_PAD src0_sel:WORD_0 src1_sel:DWORD
	v_mul_u32_u24_sdwa v44, v44, s53 dst_sel:DWORD dst_unused:UNUSED_PAD src0_sel:WORD_1 src1_sel:DWORD
	v_pk_fma_f16 v24, v17, v103, v26
	v_pk_fma_f16 v17, v17, v43, v21
	v_pk_fma_f16 v21, v18, v103, v23
	v_pk_fma_f16 v18, v18, v43, v22
	v_mul_u32_u24_sdwa v105, v37, s53 dst_sel:DWORD dst_unused:UNUSED_PAD src0_sel:WORD_0 src1_sel:DWORD
	v_mul_u32_u24_sdwa v37, v37, s53 dst_sel:DWORD dst_unused:UNUSED_PAD src0_sel:WORD_1 src1_sel:DWORD
	v_pk_fma_f16 v22, v19, v104, v24
	v_pk_fma_f16 v17, v19, v44, v17
	v_pk_fma_f16 v19, v20, v104, v21
	v_pk_fma_f16 v18, v20, v44, v18
	v_mul_u32_u24_sdwa v106, v38, s53 dst_sel:DWORD dst_unused:UNUSED_PAD src0_sel:WORD_0 src1_sel:DWORD
	v_mul_u32_u24_sdwa v38, v38, s53 dst_sel:DWORD dst_unused:UNUSED_PAD src0_sel:WORD_1 src1_sel:DWORD
	v_pk_fma_f16 v20, v13, v105, v22
	v_pk_fma_f16 v13, v13, v37, v17
	v_pk_fma_f16 v17, v14, v105, v19
	v_pk_fma_f16 v14, v14, v37, v18
	v_mul_u32_u24_sdwa v107, v39, s53 dst_sel:DWORD dst_unused:UNUSED_PAD src0_sel:WORD_0 src1_sel:DWORD
	v_mul_u32_u24_sdwa v39, v39, s53 dst_sel:DWORD dst_unused:UNUSED_PAD src0_sel:WORD_1 src1_sel:DWORD
	v_pk_fma_f16 v18, v15, v106, v20
	v_pk_fma_f16 v13, v15, v38, v13
	v_pk_fma_f16 v15, v16, v106, v17
	v_pk_fma_f16 v14, v16, v38, v14
	v_mul_u32_u24_sdwa v108, v40, s53 dst_sel:DWORD dst_unused:UNUSED_PAD src0_sel:WORD_0 src1_sel:DWORD
	v_mul_u32_u24_sdwa v40, v40, s53 dst_sel:DWORD dst_unused:UNUSED_PAD src0_sel:WORD_1 src1_sel:DWORD
	v_pk_fma_f16 v16, v9, v107, v18
	v_pk_fma_f16 v9, v9, v39, v13
	v_pk_fma_f16 v13, v10, v107, v15
	v_pk_fma_f16 v10, v10, v39, v14
	v_mul_u32_u24_sdwa v109, v33, s53 dst_sel:DWORD dst_unused:UNUSED_PAD src0_sel:WORD_0 src1_sel:DWORD
	v_mul_u32_u24_sdwa v33, v33, s53 dst_sel:DWORD dst_unused:UNUSED_PAD src0_sel:WORD_1 src1_sel:DWORD
	v_pk_fma_f16 v14, v11, v108, v16
	v_pk_fma_f16 v9, v11, v40, v9
	v_pk_fma_f16 v11, v12, v108, v13
	v_pk_fma_f16 v10, v12, v40, v10
	v_mul_u32_u24_sdwa v110, v34, s53 dst_sel:DWORD dst_unused:UNUSED_PAD src0_sel:WORD_0 src1_sel:DWORD
	v_mul_u32_u24_sdwa v34, v34, s53 dst_sel:DWORD dst_unused:UNUSED_PAD src0_sel:WORD_1 src1_sel:DWORD
	v_pk_fma_f16 v12, v5, v109, v14
	v_pk_fma_f16 v5, v5, v33, v9
	v_pk_fma_f16 v9, v6, v109, v11
	v_pk_fma_f16 v6, v6, v33, v10
	v_mul_u32_u24_sdwa v111, v35, s53 dst_sel:DWORD dst_unused:UNUSED_PAD src0_sel:WORD_0 src1_sel:DWORD
	v_mul_u32_u24_sdwa v35, v35, s53 dst_sel:DWORD dst_unused:UNUSED_PAD src0_sel:WORD_1 src1_sel:DWORD
	v_pk_fma_f16 v10, v7, v110, v12
	v_pk_fma_f16 v5, v7, v34, v5
	v_pk_fma_f16 v7, v8, v110, v9
	v_pk_fma_f16 v6, v8, v34, v6
	v_mul_u32_u24_sdwa v112, v36, s53 dst_sel:DWORD dst_unused:UNUSED_PAD src0_sel:WORD_0 src1_sel:DWORD
	v_mul_u32_u24_sdwa v36, v36, s53 dst_sel:DWORD dst_unused:UNUSED_PAD src0_sel:WORD_1 src1_sel:DWORD
	v_pk_fma_f16 v8, v1, v111, v10
	v_pk_fma_f16 v1, v1, v35, v5
	;; [unrolled: 1-line block ×8, first 2 shown]
	s_waitcnt lgkmcnt(0)
	s_barrier
	ds_read_b128 v[1:4], v78 offset:64
	ds_read2_b64 v[5:8], v67 offset1:28
	ds_read_b128 v[9:12], v78 offset:80
	ds_read_b128 v[13:16], v78 offset:96
	;; [unrolled: 1-line block ×3, first 2 shown]
	s_waitcnt lgkmcnt(4)
	v_mul_u32_u24_sdwa v25, v1, s53 dst_sel:DWORD dst_unused:UNUSED_PAD src0_sel:WORD_0 src1_sel:DWORD
	v_mul_u32_u24_sdwa v1, v1, s53 dst_sel:DWORD dst_unused:UNUSED_PAD src0_sel:WORD_1 src1_sel:DWORD
	s_waitcnt lgkmcnt(3)
	v_pk_fma_f16 v21, v5, v25, v21
	v_pk_fma_f16 v5, v5, v1, v22
	;; [unrolled: 1-line block ×4, first 2 shown]
	v_mul_u32_u24_sdwa v6, v2, s53 dst_sel:DWORD dst_unused:UNUSED_PAD src0_sel:WORD_0 src1_sel:DWORD
	v_pk_fma_f16 v26, v7, v6, v21
	ds_read2_b64 v[21:24], v67 offset0:56 offset1:84
	v_mul_u32_u24_sdwa v2, v2, s53 dst_sel:DWORD dst_unused:UNUSED_PAD src0_sel:WORD_1 src1_sel:DWORD
	v_pk_fma_f16 v5, v7, v2, v5
	v_pk_fma_f16 v6, v8, v6, v25
	;; [unrolled: 1-line block ×3, first 2 shown]
	v_mul_u32_u24_sdwa v2, v3, s53 dst_sel:DWORD dst_unused:UNUSED_PAD src0_sel:WORD_0 src1_sel:DWORD
	v_mul_u32_u24_sdwa v3, v3, s53 dst_sel:DWORD dst_unused:UNUSED_PAD src0_sel:WORD_1 src1_sel:DWORD
	s_waitcnt lgkmcnt(0)
	v_pk_fma_f16 v7, v21, v2, v26
	v_pk_fma_f16 v5, v21, v3, v5
	;; [unrolled: 1-line block ×4, first 2 shown]
	v_mul_u32_u24_sdwa v21, v4, s53 dst_sel:DWORD dst_unused:UNUSED_PAD src0_sel:WORD_0 src1_sel:DWORD
	v_mul_u32_u24_sdwa v22, v4, s53 dst_sel:DWORD dst_unused:UNUSED_PAD src0_sel:WORD_1 src1_sel:DWORD
	ds_read2_b64 v[1:4], v67 offset0:112 offset1:140
	v_pk_fma_f16 v7, v23, v21, v7
	v_pk_fma_f16 v5, v23, v22, v5
	;; [unrolled: 1-line block ×4, first 2 shown]
	v_mul_u32_u24_sdwa v21, v9, s53 dst_sel:DWORD dst_unused:UNUSED_PAD src0_sel:WORD_0 src1_sel:DWORD
	v_mul_u32_u24_sdwa v9, v9, s53 dst_sel:DWORD dst_unused:UNUSED_PAD src0_sel:WORD_1 src1_sel:DWORD
	s_waitcnt lgkmcnt(0)
	v_pk_fma_f16 v7, v1, v21, v7
	v_pk_fma_f16 v1, v1, v9, v5
	;; [unrolled: 1-line block ×4, first 2 shown]
	v_mul_u32_u24_sdwa v9, v10, s53 dst_sel:DWORD dst_unused:UNUSED_PAD src0_sel:WORD_0 src1_sel:DWORD
	v_pk_fma_f16 v22, v3, v9, v7
	ds_read2_b64 v[5:8], v67 offset0:168 offset1:196
	v_mul_u32_u24_sdwa v10, v10, s53 dst_sel:DWORD dst_unused:UNUSED_PAD src0_sel:WORD_1 src1_sel:DWORD
	v_pk_fma_f16 v1, v3, v10, v1
	v_pk_fma_f16 v3, v4, v9, v21
	v_pk_fma_f16 v2, v4, v10, v2
	v_mul_u32_u24_sdwa v4, v11, s53 dst_sel:DWORD dst_unused:UNUSED_PAD src0_sel:WORD_0 src1_sel:DWORD
	v_mul_u32_u24_sdwa v9, v11, s53 dst_sel:DWORD dst_unused:UNUSED_PAD src0_sel:WORD_1 src1_sel:DWORD
	s_waitcnt lgkmcnt(0)
	v_pk_fma_f16 v10, v5, v4, v22
	v_pk_fma_f16 v1, v5, v9, v1
	;; [unrolled: 1-line block ×4, first 2 shown]
	v_mul_u32_u24_sdwa v9, v12, s53 dst_sel:DWORD dst_unused:UNUSED_PAD src0_sel:WORD_0 src1_sel:DWORD
	v_mul_u32_u24_sdwa v11, v12, s53 dst_sel:DWORD dst_unused:UNUSED_PAD src0_sel:WORD_1 src1_sel:DWORD
	v_pk_fma_f16 v10, v7, v9, v10
	v_pk_fma_f16 v7, v7, v11, v1
	ds_read2_b64 v[1:4], v67 offset0:224 offset1:252
	v_pk_fma_f16 v5, v8, v9, v5
	v_pk_fma_f16 v6, v8, v11, v6
	v_mul_u32_u24_sdwa v8, v13, s53 dst_sel:DWORD dst_unused:UNUSED_PAD src0_sel:WORD_0 src1_sel:DWORD
	v_mul_u32_u24_sdwa v9, v13, s53 dst_sel:DWORD dst_unused:UNUSED_PAD src0_sel:WORD_1 src1_sel:DWORD
	s_waitcnt lgkmcnt(0)
	v_pk_fma_f16 v10, v1, v8, v10
	v_pk_fma_f16 v1, v1, v9, v7
	;; [unrolled: 1-line block ×4, first 2 shown]
	ds_read2_b64 v[5:8], v96 offset0:24 offset1:52
	v_mul_u32_u24_sdwa v9, v14, s53 dst_sel:DWORD dst_unused:UNUSED_PAD src0_sel:WORD_0 src1_sel:DWORD
	v_mul_u32_u24_sdwa v12, v14, s53 dst_sel:DWORD dst_unused:UNUSED_PAD src0_sel:WORD_1 src1_sel:DWORD
	v_pk_fma_f16 v10, v3, v9, v10
	v_pk_fma_f16 v1, v3, v12, v1
	;; [unrolled: 1-line block ×4, first 2 shown]
	v_mul_u32_u24_sdwa v4, v15, s53 dst_sel:DWORD dst_unused:UNUSED_PAD src0_sel:WORD_0 src1_sel:DWORD
	v_mul_u32_u24_sdwa v9, v15, s53 dst_sel:DWORD dst_unused:UNUSED_PAD src0_sel:WORD_1 src1_sel:DWORD
	s_waitcnt lgkmcnt(0)
	v_pk_fma_f16 v10, v5, v4, v10
	v_pk_fma_f16 v1, v5, v9, v1
	;; [unrolled: 1-line block ×4, first 2 shown]
	v_mul_u32_u24_sdwa v9, v16, s53 dst_sel:DWORD dst_unused:UNUSED_PAD src0_sel:WORD_0 src1_sel:DWORD
	v_mul_u32_u24_sdwa v11, v16, s53 dst_sel:DWORD dst_unused:UNUSED_PAD src0_sel:WORD_1 src1_sel:DWORD
	v_pk_fma_f16 v10, v7, v9, v10
	v_pk_fma_f16 v7, v7, v11, v1
	ds_read2_b64 v[1:4], v96 offset0:80 offset1:108
	v_pk_fma_f16 v5, v8, v9, v5
	v_pk_fma_f16 v6, v8, v11, v6
	v_mul_u32_u24_sdwa v8, v17, s53 dst_sel:DWORD dst_unused:UNUSED_PAD src0_sel:WORD_0 src1_sel:DWORD
	v_mul_u32_u24_sdwa v9, v17, s53 dst_sel:DWORD dst_unused:UNUSED_PAD src0_sel:WORD_1 src1_sel:DWORD
	s_waitcnt lgkmcnt(0)
	v_pk_fma_f16 v10, v1, v8, v10
	v_pk_fma_f16 v1, v1, v9, v7
	;; [unrolled: 1-line block ×4, first 2 shown]
	ds_read2_b64 v[5:8], v96 offset0:136 offset1:164
	s_waitcnt lgkmcnt(0)
	s_barrier
	s_load_dword s14, s[34:35], 0x4
	v_mul_u32_u24_sdwa v9, v18, s53 dst_sel:DWORD dst_unused:UNUSED_PAD src0_sel:WORD_0 src1_sel:DWORD
	v_mul_u32_u24_sdwa v12, v18, s53 dst_sel:DWORD dst_unused:UNUSED_PAD src0_sel:WORD_1 src1_sel:DWORD
	v_pk_fma_f16 v10, v3, v9, v10
	v_pk_fma_f16 v1, v3, v12, v1
	;; [unrolled: 1-line block ×4, first 2 shown]
	v_mul_u32_u24_sdwa v4, v19, s53 dst_sel:DWORD dst_unused:UNUSED_PAD src0_sel:WORD_0 src1_sel:DWORD
	v_mul_u32_u24_sdwa v9, v19, s53 dst_sel:DWORD dst_unused:UNUSED_PAD src0_sel:WORD_1 src1_sel:DWORD
	s_waitcnt lgkmcnt(0)
	s_lshl_b32 s14, s14, 5
	v_pk_fma_f16 v10, v5, v4, v10
	v_pk_fma_f16 v1, v5, v9, v1
	;; [unrolled: 1-line block ×4, first 2 shown]
	v_mul_u32_u24_sdwa v4, v20, s53 dst_sel:DWORD dst_unused:UNUSED_PAD src0_sel:WORD_0 src1_sel:DWORD
	v_mul_u32_u24_sdwa v5, v20, s53 dst_sel:DWORD dst_unused:UNUSED_PAD src0_sel:WORD_1 src1_sel:DWORD
	s_add_i32 s6, s14, s6
	v_pk_fma_f16 v70, v7, v4, v10
	v_pk_fma_f16 v69, v7, v5, v1
	;; [unrolled: 1-line block ×3, first 2 shown]
	s_cmp_ge_i32 s6, s28
	v_pk_fma_f16 v68, v8, v5, v2
	s_cbranch_scc1 .LBB24_9
; %bb.31:                               ;   in Loop: Header=BB24_14 Depth=1
	v_mov_b32_e32 v2, v63
	v_mov_b32_e32 v1, v64
	;; [unrolled: 1-line block ×4, first 2 shown]
	s_branch .LBB24_14
.LBB24_32:                              ;   in Loop: Header=BB24_14 Depth=1
	v_mov_b32_e32 v4, s19
	v_add_co_u32_e64 v3, s[14:15], s18, v51
	v_addc_co_u32_e64 v4, s[14:15], v4, v52, s[14:15]
	global_load_dwordx4 v[3:6], v[3:4], off offset:96
	s_waitcnt vmcnt(0)
	ds_write_b128 v74, v[3:6]
	s_or_b64 exec, exec, s[16:17]
	s_and_saveexec_b64 s[16:17], s[2:3]
	s_cbranch_execz .LBB24_16
.LBB24_33:                              ;   in Loop: Header=BB24_14 Depth=1
	v_mov_b32_e32 v3, s19
	v_add_co_u32_e64 v4, s[14:15], s18, v53
	v_addc_co_u32_e64 v5, s[14:15], v3, v54, s[14:15]
	v_add_co_u32_e64 v3, s[14:15], v4, v83
	v_addc_co_u32_e64 v4, s[14:15], 0, v5, s[14:15]
	global_load_dwordx4 v[3:6], v[3:4], off offset:64
	s_waitcnt vmcnt(0)
	ds_write_b128 v75, v[3:6]
	s_or_b64 exec, exec, s[16:17]
	s_and_saveexec_b64 s[16:17], s[22:23]
	s_cbranch_execnz .LBB24_17
	s_branch .LBB24_18
.LBB24_34:                              ;   in Loop: Header=BB24_14 Depth=1
	v_mov_b32_e32 v6, s19
	v_add_co_u32_e64 v5, s[14:15], s18, v51
	v_addc_co_u32_e64 v6, s[14:15], v6, v52, s[14:15]
	global_load_dwordx4 v[5:8], v[5:6], off offset:208
	s_waitcnt vmcnt(0)
	ds_write_b128 v74, v[5:8]
	s_or_b64 exec, exec, s[16:17]
	s_and_saveexec_b64 s[16:17], s[2:3]
	s_cbranch_execz .LBB24_20
.LBB24_35:                              ;   in Loop: Header=BB24_14 Depth=1
	v_mov_b32_e32 v5, s19
	v_add_co_u32_e64 v6, s[14:15], s18, v53
	v_addc_co_u32_e64 v7, s[14:15], v5, v54, s[14:15]
	v_add_co_u32_e64 v5, s[14:15], v6, v83
	v_addc_co_u32_e64 v6, s[14:15], 0, v7, s[14:15]
	global_load_dwordx4 v[5:8], v[5:6], off offset:176
	s_waitcnt vmcnt(0)
	ds_write_b128 v75, v[5:8]
	s_or_b64 exec, exec, s[16:17]
	s_and_saveexec_b64 s[16:17], s[22:23]
	s_cbranch_execnz .LBB24_21
	s_branch .LBB24_22
.LBB24_36:                              ;   in Loop: Header=BB24_14 Depth=1
	v_mov_b32_e32 v1, s55
	v_add_co_u32_e64 v2, s[24:25], s54, v57
	v_addc_co_u32_e64 v3, s[24:25], v1, v58, s[24:25]
	v_add_co_u32_e64 v1, s[24:25], v2, v83
	v_addc_co_u32_e64 v2, s[24:25], 0, v3, s[24:25]
	global_load_dwordx4 v[1:4], v[1:2], off offset:192
	s_waitcnt vmcnt(0)
	ds_write_b128 v82, v[1:4]
	s_or_b64 exec, exec, s[36:37]
	s_and_saveexec_b64 s[36:37], s[10:11]
	s_cbranch_execz .LBB24_24
.LBB24_37:                              ;   in Loop: Header=BB24_14 Depth=1
	v_mov_b32_e32 v1, s55
	v_add_co_u32_e64 v2, s[24:25], s54, v59
	v_addc_co_u32_e64 v3, s[24:25], v1, v60, s[24:25]
	v_add_co_u32_e64 v1, s[24:25], v2, v84
	v_addc_co_u32_e64 v2, s[24:25], 0, v3, s[24:25]
	global_load_dwordx4 v[1:4], v[1:2], off offset:128
	s_waitcnt vmcnt(0)
	ds_write_b128 v79, v[1:4]
	s_or_b64 exec, exec, s[36:37]
	v_lshlrev_b32_e32 v99, 2, v80
	s_and_saveexec_b64 s[36:37], s[12:13]
	s_cbranch_execnz .LBB24_25
	s_branch .LBB24_26
.LBB24_38:                              ;   in Loop: Header=BB24_14 Depth=1
	v_mov_b32_e32 v100, s55
	v_add_co_u32_e64 v101, s[24:25], s54, v57
	v_addc_co_u32_e64 v102, s[24:25], v100, v58, s[24:25]
	v_add_co_u32_e64 v100, s[24:25], v101, v83
	v_addc_co_u32_e64 v101, s[24:25], 0, v102, s[24:25]
	global_load_dwordx4 v[100:103], v[100:101], off offset:192
	s_waitcnt vmcnt(0)
	ds_write_b128 v82, v[100:103]
	s_or_b64 exec, exec, s[36:37]
	s_and_saveexec_b64 s[36:37], s[10:11]
	s_cbranch_execz .LBB24_28
.LBB24_39:                              ;   in Loop: Header=BB24_14 Depth=1
	v_mov_b32_e32 v100, s55
	v_add_co_u32_e64 v101, s[24:25], s54, v59
	v_addc_co_u32_e64 v102, s[24:25], v100, v60, s[24:25]
	v_add_co_u32_e64 v100, s[24:25], v101, v84
	v_addc_co_u32_e64 v101, s[24:25], 0, v102, s[24:25]
	global_load_dwordx4 v[100:103], v[100:101], off offset:128
	s_waitcnt vmcnt(0)
	ds_write_b128 v79, v[100:103]
	s_or_b64 exec, exec, s[36:37]
	s_and_saveexec_b64 s[36:37], s[12:13]
	s_cbranch_execnz .LBB24_29
	s_branch .LBB24_30
.LBB24_40:
	v_mov_b32_e32 v4, v2
	v_mov_b32_e32 v3, v1
	v_cmp_gt_i32_e32 vcc, s26, v65
	s_and_saveexec_b64 s[2:3], vcc
	s_cbranch_execz .LBB24_11
.LBB24_41:
	s_load_dword s6, s[4:5], 0xd4
	v_mov_b32_e32 v6, 1.0
	s_waitcnt lgkmcnt(0)
	s_cmp_lg_u32 s6, 1
	s_cselect_b64 s[4:5], -1, 0
	s_cmp_eq_u32 s6, 1
	s_cselect_b64 s[2:3], -1, 0
	s_and_b64 vcc, exec, s[4:5]
	s_cbranch_vccnz .LBB24_43
; %bb.42:
	v_div_scale_f32 v5, s[8:9], v1, v1, 1.0
	v_div_scale_f32 v6, vcc, 1.0, v1, 1.0
	v_rcp_f32_e32 v7, v5
	v_fma_f32 v8, -v5, v7, 1.0
	v_fmac_f32_e32 v7, v8, v7
	v_mul_f32_e32 v8, v6, v7
	v_fma_f32 v9, -v5, v8, v6
	v_fmac_f32_e32 v8, v9, v7
	v_fma_f32 v5, -v5, v8, v6
	v_div_fmas_f32 v5, v5, v7, v8
	v_div_fixup_f32 v6, v5, v1, 1.0
.LBB24_43:
	s_mul_i32 s33, s33, s26
	v_add_u32_e32 v1, s33, v65
	v_mul_lo_u32 v1, v1, s27
	v_add3_u32 v1, s29, v66, v1
	v_mul_lo_u32 v1, s6, v1
	v_add_u32_e32 v5, s7, v1
	s_and_saveexec_b64 s[8:9], s[0:1]
	s_cbranch_execz .LBB24_45
; %bb.44:
	s_movk_i32 s10, 0x70
	v_mad_u64_u32 v[7:8], s[10:11], v5, s10, v[49:50]
	v_mov_b32_e32 v8, 0
	v_mov_b32_e32 v9, s49
	v_lshlrev_b64 v[7:8], 2, v[7:8]
	v_cvt_f32_f16_sdwa v12, v70 dst_sel:DWORD dst_unused:UNUSED_PAD src0_sel:WORD_1
	v_add_co_u32_e32 v10, vcc, s48, v7
	v_addc_co_u32_e32 v11, vcc, v9, v8, vcc
	v_cvt_f32_f16_sdwa v7, v71 dst_sel:DWORD dst_unused:UNUSED_PAD src0_sel:WORD_1
	v_cvt_f32_f16_e32 v8, v71
	v_cvt_f32_f16_e32 v13, v70
	v_mul_f32_e32 v9, v6, v7
	v_mul_f32_e32 v8, v6, v8
	;; [unrolled: 1-line block ×4, first 2 shown]
	global_store_dwordx4 v[10:11], v[6:9], off
.LBB24_45:
	s_or_b64 exec, exec, s[8:9]
	v_cmp_eq_u32_e32 vcc, 0, v0
	s_and_b64 s[4:5], vcc, s[4:5]
	s_and_saveexec_b64 s[8:9], s[4:5]
	s_cbranch_execnz .LBB24_49
; %bb.46:
	s_or_b64 exec, exec, s[8:9]
	s_andn2_b64 vcc, exec, s[2:3]
	v_mov_b32_e32 v3, 1.0
	s_cbranch_vccz .LBB24_50
.LBB24_47:
	s_add_i32 s7, s7, s6
	v_add_u32_e32 v0, s7, v1
	s_and_saveexec_b64 s[2:3], s[0:1]
	s_cbranch_execnz .LBB24_51
.LBB24_48:
	s_or_b64 exec, exec, s[2:3]
	s_and_b64 exec, exec, s[4:5]
	s_cbranch_execz .LBB24_11
	s_branch .LBB24_52
.LBB24_49:
	v_ashrrev_i32_e32 v6, 31, v5
	v_lshlrev_b64 v[5:6], 3, v[5:6]
	v_mov_b32_e32 v0, s51
	v_add_co_u32_e32 v5, vcc, s50, v5
	v_addc_co_u32_e32 v6, vcc, v0, v6, vcc
	v_mov_b32_e32 v7, v63
	v_mov_b32_e32 v8, v3
	global_store_dwordx2 v[5:6], v[7:8], off
	s_or_b64 exec, exec, s[8:9]
	s_andn2_b64 vcc, exec, s[2:3]
	v_mov_b32_e32 v3, 1.0
	s_cbranch_vccnz .LBB24_47
.LBB24_50:
	v_div_scale_f32 v0, s[2:3], v2, v2, 1.0
	v_div_scale_f32 v3, vcc, 1.0, v2, 1.0
	v_rcp_f32_e32 v5, v0
	v_fma_f32 v6, -v0, v5, 1.0
	v_fmac_f32_e32 v5, v6, v5
	v_mul_f32_e32 v6, v3, v5
	v_fma_f32 v7, -v0, v6, v3
	v_fmac_f32_e32 v6, v7, v5
	v_fma_f32 v0, -v0, v6, v3
	v_div_fmas_f32 v0, v0, v5, v6
	v_div_fixup_f32 v3, v0, v2, 1.0
	s_add_i32 s7, s7, s6
	v_add_u32_e32 v0, s7, v1
	s_and_saveexec_b64 s[2:3], s[0:1]
	s_cbranch_execz .LBB24_48
.LBB24_51:
	s_movk_i32 s0, 0x70
	v_mad_u64_u32 v[1:2], s[0:1], v0, s0, v[49:50]
	v_mov_b32_e32 v2, 0
	v_mov_b32_e32 v5, s49
	v_lshlrev_b64 v[1:2], 2, v[1:2]
	v_cvt_f32_f16_e32 v6, v68
	v_add_co_u32_e32 v1, vcc, s48, v1
	v_addc_co_u32_e32 v2, vcc, v5, v2, vcc
	v_cvt_f32_f16_sdwa v5, v68 dst_sel:DWORD dst_unused:UNUSED_PAD src0_sel:WORD_1
	v_cvt_f32_f16_sdwa v9, v69 dst_sel:DWORD dst_unused:UNUSED_PAD src0_sel:WORD_1
	v_cvt_f32_f16_e32 v10, v69
	v_mul_f32_e32 v7, v3, v6
	v_mul_f32_e32 v8, v3, v5
	;; [unrolled: 1-line block ×4, first 2 shown]
	global_store_dwordx4 v[1:2], v[5:8], off
	s_or_b64 exec, exec, s[2:3]
	s_and_b64 exec, exec, s[4:5]
	s_cbranch_execz .LBB24_11
.LBB24_52:
	v_ashrrev_i32_e32 v1, 31, v0
	v_lshlrev_b64 v[0:1], 3, v[0:1]
	v_mov_b32_e32 v2, s51
	v_add_co_u32_e32 v0, vcc, s50, v0
	v_addc_co_u32_e32 v1, vcc, v2, v1, vcc
	v_mov_b32_e32 v3, v64
	global_store_dwordx2 v[0:1], v[3:4], off
	s_endpgm
	.section	.rodata,"a",@progbits
	.p2align	6, 0x0
	.amdhsa_kernel _ZL15flash_attn_tileILi112ELi112ELi4ELi4ELb0EEvPKcS1_S1_S1_S1_PKiPfP15HIP_vector_typeIfLj2EEffffjfiS5_IjLj3EEiiiiiiiiiiiliiliiiiil
		.amdhsa_group_segment_fixed_size 8768
		.amdhsa_private_segment_fixed_size 0
		.amdhsa_kernarg_size 464
		.amdhsa_user_sgpr_count 6
		.amdhsa_user_sgpr_private_segment_buffer 1
		.amdhsa_user_sgpr_dispatch_ptr 0
		.amdhsa_user_sgpr_queue_ptr 0
		.amdhsa_user_sgpr_kernarg_segment_ptr 1
		.amdhsa_user_sgpr_dispatch_id 0
		.amdhsa_user_sgpr_flat_scratch_init 0
		.amdhsa_user_sgpr_private_segment_size 0
		.amdhsa_uses_dynamic_stack 0
		.amdhsa_system_sgpr_private_segment_wavefront_offset 0
		.amdhsa_system_sgpr_workgroup_id_x 1
		.amdhsa_system_sgpr_workgroup_id_y 1
		.amdhsa_system_sgpr_workgroup_id_z 1
		.amdhsa_system_sgpr_workgroup_info 0
		.amdhsa_system_vgpr_workitem_id 1
		.amdhsa_next_free_vgpr 114
		.amdhsa_next_free_sgpr 77
		.amdhsa_reserve_vcc 1
		.amdhsa_reserve_flat_scratch 0
		.amdhsa_float_round_mode_32 0
		.amdhsa_float_round_mode_16_64 0
		.amdhsa_float_denorm_mode_32 3
		.amdhsa_float_denorm_mode_16_64 3
		.amdhsa_dx10_clamp 1
		.amdhsa_ieee_mode 1
		.amdhsa_fp16_overflow 0
		.amdhsa_exception_fp_ieee_invalid_op 0
		.amdhsa_exception_fp_denorm_src 0
		.amdhsa_exception_fp_ieee_div_zero 0
		.amdhsa_exception_fp_ieee_overflow 0
		.amdhsa_exception_fp_ieee_underflow 0
		.amdhsa_exception_fp_ieee_inexact 0
		.amdhsa_exception_int_div_zero 0
	.end_amdhsa_kernel
	.section	.text._ZL15flash_attn_tileILi112ELi112ELi4ELi4ELb0EEvPKcS1_S1_S1_S1_PKiPfP15HIP_vector_typeIfLj2EEffffjfiS5_IjLj3EEiiiiiiiiiiiliiliiiiil,"axG",@progbits,_ZL15flash_attn_tileILi112ELi112ELi4ELi4ELb0EEvPKcS1_S1_S1_S1_PKiPfP15HIP_vector_typeIfLj2EEffffjfiS5_IjLj3EEiiiiiiiiiiiliiliiiiil,comdat
.Lfunc_end24:
	.size	_ZL15flash_attn_tileILi112ELi112ELi4ELi4ELb0EEvPKcS1_S1_S1_S1_PKiPfP15HIP_vector_typeIfLj2EEffffjfiS5_IjLj3EEiiiiiiiiiiiliiliiiiil, .Lfunc_end24-_ZL15flash_attn_tileILi112ELi112ELi4ELi4ELb0EEvPKcS1_S1_S1_S1_PKiPfP15HIP_vector_typeIfLj2EEffffjfiS5_IjLj3EEiiiiiiiiiiiliiliiiiil
                                        ; -- End function
	.set _ZL15flash_attn_tileILi112ELi112ELi4ELi4ELb0EEvPKcS1_S1_S1_S1_PKiPfP15HIP_vector_typeIfLj2EEffffjfiS5_IjLj3EEiiiiiiiiiiiliiliiiiil.num_vgpr, 114
	.set _ZL15flash_attn_tileILi112ELi112ELi4ELi4ELb0EEvPKcS1_S1_S1_S1_PKiPfP15HIP_vector_typeIfLj2EEffffjfiS5_IjLj3EEiiiiiiiiiiiliiliiiiil.num_agpr, 0
	.set _ZL15flash_attn_tileILi112ELi112ELi4ELi4ELb0EEvPKcS1_S1_S1_S1_PKiPfP15HIP_vector_typeIfLj2EEffffjfiS5_IjLj3EEiiiiiiiiiiiliiliiiiil.numbered_sgpr, 56
	.set _ZL15flash_attn_tileILi112ELi112ELi4ELi4ELb0EEvPKcS1_S1_S1_S1_PKiPfP15HIP_vector_typeIfLj2EEffffjfiS5_IjLj3EEiiiiiiiiiiiliiliiiiil.num_named_barrier, 0
	.set _ZL15flash_attn_tileILi112ELi112ELi4ELi4ELb0EEvPKcS1_S1_S1_S1_PKiPfP15HIP_vector_typeIfLj2EEffffjfiS5_IjLj3EEiiiiiiiiiiiliiliiiiil.private_seg_size, 0
	.set _ZL15flash_attn_tileILi112ELi112ELi4ELi4ELb0EEvPKcS1_S1_S1_S1_PKiPfP15HIP_vector_typeIfLj2EEffffjfiS5_IjLj3EEiiiiiiiiiiiliiliiiiil.uses_vcc, 1
	.set _ZL15flash_attn_tileILi112ELi112ELi4ELi4ELb0EEvPKcS1_S1_S1_S1_PKiPfP15HIP_vector_typeIfLj2EEffffjfiS5_IjLj3EEiiiiiiiiiiiliiliiiiil.uses_flat_scratch, 0
	.set _ZL15flash_attn_tileILi112ELi112ELi4ELi4ELb0EEvPKcS1_S1_S1_S1_PKiPfP15HIP_vector_typeIfLj2EEffffjfiS5_IjLj3EEiiiiiiiiiiiliiliiiiil.has_dyn_sized_stack, 0
	.set _ZL15flash_attn_tileILi112ELi112ELi4ELi4ELb0EEvPKcS1_S1_S1_S1_PKiPfP15HIP_vector_typeIfLj2EEffffjfiS5_IjLj3EEiiiiiiiiiiiliiliiiiil.has_recursion, 0
	.set _ZL15flash_attn_tileILi112ELi112ELi4ELi4ELb0EEvPKcS1_S1_S1_S1_PKiPfP15HIP_vector_typeIfLj2EEffffjfiS5_IjLj3EEiiiiiiiiiiiliiliiiiil.has_indirect_call, 0
	.section	.AMDGPU.csdata,"",@progbits
; Kernel info:
; codeLenInByte = 8216
; TotalNumSgprs: 60
; NumVgprs: 114
; ScratchSize: 0
; MemoryBound: 0
; FloatMode: 240
; IeeeMode: 1
; LDSByteSize: 8768 bytes/workgroup (compile time only)
; SGPRBlocks: 10
; VGPRBlocks: 28
; NumSGPRsForWavesPerEU: 81
; NumVGPRsForWavesPerEU: 114
; Occupancy: 2
; WaveLimiterHint : 1
; COMPUTE_PGM_RSRC2:SCRATCH_EN: 0
; COMPUTE_PGM_RSRC2:USER_SGPR: 6
; COMPUTE_PGM_RSRC2:TRAP_HANDLER: 0
; COMPUTE_PGM_RSRC2:TGID_X_EN: 1
; COMPUTE_PGM_RSRC2:TGID_Y_EN: 1
; COMPUTE_PGM_RSRC2:TGID_Z_EN: 1
; COMPUTE_PGM_RSRC2:TIDIG_COMP_CNT: 1
	.section	.text._ZL33flash_attn_stream_k_fixup_uniformILi112ELi4ELi4EEvPfPK15HIP_vector_typeIfLj2EEiiiiiiS1_IjLj3EES5_S5_,"axG",@progbits,_ZL33flash_attn_stream_k_fixup_uniformILi112ELi4ELi4EEvPfPK15HIP_vector_typeIfLj2EEiiiiiiS1_IjLj3EES5_S5_,comdat
	.globl	_ZL33flash_attn_stream_k_fixup_uniformILi112ELi4ELi4EEvPfPK15HIP_vector_typeIfLj2EEiiiiiiS1_IjLj3EES5_S5_ ; -- Begin function _ZL33flash_attn_stream_k_fixup_uniformILi112ELi4ELi4EEvPfPK15HIP_vector_typeIfLj2EEiiiiiiS1_IjLj3EES5_S5_
	.p2align	8
	.type	_ZL33flash_attn_stream_k_fixup_uniformILi112ELi4ELi4EEvPfPK15HIP_vector_typeIfLj2EEiiiiiiS1_IjLj3EES5_S5_,@function
_ZL33flash_attn_stream_k_fixup_uniformILi112ELi4ELi4EEvPfPK15HIP_vector_typeIfLj2EEiiiiiiS1_IjLj3EES5_S5_: ; @_ZL33flash_attn_stream_k_fixup_uniformILi112ELi4ELi4EEvPfPK15HIP_vector_typeIfLj2EEiiiiiiS1_IjLj3EES5_S5_
; %bb.0:
	s_load_dwordx8 s[12:19], s[4:5], 0x1c
	s_load_dwordx2 s[10:11], s[4:5], 0x10
	s_load_dwordx4 s[0:3], s[4:5], 0x3c
	s_waitcnt lgkmcnt(0)
	s_mul_hi_u32 s9, s15, s6
	s_add_i32 s9, s6, s9
	s_lshr_b32 s9, s9, s16
	s_mul_i32 s15, s9, s17
	s_sub_i32 s16, s6, s15
	s_mul_hi_u32 s15, s16, s18
	s_add_i32 s15, s16, s15
	s_lshr_b32 s15, s15, s19
	s_mul_i32 s0, s15, s0
	s_sub_i32 s0, s16, s0
	;; [unrolled: 5-line block ×3, first 2 shown]
	s_lshl_b32 s0, s16, 2
	s_lshl_b32 s17, s1, 2
	s_add_i32 s0, s0, s7
	s_cmp_lt_i32 s0, s10
	s_cselect_b64 s[0:1], -1, 0
	s_add_i32 s17, s17, s8
	s_cmp_lt_i32 s17, s13
	s_cselect_b64 s[2:3], -1, 0
	s_and_b64 s[0:1], s[0:1], s[2:3]
	s_andn2_b64 vcc, exec, s[0:1]
	s_cbranch_vccnz .LBB25_6
; %bb.1:
	s_load_dwordx4 s[0:3], s[4:5], 0x0
	s_mul_i32 s4, s9, s10
	s_mul_i32 s15, s15, s13
	s_add_i32 s4, s4, s7
	s_mul_i32 s4, s4, s11
	s_add_i32 s9, s17, s15
	;; [unrolled: 2-line block ×3, first 2 shown]
	s_mulk_i32 s5, 0x1c0
	s_mulk_i32 s4, 0x70
	s_add_i32 s4, s4, s5
	v_add_u32_e32 v1, s4, v0
	v_ashrrev_i32_e32 v2, 31, v1
	v_lshlrev_b64 v[1:2], 2, v[1:2]
	s_waitcnt lgkmcnt(0)
	v_mov_b32_e32 v3, s1
	v_add_co_u32_e32 v1, vcc, s0, v1
	v_addc_co_u32_e32 v2, vcc, v3, v2, vcc
	global_load_dword v8, v[1:2], off
	s_mul_i32 s9, s14, s6
	s_lshl_b32 s4, s7, 2
	s_add_i32 s11, s9, s14
	s_add_i32 s0, s4, s8
	s_lshl_b32 s1, s11, 4
	s_add_i32 s0, s0, s1
	s_add_i32 s0, s0, -16
	s_ashr_i32 s1, s0, 31
	s_lshl_b64 s[0:1], s[0:1], 3
	s_add_u32 s0, s2, s0
	s_addc_u32 s1, s3, s1
	s_load_dword s5, s[0:1], 0x4
	s_add_i32 s10, s11, -2
	s_cmp_lt_i32 s10, s9
	s_cbranch_scc1 .LBB25_4
; %bb.2:
	s_lshl_b32 s16, s12, 6
	s_ashr_i32 s17, s16, 31
	s_lshl_b64 s[16:17], s[16:17], 2
	s_add_u32 s10, s2, s16
	s_addc_u32 s13, s3, s17
	s_add_i32 s6, s6, 1
	s_load_dword s0, s[0:1], 0x0
	s_mul_i32 s1, s14, s6
	s_lshl_b32 s6, s1, 4
	s_add_i32 s6, s8, s6
	s_lshl_b32 s12, s12, 4
	s_add_i32 s6, s6, s12
	s_add_i32 s6, s6, s4
	s_sub_i32 s4, s6, 32
	s_mulk_i32 s7, 0x1c0
	s_mul_i32 s6, s8, 0x70
	s_mulk_i32 s1, 0x700
	s_add_i32 s6, s6, s7
	s_add_i32 s6, s6, s1
	v_add_u32_e32 v0, s6, v0
	s_add_i32 s11, s11, -1
	v_add_u32_e32 v3, 0xfffff200, v0
	s_waitcnt lgkmcnt(0)
	v_mov_b32_e32 v7, s5
	v_mov_b32_e32 v6, s0
	;; [unrolled: 1-line block ×3, first 2 shown]
	s_mov_b32 s6, 0x3fb8aa3b
	s_mov_b32 s7, 0xc2ce8ed0
	;; [unrolled: 1-line block ×3, first 2 shown]
	v_mov_b32_e32 v5, 0x7f800000
	s_mov_b32 s12, 0xc1a00000
.LBB25_3:                               ; =>This Inner Loop Header: Depth=1
	v_ashrrev_i32_e32 v4, 31, v3
	v_lshlrev_b64 v[9:10], 2, v[3:4]
	s_ashr_i32 s5, s4, 31
	v_add_co_u32_e32 v9, vcc, s10, v9
	v_addc_co_u32_e32 v10, vcc, v0, v10, vcc
	global_load_dword v4, v[9:10], off
	s_lshl_b64 s[0:1], s[4:5], 3
	s_add_u32 s0, s2, s0
	s_addc_u32 s1, s3, s1
	s_load_dwordx2 s[14:15], s[0:1], 0x0
	s_waitcnt vmcnt(1)
	v_mov_b32_e32 v9, v8
	v_max_f32_e32 v8, v6, v6
	v_mov_b32_e32 v10, v7
	s_add_i32 s11, s11, -1
	s_waitcnt lgkmcnt(0)
	v_max_f32_e64 v7, s14, s14
	v_max_f32_e32 v7, v8, v7
	v_sub_f32_e32 v11, s14, v7
	v_sub_f32_e32 v8, v6, v7
	v_mul_f32_e32 v12, 0x3fb8aa3b, v11
	v_mov_b32_e32 v6, v7
	v_mul_f32_e32 v7, 0x3fb8aa3b, v8
	v_fma_f32 v15, v11, s6, -v12
	v_rndne_f32_e32 v16, v12
	v_fma_f32 v13, v8, s6, -v7
	v_rndne_f32_e32 v14, v7
	v_fmac_f32_e32 v15, 0x32a5705f, v11
	v_sub_f32_e32 v12, v12, v16
	v_fmac_f32_e32 v13, 0x32a5705f, v8
	v_sub_f32_e32 v7, v7, v14
	v_add_f32_e32 v12, v12, v15
	v_cvt_i32_f32_e32 v16, v16
	v_add_f32_e32 v7, v7, v13
	v_exp_f32_e32 v12, v12
	v_cvt_i32_f32_e32 v14, v14
	v_exp_f32_e32 v7, v7
	v_cmp_ngt_f32_e32 vcc, s7, v11
	v_ldexp_f32 v12, v12, v16
	v_cmp_ngt_f32_e64 s[0:1], s7, v8
	v_ldexp_f32 v7, v7, v14
	v_cndmask_b32_e32 v12, 0, v12, vcc
	v_cmp_nlt_f32_e32 vcc, s8, v11
	v_cndmask_b32_e64 v7, 0, v7, s[0:1]
	v_cmp_nlt_f32_e64 s[0:1], s8, v8
	v_cndmask_b32_e32 v12, v5, v12, vcc
	v_cmp_le_f32_e32 vcc, s12, v11
	v_cndmask_b32_e64 v7, v5, v7, s[0:1]
	v_cmp_le_f32_e64 s[0:1], s12, v8
	v_cndmask_b32_e32 v8, 0, v12, vcc
	s_add_i32 s4, s4, -16
	v_cndmask_b32_e64 v11, 0, v7, s[0:1]
	v_mul_f32_e32 v7, s15, v8
	v_add_u32_e32 v3, 0xfffff900, v3
	s_cmp_le_i32 s11, s9
	v_fmac_f32_e32 v7, v10, v11
	s_waitcnt vmcnt(0)
	v_mul_f32_e32 v8, v4, v8
	v_fmac_f32_e32 v8, v9, v11
	s_cbranch_scc0 .LBB25_3
	s_branch .LBB25_5
.LBB25_4:
	s_waitcnt lgkmcnt(0)
	v_mov_b32_e32 v7, s5
.LBB25_5:
	s_waitcnt vmcnt(0)
	v_div_scale_f32 v0, s[0:1], v7, v7, v8
	v_div_scale_f32 v3, vcc, v8, v7, v8
	v_rcp_f32_e32 v4, v0
	v_fma_f32 v5, -v0, v4, 1.0
	v_fmac_f32_e32 v4, v5, v4
	v_mul_f32_e32 v5, v3, v4
	v_fma_f32 v6, -v0, v5, v3
	v_fmac_f32_e32 v5, v6, v4
	v_fma_f32 v0, -v0, v5, v3
	v_div_fmas_f32 v0, v0, v4, v5
	v_div_fixup_f32 v0, v0, v7, v8
	global_store_dword v[1:2], v0, off
.LBB25_6:
	s_endpgm
	.section	.rodata,"a",@progbits
	.p2align	6, 0x0
	.amdhsa_kernel _ZL33flash_attn_stream_k_fixup_uniformILi112ELi4ELi4EEvPfPK15HIP_vector_typeIfLj2EEiiiiiiS1_IjLj3EES5_S5_
		.amdhsa_group_segment_fixed_size 0
		.amdhsa_private_segment_fixed_size 0
		.amdhsa_kernarg_size 76
		.amdhsa_user_sgpr_count 6
		.amdhsa_user_sgpr_private_segment_buffer 1
		.amdhsa_user_sgpr_dispatch_ptr 0
		.amdhsa_user_sgpr_queue_ptr 0
		.amdhsa_user_sgpr_kernarg_segment_ptr 1
		.amdhsa_user_sgpr_dispatch_id 0
		.amdhsa_user_sgpr_flat_scratch_init 0
		.amdhsa_user_sgpr_private_segment_size 0
		.amdhsa_uses_dynamic_stack 0
		.amdhsa_system_sgpr_private_segment_wavefront_offset 0
		.amdhsa_system_sgpr_workgroup_id_x 1
		.amdhsa_system_sgpr_workgroup_id_y 1
		.amdhsa_system_sgpr_workgroup_id_z 1
		.amdhsa_system_sgpr_workgroup_info 0
		.amdhsa_system_vgpr_workitem_id 0
		.amdhsa_next_free_vgpr 17
		.amdhsa_next_free_sgpr 20
		.amdhsa_reserve_vcc 1
		.amdhsa_reserve_flat_scratch 0
		.amdhsa_float_round_mode_32 0
		.amdhsa_float_round_mode_16_64 0
		.amdhsa_float_denorm_mode_32 3
		.amdhsa_float_denorm_mode_16_64 3
		.amdhsa_dx10_clamp 1
		.amdhsa_ieee_mode 1
		.amdhsa_fp16_overflow 0
		.amdhsa_exception_fp_ieee_invalid_op 0
		.amdhsa_exception_fp_denorm_src 0
		.amdhsa_exception_fp_ieee_div_zero 0
		.amdhsa_exception_fp_ieee_overflow 0
		.amdhsa_exception_fp_ieee_underflow 0
		.amdhsa_exception_fp_ieee_inexact 0
		.amdhsa_exception_int_div_zero 0
	.end_amdhsa_kernel
	.section	.text._ZL33flash_attn_stream_k_fixup_uniformILi112ELi4ELi4EEvPfPK15HIP_vector_typeIfLj2EEiiiiiiS1_IjLj3EES5_S5_,"axG",@progbits,_ZL33flash_attn_stream_k_fixup_uniformILi112ELi4ELi4EEvPfPK15HIP_vector_typeIfLj2EEiiiiiiS1_IjLj3EES5_S5_,comdat
.Lfunc_end25:
	.size	_ZL33flash_attn_stream_k_fixup_uniformILi112ELi4ELi4EEvPfPK15HIP_vector_typeIfLj2EEiiiiiiS1_IjLj3EES5_S5_, .Lfunc_end25-_ZL33flash_attn_stream_k_fixup_uniformILi112ELi4ELi4EEvPfPK15HIP_vector_typeIfLj2EEiiiiiiS1_IjLj3EES5_S5_
                                        ; -- End function
	.set _ZL33flash_attn_stream_k_fixup_uniformILi112ELi4ELi4EEvPfPK15HIP_vector_typeIfLj2EEiiiiiiS1_IjLj3EES5_S5_.num_vgpr, 17
	.set _ZL33flash_attn_stream_k_fixup_uniformILi112ELi4ELi4EEvPfPK15HIP_vector_typeIfLj2EEiiiiiiS1_IjLj3EES5_S5_.num_agpr, 0
	.set _ZL33flash_attn_stream_k_fixup_uniformILi112ELi4ELi4EEvPfPK15HIP_vector_typeIfLj2EEiiiiiiS1_IjLj3EES5_S5_.numbered_sgpr, 20
	.set _ZL33flash_attn_stream_k_fixup_uniformILi112ELi4ELi4EEvPfPK15HIP_vector_typeIfLj2EEiiiiiiS1_IjLj3EES5_S5_.num_named_barrier, 0
	.set _ZL33flash_attn_stream_k_fixup_uniformILi112ELi4ELi4EEvPfPK15HIP_vector_typeIfLj2EEiiiiiiS1_IjLj3EES5_S5_.private_seg_size, 0
	.set _ZL33flash_attn_stream_k_fixup_uniformILi112ELi4ELi4EEvPfPK15HIP_vector_typeIfLj2EEiiiiiiS1_IjLj3EES5_S5_.uses_vcc, 1
	.set _ZL33flash_attn_stream_k_fixup_uniformILi112ELi4ELi4EEvPfPK15HIP_vector_typeIfLj2EEiiiiiiS1_IjLj3EES5_S5_.uses_flat_scratch, 0
	.set _ZL33flash_attn_stream_k_fixup_uniformILi112ELi4ELi4EEvPfPK15HIP_vector_typeIfLj2EEiiiiiiS1_IjLj3EES5_S5_.has_dyn_sized_stack, 0
	.set _ZL33flash_attn_stream_k_fixup_uniformILi112ELi4ELi4EEvPfPK15HIP_vector_typeIfLj2EEiiiiiiS1_IjLj3EES5_S5_.has_recursion, 0
	.set _ZL33flash_attn_stream_k_fixup_uniformILi112ELi4ELi4EEvPfPK15HIP_vector_typeIfLj2EEiiiiiiS1_IjLj3EES5_S5_.has_indirect_call, 0
	.section	.AMDGPU.csdata,"",@progbits
; Kernel info:
; codeLenInByte = 856
; TotalNumSgprs: 24
; NumVgprs: 17
; ScratchSize: 0
; MemoryBound: 0
; FloatMode: 240
; IeeeMode: 1
; LDSByteSize: 0 bytes/workgroup (compile time only)
; SGPRBlocks: 2
; VGPRBlocks: 4
; NumSGPRsForWavesPerEU: 24
; NumVGPRsForWavesPerEU: 17
; Occupancy: 10
; WaveLimiterHint : 0
; COMPUTE_PGM_RSRC2:SCRATCH_EN: 0
; COMPUTE_PGM_RSRC2:USER_SGPR: 6
; COMPUTE_PGM_RSRC2:TRAP_HANDLER: 0
; COMPUTE_PGM_RSRC2:TGID_X_EN: 1
; COMPUTE_PGM_RSRC2:TGID_Y_EN: 1
; COMPUTE_PGM_RSRC2:TGID_Z_EN: 1
; COMPUTE_PGM_RSRC2:TIDIG_COMP_CNT: 0
	.section	.text._ZL33flash_attn_stream_k_fixup_generalILi112ELi4ELi4EEvPfPK15HIP_vector_typeIfLj2EEiiiiS1_IjLj3EES5_S5_S5_,"axG",@progbits,_ZL33flash_attn_stream_k_fixup_generalILi112ELi4ELi4EEvPfPK15HIP_vector_typeIfLj2EEiiiiS1_IjLj3EES5_S5_S5_,comdat
	.globl	_ZL33flash_attn_stream_k_fixup_generalILi112ELi4ELi4EEvPfPK15HIP_vector_typeIfLj2EEiiiiS1_IjLj3EES5_S5_S5_ ; -- Begin function _ZL33flash_attn_stream_k_fixup_generalILi112ELi4ELi4EEvPfPK15HIP_vector_typeIfLj2EEiiiiS1_IjLj3EES5_S5_S5_
	.p2align	8
	.type	_ZL33flash_attn_stream_k_fixup_generalILi112ELi4ELi4EEvPfPK15HIP_vector_typeIfLj2EEiiiiS1_IjLj3EES5_S5_S5_,@function
_ZL33flash_attn_stream_k_fixup_generalILi112ELi4ELi4EEvPfPK15HIP_vector_typeIfLj2EEiiiiS1_IjLj3EES5_S5_S5_: ; @_ZL33flash_attn_stream_k_fixup_generalILi112ELi4ELi4EEvPfPK15HIP_vector_typeIfLj2EEiiiiS1_IjLj3EES5_S5_S5_
; %bb.0:
	s_load_dwordx4 s[0:3], s[4:5], 0x10
	s_load_dword s22, s[4:5], 0x50
	s_mov_b32 s12, 0
	s_waitcnt lgkmcnt(0)
	s_mul_hi_i32 s13, s3, s6
	s_cmp_lg_u64 s[12:13], 0
	s_mul_i32 s9, s3, s6
	s_cbranch_scc0 .LBB26_20
; %bb.1:
	s_add_u32 s10, s22, 0
	s_addc_u32 s11, 0, 0
	s_xor_b64 s[10:11], s[10:11], 0
	v_cvt_f32_u32_e32 v1, s10
	v_cvt_f32_u32_e32 v2, s11
	s_sub_u32 s12, 0, s10
	s_subb_u32 s18, 0, s11
	v_madmk_f32 v1, v2, 0x4f800000, v1
	v_rcp_f32_e32 v1, v1
	v_mul_f32_e32 v1, 0x5f7ffffc, v1
	v_mul_f32_e32 v2, 0x2f800000, v1
	v_trunc_f32_e32 v2, v2
	v_madmk_f32 v1, v2, 0xcf800000, v1
	v_cvt_u32_f32_e32 v2, v2
	v_cvt_u32_f32_e32 v1, v1
	v_readfirstlane_b32 s19, v2
	v_readfirstlane_b32 s14, v1
	s_mul_i32 s15, s12, s19
	s_mul_hi_u32 s21, s12, s14
	s_mul_i32 s20, s18, s14
	s_add_i32 s15, s21, s15
	s_add_i32 s15, s15, s20
	s_mul_i32 s23, s12, s14
	s_mul_i32 s21, s14, s15
	s_mul_hi_u32 s24, s14, s23
	s_mul_hi_u32 s20, s14, s15
	s_add_u32 s21, s24, s21
	s_addc_u32 s20, 0, s20
	s_mul_hi_u32 s25, s19, s23
	s_mul_i32 s23, s19, s23
	s_add_u32 s21, s21, s23
	s_mul_hi_u32 s24, s19, s15
	s_addc_u32 s20, s20, s25
	s_addc_u32 s21, s24, 0
	s_mul_i32 s15, s19, s15
	s_add_u32 s15, s20, s15
	s_addc_u32 s20, 0, s21
	s_add_u32 s21, s14, s15
	s_cselect_b64 s[14:15], -1, 0
	s_cmp_lg_u64 s[14:15], 0
	s_addc_u32 s19, s19, s20
	s_mul_i32 s14, s12, s19
	s_mul_hi_u32 s15, s12, s21
	s_add_i32 s14, s15, s14
	s_mul_i32 s18, s18, s21
	s_add_i32 s14, s14, s18
	s_mul_i32 s12, s12, s21
	s_mul_hi_u32 s18, s19, s12
	s_mul_i32 s20, s19, s12
	s_mul_i32 s24, s21, s14
	s_mul_hi_u32 s12, s21, s12
	s_mul_hi_u32 s23, s21, s14
	s_add_u32 s12, s12, s24
	s_addc_u32 s23, 0, s23
	s_add_u32 s12, s12, s20
	s_mul_hi_u32 s15, s19, s14
	s_addc_u32 s12, s23, s18
	s_addc_u32 s15, s15, 0
	s_mul_i32 s14, s19, s14
	s_add_u32 s12, s12, s14
	s_addc_u32 s18, 0, s15
	s_add_u32 s20, s21, s12
	s_cselect_b64 s[14:15], -1, 0
	s_cmp_lg_u64 s[14:15], 0
	s_addc_u32 s18, s19, s18
	s_ashr_i32 s14, s13, 31
	s_add_u32 s12, s9, s14
	s_mov_b32 s15, s14
	s_addc_u32 s13, s13, s14
	s_xor_b64 s[12:13], s[12:13], s[14:15]
	s_mul_i32 s21, s12, s18
	s_mul_hi_u32 s23, s12, s20
	s_mul_hi_u32 s19, s12, s18
	s_add_u32 s21, s23, s21
	s_addc_u32 s19, 0, s19
	s_mul_hi_u32 s24, s13, s20
	s_mul_i32 s20, s13, s20
	s_add_u32 s20, s21, s20
	s_mul_hi_u32 s23, s13, s18
	s_addc_u32 s19, s19, s24
	s_addc_u32 s20, s23, 0
	s_mul_i32 s18, s13, s18
	s_add_u32 s23, s19, s18
	s_addc_u32 s24, 0, s20
	s_mul_i32 s18, s10, s24
	s_mul_hi_u32 s19, s10, s23
	s_add_i32 s18, s19, s18
	s_mul_i32 s19, s11, s23
	s_add_i32 s25, s18, s19
	s_sub_i32 s20, s13, s25
	s_mul_i32 s18, s10, s23
	s_sub_u32 s12, s12, s18
	s_cselect_b64 s[18:19], -1, 0
	s_cmp_lg_u64 s[18:19], 0
	s_subb_u32 s26, s20, s11
	s_sub_u32 s27, s12, s10
	s_cselect_b64 s[20:21], -1, 0
	s_cmp_lg_u64 s[20:21], 0
	s_subb_u32 s20, s26, 0
	s_cmp_ge_u32 s20, s11
	s_cselect_b32 s21, -1, 0
	s_cmp_ge_u32 s27, s10
	s_cselect_b32 s26, -1, 0
	s_cmp_eq_u32 s20, s11
	s_cselect_b32 s20, s26, s21
	s_add_u32 s21, s23, 1
	s_addc_u32 s26, s24, 0
	s_add_u32 s27, s23, 2
	s_addc_u32 s28, s24, 0
	s_cmp_lg_u32 s20, 0
	s_cselect_b32 s20, s27, s21
	s_cselect_b32 s21, s28, s26
	s_cmp_lg_u64 s[18:19], 0
	s_subb_u32 s13, s13, s25
	s_cmp_ge_u32 s13, s11
	s_cselect_b32 s18, -1, 0
	s_cmp_ge_u32 s12, s10
	s_cselect_b32 s10, -1, 0
	s_cmp_eq_u32 s13, s11
	s_cselect_b32 s10, s10, s18
	s_cmp_lg_u32 s10, 0
	s_cselect_b32 s11, s21, s24
	s_cselect_b32 s10, s20, s23
	s_xor_b64 s[12:13], s[14:15], 0
	s_xor_b64 s[10:11], s[10:11], s[12:13]
	s_sub_u32 s10, s10, s12
	s_load_dwordx4 s[12:15], s[4:5], 0x44
	s_cbranch_execnz .LBB26_3
.LBB26_2:
	v_cvt_f32_u32_e32 v1, s22
	s_sub_i32 s10, 0, s22
	v_rcp_iflag_f32_e32 v1, v1
	v_mul_f32_e32 v1, 0x4f7ffffe, v1
	v_cvt_u32_f32_e32 v1, v1
	v_readfirstlane_b32 s11, v1
	s_mul_i32 s10, s10, s11
	s_mul_hi_u32 s10, s11, s10
	s_add_i32 s11, s11, s10
	s_mul_hi_u32 s10, s9, s11
	s_waitcnt lgkmcnt(0)
	s_mul_i32 s15, s10, s22
	s_sub_i32 s9, s9, s15
	s_add_i32 s11, s10, 1
	s_sub_i32 s15, s9, s22
	s_cmp_ge_u32 s9, s22
	s_cselect_b32 s10, s11, s10
	s_cselect_b32 s9, s15, s9
	s_add_i32 s11, s10, 1
	s_cmp_ge_u32 s9, s22
	s_cselect_b32 s10, s11, s10
.LBB26_3:
	s_add_i32 s9, s6, 1
	s_mul_hi_i32 s21, s3, s9
	s_mov_b32 s20, 0
	s_cmp_lg_u64 s[20:21], 0
	s_mul_i32 s9, s3, s9
	s_cbranch_scc0 .LBB26_21
; %bb.4:
	s_add_u32 s16, s22, 0
	s_addc_u32 s17, 0, 0
	s_xor_b64 s[18:19], s[16:17], 0
	v_cvt_f32_u32_e32 v1, s18
	v_cvt_f32_u32_e32 v2, s19
	s_sub_u32 s11, 0, s18
	s_waitcnt lgkmcnt(0)
	s_subb_u32 s15, 0, s19
	v_madmk_f32 v1, v2, 0x4f800000, v1
	v_rcp_f32_e32 v1, v1
	v_mul_f32_e32 v1, 0x5f7ffffc, v1
	v_mul_f32_e32 v2, 0x2f800000, v1
	v_trunc_f32_e32 v2, v2
	v_madmk_f32 v1, v2, 0xcf800000, v1
	v_cvt_u32_f32_e32 v2, v2
	v_cvt_u32_f32_e32 v1, v1
	v_readfirstlane_b32 s20, v2
	v_readfirstlane_b32 s23, v1
	s_mul_i32 s24, s11, s20
	s_mul_hi_u32 s26, s11, s23
	s_mul_i32 s25, s15, s23
	s_add_i32 s24, s26, s24
	s_add_i32 s24, s24, s25
	s_mul_i32 s27, s11, s23
	s_mul_i32 s26, s23, s24
	s_mul_hi_u32 s28, s23, s27
	s_mul_hi_u32 s25, s23, s24
	s_add_u32 s26, s28, s26
	s_addc_u32 s25, 0, s25
	s_mul_hi_u32 s29, s20, s27
	s_mul_i32 s27, s20, s27
	s_add_u32 s26, s26, s27
	s_mul_hi_u32 s28, s20, s24
	s_addc_u32 s25, s25, s29
	s_addc_u32 s26, s28, 0
	s_mul_i32 s24, s20, s24
	s_add_u32 s24, s25, s24
	s_addc_u32 s26, 0, s26
	s_add_u32 s23, s23, s24
	s_cselect_b64 s[24:25], -1, 0
	s_cmp_lg_u64 s[24:25], 0
	s_addc_u32 s20, s20, s26
	s_mul_i32 s24, s11, s20
	s_mul_hi_u32 s25, s11, s23
	s_add_i32 s24, s25, s24
	s_mul_i32 s15, s15, s23
	s_add_i32 s24, s24, s15
	s_mul_i32 s11, s11, s23
	s_mul_hi_u32 s25, s20, s11
	s_mul_i32 s26, s20, s11
	s_mul_i32 s28, s23, s24
	s_mul_hi_u32 s11, s23, s11
	s_mul_hi_u32 s27, s23, s24
	s_add_u32 s11, s11, s28
	s_addc_u32 s27, 0, s27
	s_add_u32 s11, s11, s26
	s_mul_hi_u32 s15, s20, s24
	s_addc_u32 s11, s27, s25
	s_addc_u32 s15, s15, 0
	s_mul_i32 s24, s20, s24
	s_add_u32 s11, s11, s24
	s_addc_u32 s15, 0, s15
	s_add_u32 s11, s23, s11
	s_cselect_b64 s[24:25], -1, 0
	s_cmp_lg_u64 s[24:25], 0
	s_addc_u32 s15, s20, s15
	s_ashr_i32 s24, s21, 31
	s_add_u32 s20, s9, s24
	s_mov_b32 s25, s24
	s_addc_u32 s21, s21, s24
	s_xor_b64 s[20:21], s[20:21], s[24:25]
	s_mul_i32 s26, s20, s15
	s_mul_hi_u32 s27, s20, s11
	s_mul_hi_u32 s23, s20, s15
	s_add_u32 s26, s27, s26
	s_addc_u32 s23, 0, s23
	s_mul_hi_u32 s28, s21, s11
	s_mul_i32 s11, s21, s11
	s_add_u32 s11, s26, s11
	s_mul_hi_u32 s27, s21, s15
	s_addc_u32 s11, s23, s28
	s_addc_u32 s23, s27, 0
	s_mul_i32 s15, s21, s15
	s_add_u32 s11, s11, s15
	s_addc_u32 s15, 0, s23
	s_mul_i32 s23, s18, s15
	s_mul_hi_u32 s26, s18, s11
	s_add_i32 s23, s26, s23
	s_mul_i32 s26, s19, s11
	s_add_i32 s23, s23, s26
	s_sub_i32 s28, s21, s23
	s_mul_i32 s26, s18, s11
	s_sub_u32 s20, s20, s26
	s_cselect_b64 s[26:27], -1, 0
	s_cmp_lg_u64 s[26:27], 0
	s_subb_u32 s30, s28, s19
	s_sub_u32 s31, s20, s18
	s_cselect_b64 s[28:29], -1, 0
	s_cmp_lg_u64 s[28:29], 0
	s_subb_u32 s28, s30, 0
	s_cmp_ge_u32 s28, s19
	s_cselect_b32 s29, -1, 0
	s_cmp_ge_u32 s31, s18
	s_cselect_b32 s30, -1, 0
	s_cmp_eq_u32 s28, s19
	s_cselect_b32 s28, s30, s29
	s_add_u32 s29, s11, 1
	s_addc_u32 s30, s15, 0
	s_add_u32 s31, s11, 2
	s_addc_u32 s33, s15, 0
	s_cmp_lg_u32 s28, 0
	s_cselect_b32 s28, s31, s29
	s_cselect_b32 s29, s33, s30
	s_cmp_lg_u64 s[26:27], 0
	s_subb_u32 s21, s21, s23
	s_cmp_ge_u32 s21, s19
	s_cselect_b32 s23, -1, 0
	s_cmp_ge_u32 s20, s18
	s_cselect_b32 s18, -1, 0
	s_cmp_eq_u32 s21, s19
	s_cselect_b32 s18, s18, s23
	s_cmp_lg_u32 s18, 0
	s_cselect_b32 s19, s29, s15
	s_cselect_b32 s18, s28, s11
	s_xor_b64 s[20:21], s[24:25], 0
	s_xor_b64 s[18:19], s[18:19], s[20:21]
	s_sub_u32 s18, s18, s20
	s_cbranch_execnz .LBB26_6
.LBB26_5:
	v_cvt_f32_u32_e32 v1, s22
	s_sub_i32 s11, 0, s22
	v_rcp_iflag_f32_e32 v1, v1
	v_mul_f32_e32 v1, 0x4f7ffffe, v1
	v_cvt_u32_f32_e32 v1, v1
	s_waitcnt lgkmcnt(0)
	v_readfirstlane_b32 s15, v1
	s_mul_i32 s11, s11, s15
	s_mul_hi_u32 s11, s15, s11
	s_add_i32 s15, s15, s11
	s_mul_hi_u32 s11, s9, s15
	s_mul_i32 s16, s11, s22
	s_sub_i32 s9, s9, s16
	s_add_i32 s15, s11, 1
	s_sub_i32 s16, s9, s22
	s_cmp_ge_u32 s9, s22
	s_cselect_b32 s11, s15, s11
	s_cselect_b32 s9, s16, s9
	s_add_i32 s15, s11, 1
	s_cmp_ge_u32 s9, s22
	s_cselect_b32 s18, s15, s11
.LBB26_6:
	s_cmp_eq_u32 s10, s18
	s_waitcnt lgkmcnt(0)
	s_mul_hi_u32 s9, s10, s12
	s_cselect_b64 s[16:17], -1, 0
	s_add_i32 s9, s9, s10
	s_lshr_b32 s11, s9, s13
	s_mul_i32 s9, s11, s14
	s_cmp_eq_u32 s9, s10
	s_mul_hi_u32 s9, s18, s12
	s_cselect_b64 s[20:21], -1, 0
	s_add_i32 s9, s9, s18
	s_lshr_b32 s9, s9, s13
	s_cmp_eq_u32 s11, s9
	s_mul_i32 s9, s9, s14
	s_cselect_b64 s[24:25], -1, 0
	s_cmp_lg_u32 s9, s18
	s_cselect_b64 s[18:19], -1, 0
	s_and_b64 s[18:19], s[24:25], s[18:19]
	s_or_b64 s[16:17], s[16:17], s[20:21]
	s_or_b64 s[16:17], s[16:17], s[18:19]
	s_and_b64 vcc, exec, s[16:17]
	s_cbranch_vccnz .LBB26_23
; %bb.7:
	s_load_dwordx8 s[24:31], s[4:5], 0x20
	s_load_dword s15, s[4:5], 0x40
	s_waitcnt lgkmcnt(0)
	s_mul_hi_u32 s9, s10, s24
	s_add_i32 s9, s9, s10
	s_lshr_b32 s9, s9, s25
	s_mul_i32 s16, s9, s26
	s_sub_i32 s16, s10, s16
	s_mul_hi_u32 s17, s16, s27
	s_add_i32 s17, s16, s17
	s_lshr_b32 s23, s17, s28
	s_mul_i32 s17, s23, s29
	s_sub_i32 s16, s16, s17
	;; [unrolled: 5-line block ×3, first 2 shown]
	s_mul_hi_u32 s16, s15, s12
	s_add_i32 s15, s15, s16
	s_lshr_b32 s24, s15, s13
	s_lshl_b32 s15, s24, 2
	s_lshl_b32 s25, s17, 2
	s_add_i32 s15, s15, s7
	s_cmp_lt_i32 s15, s0
	s_cselect_b64 s[16:17], -1, 0
	s_add_i32 s25, s25, s8
	s_cmp_lt_i32 s25, s2
	s_cselect_b64 s[18:19], -1, 0
	s_and_b64 s[16:17], s[16:17], s[18:19]
	s_andn2_b64 vcc, exec, s[16:17]
	s_cbranch_vccnz .LBB26_23
; %bb.8:
	s_load_dwordx4 s[16:19], s[4:5], 0x0
	s_mov_b32 s4, 0
	s_lshl_b32 s15, s7, 2
	s_lshl_b32 s20, s22, 6
	s_mov_b32 s21, s4
	s_add_i32 s15, s15, s8
	s_lshl_b64 s[20:21], s[20:21], 2
	s_waitcnt lgkmcnt(0)
	s_add_u32 s20, s18, s20
	s_mul_i32 s0, s9, s0
	s_addc_u32 s21, s19, s21
	s_mul_i32 s23, s23, s2
	s_add_i32 s0, s0, s7
	s_mul_i32 s2, s1, s24
	s_mul_i32 s0, s0, s1
	s_add_i32 s1, s25, s23
	s_add_i32 s0, s1, s0
	s_mulk_i32 s2, 0x1c0
	s_mulk_i32 s0, 0x70
	s_add_i32 s2, s2, s0
	v_add_u32_e32 v1, s2, v0
	v_ashrrev_i32_e32 v2, 31, v1
	v_lshlrev_b64 v[1:2], 2, v[1:2]
	v_mov_b32_e32 v3, s17
	v_add_co_u32_e32 v1, vcc, s16, v1
	v_addc_co_u32_e32 v2, vcc, v3, v2, vcc
	global_load_dword v3, v[1:2], off
	v_cvt_f32_u32_e32 v4, s22
	s_lshl_b32 s0, s6, 4
	s_add_i32 s0, s15, s0
	s_ashr_i32 s1, s0, 31
	s_lshl_b64 s[0:1], s[0:1], 3
	v_rcp_iflag_f32_e32 v4, v4
	s_add_u32 s0, s18, s0
	s_addc_u32 s1, s19, s1
	s_load_dwordx2 s[0:1], s[0:1], 0x0
	v_mul_f32_e32 v4, 0x4f7ffffe, v4
	v_cvt_u32_f32_e32 v4, v4
	s_mul_i32 s2, s15, 0x70
	s_add_i32 s24, s6, -1
	v_add_u32_e32 v0, s2, v0
	s_waitcnt lgkmcnt(0)
	v_mov_b32_e32 v6, s1
	v_mov_b32_e32 v7, s0
	s_mov_b32 s2, 0x3fb8aa3b
	s_mov_b32 s16, 0xc2ce8ed0
	;; [unrolled: 1-line block ×4, first 2 shown]
	v_mov_b32_e32 v5, 0x7f800000
	s_mul_hi_i32 s5, s24, s3
	s_cmp_lg_u64 s[4:5], 0
	s_mul_i32 s8, s24, s3
	s_cbranch_scc0 .LBB26_19
.LBB26_9:
	s_add_u32 s0, s22, 0
	s_addc_u32 s1, 0, 0
	s_xor_b64 s[0:1], s[0:1], 0
	v_cvt_f32_u32_e32 v8, s0
	v_cvt_f32_u32_e32 v9, s1
	s_sub_u32 s9, 0, s0
	s_subb_u32 s25, 0, s1
	v_mac_f32_e32 v8, 0x4f800000, v9
	v_rcp_f32_e32 v8, v8
	v_mul_f32_e32 v8, 0x5f7ffffc, v8
	v_mul_f32_e32 v9, 0x2f800000, v8
	v_trunc_f32_e32 v9, v9
	v_mac_f32_e32 v8, 0xcf800000, v9
	v_cvt_u32_f32_e32 v9, v9
	v_cvt_u32_f32_e32 v8, v8
	v_readfirstlane_b32 s26, v9
	v_readfirstlane_b32 s6, v8
	s_mul_i32 s7, s9, s26
	s_mul_hi_u32 s28, s9, s6
	s_mul_i32 s27, s25, s6
	s_add_i32 s7, s28, s7
	s_mul_i32 s29, s9, s6
	s_add_i32 s7, s7, s27
	s_mul_i32 s28, s6, s7
	s_mul_hi_u32 s30, s6, s29
	s_mul_hi_u32 s27, s6, s7
	s_add_u32 s28, s30, s28
	s_addc_u32 s27, 0, s27
	s_mul_hi_u32 s31, s26, s29
	s_mul_i32 s29, s26, s29
	s_add_u32 s28, s28, s29
	s_mul_hi_u32 s30, s26, s7
	s_addc_u32 s27, s27, s31
	s_addc_u32 s28, s30, 0
	s_mul_i32 s7, s26, s7
	s_add_u32 s7, s27, s7
	s_addc_u32 s27, 0, s28
	s_add_u32 s28, s6, s7
	s_cselect_b64 s[6:7], -1, 0
	s_cmp_lg_u64 s[6:7], 0
	s_addc_u32 s26, s26, s27
	s_mul_i32 s6, s9, s26
	s_mul_hi_u32 s7, s9, s28
	s_add_i32 s6, s7, s6
	s_mul_i32 s25, s25, s28
	s_add_i32 s6, s6, s25
	s_mul_i32 s9, s9, s28
	s_mul_hi_u32 s25, s26, s9
	s_mul_i32 s27, s26, s9
	s_mul_i32 s30, s28, s6
	s_mul_hi_u32 s9, s28, s9
	s_mul_hi_u32 s29, s28, s6
	s_add_u32 s9, s9, s30
	s_addc_u32 s29, 0, s29
	s_add_u32 s9, s9, s27
	s_mul_hi_u32 s7, s26, s6
	s_addc_u32 s9, s29, s25
	s_addc_u32 s7, s7, 0
	s_mul_i32 s6, s26, s6
	s_add_u32 s6, s9, s6
	s_addc_u32 s9, 0, s7
	s_add_u32 s25, s28, s6
	s_cselect_b64 s[6:7], -1, 0
	s_cmp_lg_u64 s[6:7], 0
	s_addc_u32 s9, s26, s9
	s_ashr_i32 s6, s5, 31
	s_add_u32 s26, s8, s6
	s_mov_b32 s7, s6
	s_addc_u32 s27, s5, s6
	s_xor_b64 s[26:27], s[26:27], s[6:7]
	s_mul_i32 s28, s26, s9
	s_mul_hi_u32 s29, s26, s25
	s_mul_hi_u32 s5, s26, s9
	s_add_u32 s28, s29, s28
	s_addc_u32 s5, 0, s5
	s_mul_hi_u32 s30, s27, s25
	s_mul_i32 s25, s27, s25
	s_add_u32 s25, s28, s25
	s_mul_hi_u32 s29, s27, s9
	s_addc_u32 s5, s5, s30
	s_addc_u32 s25, s29, 0
	s_mul_i32 s9, s27, s9
	s_add_u32 s5, s5, s9
	s_addc_u32 s9, 0, s25
	s_mul_i32 s25, s0, s9
	s_mul_hi_u32 s28, s0, s5
	s_add_i32 s25, s28, s25
	s_mul_i32 s28, s1, s5
	s_add_i32 s25, s25, s28
	s_sub_i32 s30, s27, s25
	s_mul_i32 s28, s0, s5
	s_sub_u32 s26, s26, s28
	s_cselect_b64 s[28:29], -1, 0
	s_cmp_lg_u64 s[28:29], 0
	s_subb_u32 s33, s30, s1
	s_sub_u32 s34, s26, s0
	s_cselect_b64 s[30:31], -1, 0
	s_cmp_lg_u64 s[30:31], 0
	s_subb_u32 s30, s33, 0
	s_cmp_ge_u32 s30, s1
	s_cselect_b32 s31, -1, 0
	s_cmp_ge_u32 s34, s0
	s_cselect_b32 s33, -1, 0
	s_cmp_eq_u32 s30, s1
	s_cselect_b32 s30, s33, s31
	s_add_u32 s31, s5, 1
	s_addc_u32 s33, s9, 0
	s_add_u32 s34, s5, 2
	s_addc_u32 s35, s9, 0
	s_cmp_lg_u32 s30, 0
	s_cselect_b32 s30, s34, s31
	s_cselect_b32 s31, s35, s33
	s_cmp_lg_u64 s[28:29], 0
	s_subb_u32 s25, s27, s25
	s_cmp_ge_u32 s25, s1
	s_cselect_b32 s27, -1, 0
	s_cmp_ge_u32 s26, s0
	s_cselect_b32 s0, -1, 0
	s_cmp_eq_u32 s25, s1
	s_cselect_b32 s0, s0, s27
	s_cmp_lg_u32 s0, 0
	s_cselect_b32 s1, s31, s9
	s_cselect_b32 s0, s30, s5
	s_xor_b64 s[6:7], s[6:7], 0
	s_xor_b64 s[0:1], s[0:1], s[6:7]
	s_sub_u32 s6, s0, s6
	s_cbranch_execnz .LBB26_11
.LBB26_10:
	s_sub_i32 s0, 0, s22
	v_readfirstlane_b32 s1, v4
	s_mul_i32 s0, s0, s1
	s_mul_hi_u32 s0, s1, s0
	s_add_i32 s1, s1, s0
	s_mul_hi_u32 s0, s8, s1
	s_mul_i32 s5, s0, s22
	s_sub_i32 s5, s8, s5
	s_add_i32 s1, s0, 1
	s_sub_i32 s6, s5, s22
	s_cmp_ge_u32 s5, s22
	s_cselect_b32 s0, s1, s0
	s_cselect_b32 s5, s6, s5
	s_add_i32 s1, s0, 1
	s_cmp_ge_u32 s5, s22
	s_cselect_b32 s6, s1, s0
.LBB26_11:
	s_cmp_lg_u32 s10, s6
	s_mov_b64 s[8:9], -1
                                        ; implicit-def: $sgpr0_sgpr1
                                        ; implicit-def: $vgpr10
                                        ; implicit-def: $vgpr8
                                        ; implicit-def: $vgpr9
                                        ; implicit-def: $sgpr5
                                        ; implicit-def: $sgpr7
	s_cbranch_scc1 .LBB26_14
; %bb.12:
	s_andn2_b64 vcc, exec, s[8:9]
	s_cbranch_vccz .LBB26_17
.LBB26_13:
	s_andn2_b64 vcc, exec, s[0:1]
	s_cbranch_vccnz .LBB26_18
	s_branch .LBB26_22
.LBB26_14:
	s_add_i32 s0, s24, s22
	s_lshl_b32 s0, s0, 4
	s_add_i32 s0, s0, s15
	s_mov_b32 s1, s4
	s_lshl_b64 s[0:1], s[0:1], 3
	s_add_u32 s8, s18, s0
	s_mul_hi_u32 s0, s6, s12
	s_addc_u32 s9, s19, s1
	s_add_i32 s0, s0, s6
	s_lshr_b32 s5, s0, s13
	s_mul_i32 s0, s5, s14
	s_cmp_eq_u32 s0, s6
	s_cselect_b64 s[0:1], -1, 0
	s_cmp_lt_u32 s5, s11
	s_cselect_b64 s[26:27], -1, 0
	s_or_b64 s[26:27], s[26:27], s[0:1]
	s_mov_b64 s[0:1], -1
	s_and_b64 vcc, exec, s[26:27]
	s_mov_b32 s5, s24
	s_mov_b32 s7, s10
	s_cbranch_vccnz .LBB26_16
; %bb.15:
	s_add_i32 s5, s24, -1
	s_mov_b64 s[0:1], 0
	s_mov_b32 s7, s6
.LBB26_16:
	s_mul_i32 s6, s24, 0x700
	v_add_u32_e32 v8, s6, v0
	v_ashrrev_i32_e32 v9, 31, v8
	v_lshlrev_b64 v[8:9], 2, v[8:9]
	v_mov_b32_e32 v10, s21
	v_add_co_u32_e32 v8, vcc, s20, v8
	v_addc_co_u32_e32 v9, vcc, v10, v9, vcc
	global_load_dword v10, v[8:9], off
	s_load_dwordx2 s[8:9], s[8:9], 0x0
	v_max_f32_e32 v8, v7, v7
	s_waitcnt lgkmcnt(0)
	v_max_f32_e64 v9, s8, s8
	v_max_f32_e32 v8, v8, v9
	v_sub_f32_e32 v9, v7, v8
	v_sub_f32_e32 v11, s8, v8
	v_mul_f32_e32 v12, 0x3fb8aa3b, v9
	v_mul_f32_e32 v13, 0x3fb8aa3b, v11
	v_fma_f32 v14, v9, s2, -v12
	v_rndne_f32_e32 v15, v12
	v_fma_f32 v16, v11, s2, -v13
	v_rndne_f32_e32 v17, v13
	v_fmac_f32_e32 v14, 0x32a5705f, v9
	v_sub_f32_e32 v12, v12, v15
	v_fmac_f32_e32 v16, 0x32a5705f, v11
	v_sub_f32_e32 v13, v13, v17
	v_add_f32_e32 v12, v12, v14
	v_cvt_i32_f32_e32 v15, v15
	v_add_f32_e32 v13, v13, v16
	v_exp_f32_e32 v12, v12
	v_cvt_i32_f32_e32 v17, v17
	v_exp_f32_e32 v13, v13
	v_cmp_ngt_f32_e32 vcc, s16, v9
	v_ldexp_f32 v12, v12, v15
	v_cndmask_b32_e32 v12, 0, v12, vcc
	v_ldexp_f32 v13, v13, v17
	v_cmp_ngt_f32_e32 vcc, s16, v11
	v_cndmask_b32_e32 v13, 0, v13, vcc
	v_cmp_nlt_f32_e32 vcc, s17, v9
	v_cndmask_b32_e32 v12, v5, v12, vcc
	v_cmp_nlt_f32_e32 vcc, s17, v11
	v_cndmask_b32_e32 v13, v5, v13, vcc
	v_cmp_le_f32_e32 vcc, s23, v9
	v_cndmask_b32_e32 v12, 0, v12, vcc
	v_cmp_le_f32_e32 vcc, s23, v11
	v_cndmask_b32_e32 v11, 0, v13, vcc
	v_mul_f32_e32 v9, s9, v11
	v_fmac_f32_e32 v9, v6, v12
	s_waitcnt vmcnt(0)
	v_mul_f32_e32 v10, v10, v11
	v_fmac_f32_e32 v10, v3, v12
	s_cbranch_execnz .LBB26_13
.LBB26_17:
	s_add_i32 s5, s24, -1
	s_mov_b32 s7, s10
	v_mov_b32_e32 v9, v6
	v_mov_b32_e32 v8, v7
	s_waitcnt vmcnt(0)
	v_mov_b32_e32 v10, v3
	s_cbranch_execz .LBB26_22
.LBB26_18:
	s_mov_b32 s10, s7
	s_mov_b32 s24, s5
	v_mov_b32_e32 v6, v9
	v_mov_b32_e32 v7, v8
	s_waitcnt vmcnt(0)
	v_mov_b32_e32 v3, v10
	s_mul_hi_i32 s5, s24, s3
	s_cmp_lg_u64 s[4:5], 0
	s_mul_i32 s8, s24, s3
	s_cbranch_scc1 .LBB26_9
.LBB26_19:
                                        ; implicit-def: $sgpr6_sgpr7
	s_branch .LBB26_10
.LBB26_20:
                                        ; implicit-def: $sgpr10_sgpr11
	s_load_dwordx4 s[12:15], s[4:5], 0x44
	s_branch .LBB26_2
.LBB26_21:
                                        ; implicit-def: $sgpr18_sgpr19
	s_branch .LBB26_5
.LBB26_22:
	v_div_scale_f32 v0, s[0:1], v9, v9, v10
	s_waitcnt vmcnt(0)
	v_div_scale_f32 v3, vcc, v10, v9, v10
	v_rcp_f32_e32 v4, v0
	v_fma_f32 v5, -v0, v4, 1.0
	v_fmac_f32_e32 v4, v5, v4
	v_mul_f32_e32 v5, v3, v4
	v_fma_f32 v6, -v0, v5, v3
	v_fmac_f32_e32 v5, v6, v4
	v_fma_f32 v0, -v0, v5, v3
	v_div_fmas_f32 v0, v0, v4, v5
	v_div_fixup_f32 v0, v0, v9, v10
	global_store_dword v[1:2], v0, off
.LBB26_23:
	s_endpgm
	.section	.rodata,"a",@progbits
	.p2align	6, 0x0
	.amdhsa_kernel _ZL33flash_attn_stream_k_fixup_generalILi112ELi4ELi4EEvPfPK15HIP_vector_typeIfLj2EEiiiiS1_IjLj3EES5_S5_S5_
		.amdhsa_group_segment_fixed_size 0
		.amdhsa_private_segment_fixed_size 0
		.amdhsa_kernarg_size 336
		.amdhsa_user_sgpr_count 6
		.amdhsa_user_sgpr_private_segment_buffer 1
		.amdhsa_user_sgpr_dispatch_ptr 0
		.amdhsa_user_sgpr_queue_ptr 0
		.amdhsa_user_sgpr_kernarg_segment_ptr 1
		.amdhsa_user_sgpr_dispatch_id 0
		.amdhsa_user_sgpr_flat_scratch_init 0
		.amdhsa_user_sgpr_private_segment_size 0
		.amdhsa_uses_dynamic_stack 0
		.amdhsa_system_sgpr_private_segment_wavefront_offset 0
		.amdhsa_system_sgpr_workgroup_id_x 1
		.amdhsa_system_sgpr_workgroup_id_y 1
		.amdhsa_system_sgpr_workgroup_id_z 1
		.amdhsa_system_sgpr_workgroup_info 0
		.amdhsa_system_vgpr_workitem_id 0
		.amdhsa_next_free_vgpr 18
		.amdhsa_next_free_sgpr 36
		.amdhsa_reserve_vcc 1
		.amdhsa_reserve_flat_scratch 0
		.amdhsa_float_round_mode_32 0
		.amdhsa_float_round_mode_16_64 0
		.amdhsa_float_denorm_mode_32 3
		.amdhsa_float_denorm_mode_16_64 3
		.amdhsa_dx10_clamp 1
		.amdhsa_ieee_mode 1
		.amdhsa_fp16_overflow 0
		.amdhsa_exception_fp_ieee_invalid_op 0
		.amdhsa_exception_fp_denorm_src 0
		.amdhsa_exception_fp_ieee_div_zero 0
		.amdhsa_exception_fp_ieee_overflow 0
		.amdhsa_exception_fp_ieee_underflow 0
		.amdhsa_exception_fp_ieee_inexact 0
		.amdhsa_exception_int_div_zero 0
	.end_amdhsa_kernel
	.section	.text._ZL33flash_attn_stream_k_fixup_generalILi112ELi4ELi4EEvPfPK15HIP_vector_typeIfLj2EEiiiiS1_IjLj3EES5_S5_S5_,"axG",@progbits,_ZL33flash_attn_stream_k_fixup_generalILi112ELi4ELi4EEvPfPK15HIP_vector_typeIfLj2EEiiiiS1_IjLj3EES5_S5_S5_,comdat
.Lfunc_end26:
	.size	_ZL33flash_attn_stream_k_fixup_generalILi112ELi4ELi4EEvPfPK15HIP_vector_typeIfLj2EEiiiiS1_IjLj3EES5_S5_S5_, .Lfunc_end26-_ZL33flash_attn_stream_k_fixup_generalILi112ELi4ELi4EEvPfPK15HIP_vector_typeIfLj2EEiiiiS1_IjLj3EES5_S5_S5_
                                        ; -- End function
	.set _ZL33flash_attn_stream_k_fixup_generalILi112ELi4ELi4EEvPfPK15HIP_vector_typeIfLj2EEiiiiS1_IjLj3EES5_S5_S5_.num_vgpr, 18
	.set _ZL33flash_attn_stream_k_fixup_generalILi112ELi4ELi4EEvPfPK15HIP_vector_typeIfLj2EEiiiiS1_IjLj3EES5_S5_S5_.num_agpr, 0
	.set _ZL33flash_attn_stream_k_fixup_generalILi112ELi4ELi4EEvPfPK15HIP_vector_typeIfLj2EEiiiiS1_IjLj3EES5_S5_S5_.numbered_sgpr, 36
	.set _ZL33flash_attn_stream_k_fixup_generalILi112ELi4ELi4EEvPfPK15HIP_vector_typeIfLj2EEiiiiS1_IjLj3EES5_S5_S5_.num_named_barrier, 0
	.set _ZL33flash_attn_stream_k_fixup_generalILi112ELi4ELi4EEvPfPK15HIP_vector_typeIfLj2EEiiiiS1_IjLj3EES5_S5_S5_.private_seg_size, 0
	.set _ZL33flash_attn_stream_k_fixup_generalILi112ELi4ELi4EEvPfPK15HIP_vector_typeIfLj2EEiiiiS1_IjLj3EES5_S5_S5_.uses_vcc, 1
	.set _ZL33flash_attn_stream_k_fixup_generalILi112ELi4ELi4EEvPfPK15HIP_vector_typeIfLj2EEiiiiS1_IjLj3EES5_S5_S5_.uses_flat_scratch, 0
	.set _ZL33flash_attn_stream_k_fixup_generalILi112ELi4ELi4EEvPfPK15HIP_vector_typeIfLj2EEiiiiS1_IjLj3EES5_S5_S5_.has_dyn_sized_stack, 0
	.set _ZL33flash_attn_stream_k_fixup_generalILi112ELi4ELi4EEvPfPK15HIP_vector_typeIfLj2EEiiiiS1_IjLj3EES5_S5_S5_.has_recursion, 0
	.set _ZL33flash_attn_stream_k_fixup_generalILi112ELi4ELi4EEvPfPK15HIP_vector_typeIfLj2EEiiiiS1_IjLj3EES5_S5_S5_.has_indirect_call, 0
	.section	.AMDGPU.csdata,"",@progbits
; Kernel info:
; codeLenInByte = 2944
; TotalNumSgprs: 40
; NumVgprs: 18
; ScratchSize: 0
; MemoryBound: 0
; FloatMode: 240
; IeeeMode: 1
; LDSByteSize: 0 bytes/workgroup (compile time only)
; SGPRBlocks: 4
; VGPRBlocks: 4
; NumSGPRsForWavesPerEU: 40
; NumVGPRsForWavesPerEU: 18
; Occupancy: 10
; WaveLimiterHint : 0
; COMPUTE_PGM_RSRC2:SCRATCH_EN: 0
; COMPUTE_PGM_RSRC2:USER_SGPR: 6
; COMPUTE_PGM_RSRC2:TRAP_HANDLER: 0
; COMPUTE_PGM_RSRC2:TGID_X_EN: 1
; COMPUTE_PGM_RSRC2:TGID_Y_EN: 1
; COMPUTE_PGM_RSRC2:TGID_Z_EN: 1
; COMPUTE_PGM_RSRC2:TIDIG_COMP_CNT: 0
	.section	.text._ZL15flash_attn_tileILi112ELi112ELi2ELi4ELb0EEvPKcS1_S1_S1_S1_PKiPfP15HIP_vector_typeIfLj2EEffffjfiS5_IjLj3EEiiiiiiiiiiiliiliiiiil,"axG",@progbits,_ZL15flash_attn_tileILi112ELi112ELi2ELi4ELb0EEvPKcS1_S1_S1_S1_PKiPfP15HIP_vector_typeIfLj2EEffffjfiS5_IjLj3EEiiiiiiiiiiiliiliiiiil,comdat
	.globl	_ZL15flash_attn_tileILi112ELi112ELi2ELi4ELb0EEvPKcS1_S1_S1_S1_PKiPfP15HIP_vector_typeIfLj2EEffffjfiS5_IjLj3EEiiiiiiiiiiiliiliiiiil ; -- Begin function _ZL15flash_attn_tileILi112ELi112ELi2ELi4ELb0EEvPKcS1_S1_S1_S1_PKiPfP15HIP_vector_typeIfLj2EEffffjfiS5_IjLj3EEiiiiiiiiiiiliiliiiiil
	.p2align	8
	.type	_ZL15flash_attn_tileILi112ELi112ELi2ELi4ELb0EEvPKcS1_S1_S1_S1_PKiPfP15HIP_vector_typeIfLj2EEffffjfiS5_IjLj3EEiiiiiiiiiiiliiliiiiil,@function
_ZL15flash_attn_tileILi112ELi112ELi2ELi4ELb0EEvPKcS1_S1_S1_S1_PKiPfP15HIP_vector_typeIfLj2EEffffjfiS5_IjLj3EEiiiiiiiiiiiliiliiiiil: ; @_ZL15flash_attn_tileILi112ELi112ELi2ELi4ELb0EEvPKcS1_S1_S1_S1_PKiPfP15HIP_vector_typeIfLj2EEffffjfiS5_IjLj3EEiiiiiiiiiiiliiliiiiil
; %bb.0:
	s_load_dwordx4 s[36:39], s[4:5], 0x5c
	s_load_dwordx2 s[34:35], s[4:5], 0x80
	s_load_dwordx16 s[16:31], s[4:5], 0x0
	s_mov_b64 s[40:41], 0
	s_waitcnt lgkmcnt(0)
	s_ashr_i32 s0, s39, 31
	s_lshr_b32 s0, s0, 30
	s_add_i32 s0, s39, s0
	s_ashr_i32 s0, s0, 2
	v_cvt_f32_u32_e32 v2, s0
	s_sub_i32 s1, 0, s0
	v_rcp_iflag_f32_e32 v2, v2
	v_mul_f32_e32 v2, 0x4f7ffffe, v2
	v_cvt_u32_f32_e32 v2, v2
	v_readfirstlane_b32 s2, v2
	s_mul_i32 s1, s1, s2
	s_mul_hi_u32 s1, s2, s1
	s_add_i32 s2, s2, s1
	s_mul_hi_u32 s1, s8, s2
	s_mul_i32 s2, s1, s0
	s_sub_i32 s2, s8, s2
	s_add_i32 s3, s1, 1
	s_sub_i32 s9, s2, s0
	s_cmp_ge_u32 s2, s0
	s_cselect_b32 s1, s3, s1
	s_cselect_b32 s2, s9, s2
	s_add_i32 s3, s1, 1
	s_cmp_ge_u32 s2, s0
	s_cselect_b32 s33, s3, s1
	s_abs_i32 s1, s35
	v_cvt_f32_u32_e32 v2, s1
	s_lshl_b32 s0, s8, 2
	s_sub_i32 s8, 0, s1
	s_abs_i32 s3, s39
	v_rcp_iflag_f32_e32 v2, v2
	s_xor_b32 s2, s39, s35
	s_ashr_i32 s2, s2, 31
	v_mul_f32_e32 v2, 0x4f7ffffe, v2
	v_cvt_u32_f32_e32 v2, v2
	v_readfirstlane_b32 s9, v2
	s_mul_i32 s8, s8, s9
	s_mul_hi_u32 s8, s9, s8
	s_add_i32 s9, s9, s8
	s_mul_hi_u32 s8, s3, s9
	s_mul_i32 s9, s8, s1
	s_sub_i32 s3, s3, s9
	s_add_i32 s10, s8, 1
	s_sub_i32 s9, s3, s1
	s_cmp_ge_u32 s3, s1
	s_cselect_b32 s8, s10, s8
	s_cselect_b32 s3, s9, s3
	s_add_i32 s9, s8, 1
	s_cmp_ge_u32 s3, s1
	s_cselect_b32 s1, s9, s8
	s_xor_b32 s1, s1, s2
	s_sub_i32 s15, s1, s2
	s_abs_i32 s14, s15
	v_cvt_f32_u32_e32 v2, s14
	s_load_dwordx2 s[2:3], s[4:5], 0xb8
	s_mul_i32 s1, s33, s39
	s_cmp_eq_u64 s[22:23], 0
	v_rcp_iflag_f32_e32 v2, v2
	v_mul_f32_e32 v2, 0x4f7ffffe, v2
	v_cvt_u32_f32_e32 v2, v2
	v_readfirstlane_b32 s43, v2
	s_cbranch_scc1 .LBB27_2
; %bb.1:
	s_waitcnt lgkmcnt(0)
	s_abs_i32 s2, s2
	v_cvt_f32_u32_e32 v2, s2
	s_sub_i32 s12, 0, s2
	s_abs_i32 s11, s33
	s_ashr_i32 s10, s33, 31
	v_rcp_iflag_f32_e32 v2, v2
	s_load_dwordx2 s[8:9], s[4:5], 0xc8
	v_mul_f32_e32 v2, 0x4f7ffffe, v2
	v_cvt_u32_f32_e32 v2, v2
	v_readfirstlane_b32 s13, v2
	s_mul_i32 s12, s12, s13
	s_mul_hi_u32 s12, s13, s12
	s_add_i32 s13, s13, s12
	s_mul_hi_u32 s12, s11, s13
	s_mul_i32 s12, s12, s2
	s_sub_i32 s11, s11, s12
	s_sub_i32 s12, s11, s2
	s_cmp_ge_u32 s11, s2
	s_cselect_b32 s11, s12, s11
	s_sub_i32 s12, s11, s2
	s_cmp_ge_u32 s11, s2
	s_cselect_b32 s2, s12, s11
	s_xor_b32 s2, s2, s10
	s_sub_i32 s2, s2, s10
	s_ashr_i32 s10, s2, 31
	s_waitcnt lgkmcnt(0)
	s_mul_hi_u32 s11, s8, s2
	s_mul_i32 s10, s8, s10
	s_mul_i32 s9, s9, s2
	s_add_i32 s10, s11, s10
	s_add_i32 s10, s10, s9
	s_mul_i32 s2, s8, s2
	s_add_u32 s40, s22, s2
	s_addc_u32 s41, s23, s10
.LBB27_2:
	s_waitcnt lgkmcnt(0)
	s_movk_i32 s2, 0xe0
	v_mov_b32_e32 v2, 0x1040
	s_sub_i32 s35, s0, s1
	s_lshl_b32 s42, s6, 1
	v_cmp_gt_u32_e64 s[0:1], 28, v0
	v_mad_u32_u24 v55, v1, s2, v2
	v_lshlrev_b32_e32 v58, 3, v0
	v_and_b32_e32 v56, 3, v1
	v_lshrrev_b32_e32 v57, 2, v1
	s_and_saveexec_b64 s[12:13], s[0:1]
	s_cbranch_execz .LBB27_4
; %bb.3:
	s_load_dwordx4 s[8:11], s[4:5], 0x70
	v_add_u32_e32 v5, s42, v57
	v_mul_hi_u32 v4, s36, v5
	s_waitcnt lgkmcnt(0)
	s_mul_i32 s2, s33, s10
	s_ashr_i32 s22, s2, 31
	s_mul_i32 s11, s35, s9
	s_add_u32 s2, s16, s2
	s_addc_u32 s16, s17, s22
	s_ashr_i32 s17, s11, 31
	s_add_u32 s2, s2, s11
	s_mov_b32 s10, s9
	s_addc_u32 s22, s16, s17
	s_ashr_i32 s11, s9, 31
	s_lshr_b64 s[16:17], s[10:11], 2
	v_add_u32_e32 v4, v5, v4
	v_mad_u64_u32 v[2:3], s[16:17], s16, v56, 0
	v_lshrrev_b32_e32 v4, s37, v4
	v_mul_lo_u32 v6, v4, s38
	s_lshr_b32 s9, s11, 2
	v_mad_u64_u32 v[3:4], s[10:11], s9, v56, v[3:4]
	s_ashr_i32 s9, s8, 31
	s_lshr_b64 s[10:11], s[8:9], 2
	v_sub_u32_e32 v6, v5, v6
	v_mad_u64_u32 v[4:5], s[10:11], s10, v6, 0
	s_lshr_b32 s8, s9, 2
	v_lshlrev_b64 v[2:3], 2, v[2:3]
	v_mad_u64_u32 v[5:6], s[8:9], s8, v6, v[5:6]
	v_mov_b32_e32 v7, s22
	v_add_co_u32_e32 v6, vcc, s2, v2
	v_addc_co_u32_e32 v7, vcc, v7, v3, vcc
	v_lshlrev_b64 v[2:3], 2, v[4:5]
	v_lshlrev_b32_e32 v4, 4, v0
	v_add_co_u32_e32 v2, vcc, v6, v2
	v_addc_co_u32_e32 v3, vcc, v7, v3, vcc
	v_add_co_u32_e32 v2, vcc, v2, v4
	v_addc_co_u32_e32 v3, vcc, 0, v3, vcc
	global_load_dwordx4 v[2:5], v[2:3], off
	s_load_dword s2, s[4:5], 0x40
	v_add_u32_e32 v6, v55, v58
	s_waitcnt vmcnt(0) lgkmcnt(0)
	v_fma_mixlo_f16 v2, s2, v2, 0
	v_fma_mixlo_f16 v3, s2, v3, 0
	;; [unrolled: 1-line block ×4, first 2 shown]
	v_lshlrev_b32_e32 v3, 16, v3
	v_and_b32_e32 v2, 0xffff, v2
	v_lshlrev_b32_e32 v5, 16, v5
	v_and_b32_e32 v4, 0xffff, v4
	v_or_b32_e32 v2, v3, v2
	v_or3_b32 v3, v5, v4, 0
	v_or3_b32 v2, 0, 0, v2
	ds_write_b64 v6, v[2:3]
.LBB27_4:
	s_or_b64 exec, exec, s[12:13]
	s_cmp_eq_u64 s[26:27], 0
	s_waitcnt lgkmcnt(0)
	s_barrier
	s_cbranch_scc1 .LBB27_6
; %bb.5:
	s_load_dword s2, s[4:5], 0xd0
	s_mov_b32 s9, 0
	s_waitcnt lgkmcnt(0)
	s_mul_i32 s2, s2, s33
	s_add_i32 s8, s2, s6
	s_lshl_b64 s[8:9], s[8:9], 2
	s_add_u32 s8, s26, s8
	s_addc_u32 s9, s27, s9
	s_load_dword s34, s[8:9], 0x0
.LBB27_6:
	s_lshl_b32 s6, s7, 5
	s_waitcnt lgkmcnt(0)
	s_cmp_lt_i32 s6, s34
	v_mbcnt_lo_u32_b32 v2, -1, 0
	s_cbranch_scc1 .LBB27_17
; %bb.7:
	v_mbcnt_hi_u32_b32 v59, -1, v2
	v_and_b32_e32 v3, 0x60, v59
	v_add_u32_e32 v76, 32, v3
	v_xor_b32_e32 v77, 16, v59
	v_xor_b32_e32 v78, 8, v59
	;; [unrolled: 1-line block ×5, first 2 shown]
	s_cbranch_execz .LBB27_18
; %bb.8:
	v_mov_b32_e32 v61, 0
	v_mov_b32_e32 v82, 0
	;; [unrolled: 1-line block ×4, first 2 shown]
.LBB27_9:
	v_cmp_lt_i32_e32 vcc, v77, v76
	v_cndmask_b32_e32 v1, v59, v77, vcc
	v_lshlrev_b32_e32 v1, 2, v1
	ds_bpermute_b32 v1, v1, v82
	v_cmp_lt_i32_e32 vcc, v78, v76
	v_cndmask_b32_e32 v2, v59, v78, vcc
	v_lshlrev_b32_e32 v2, 2, v2
	v_cmp_lt_i32_e32 vcc, v79, v76
	s_waitcnt lgkmcnt(0)
	v_add_f32_e32 v1, v82, v1
	ds_bpermute_b32 v2, v2, v1
	v_cndmask_b32_e32 v3, v59, v79, vcc
	v_lshlrev_b32_e32 v3, 2, v3
	v_cmp_lt_i32_e32 vcc, v80, v76
	s_cmp_lg_u64 s[24:25], 0
	s_waitcnt lgkmcnt(0)
	v_add_f32_e32 v1, v1, v2
	ds_bpermute_b32 v2, v3, v1
	v_cndmask_b32_e32 v3, v59, v80, vcc
	v_lshlrev_b32_e32 v3, 2, v3
	v_cmp_lt_i32_e32 vcc, v81, v76
	s_cselect_b64 s[2:3], -1, 0
	s_waitcnt lgkmcnt(0)
	v_add_f32_e32 v1, v1, v2
	ds_bpermute_b32 v2, v3, v1
	v_cndmask_b32_e32 v3, v59, v81, vcc
	v_lshlrev_b32_e32 v3, 2, v3
	s_cmp_eq_u32 s7, 0
	s_cselect_b64 s[8:9], -1, 0
	s_waitcnt lgkmcnt(0)
	v_add_f32_e32 v1, v1, v2
	ds_bpermute_b32 v2, v3, v1
	s_and_b64 s[2:3], s[8:9], s[2:3]
	s_and_b64 vcc, exec, s[2:3]
	s_waitcnt lgkmcnt(0)
	v_add_f32_e32 v55, v1, v2
	s_cbranch_vccz .LBB27_11
; %bb.10:
	v_add_u32_e32 v1, s35, v56
	v_ashrrev_i32_e32 v2, 31, v1
	v_lshlrev_b64 v[1:2], 2, v[1:2]
	v_mov_b32_e32 v3, s25
	v_add_co_u32_e32 v1, vcc, s24, v1
	v_addc_co_u32_e32 v2, vcc, v3, v2, vcc
	global_load_dword v1, v[1:2], off
	v_max_f32_e32 v2, v54, v54
	s_mov_b32 s2, 0x3fb8aa3b
	s_mov_b32 s3, 0xc2ce8ed0
	s_waitcnt vmcnt(0)
	v_max_f32_e32 v3, v1, v1
	v_max_f32_e32 v2, v2, v3
	v_sub_f32_e32 v3, v54, v2
	v_sub_f32_e32 v1, v1, v2
	v_mul_f32_e32 v4, 0x3fb8aa3b, v3
	v_mul_f32_e32 v5, 0x3fb8aa3b, v1
	v_fma_f32 v6, v3, s2, -v4
	v_rndne_f32_e32 v7, v4
	v_fma_f32 v8, v1, s2, -v5
	v_rndne_f32_e32 v9, v5
	v_fmac_f32_e32 v6, 0x32a5705f, v3
	v_sub_f32_e32 v4, v4, v7
	v_fmac_f32_e32 v8, 0x32a5705f, v1
	v_sub_f32_e32 v5, v5, v9
	v_add_f32_e32 v4, v4, v6
	v_cvt_i32_f32_e32 v7, v7
	v_add_f32_e32 v5, v5, v8
	v_exp_f32_e32 v4, v4
	v_cvt_i32_f32_e32 v9, v9
	v_exp_f32_e32 v5, v5
	v_cmp_ngt_f32_e32 vcc, s3, v3
	v_ldexp_f32 v4, v4, v7
	s_mov_b32 s2, 0x42b17218
	v_ldexp_f32 v5, v5, v9
	v_cndmask_b32_e32 v4, 0, v4, vcc
	v_cmp_ngt_f32_e32 vcc, s3, v1
	v_mov_b32_e32 v6, 0x7f800000
	v_cndmask_b32_e32 v5, 0, v5, vcc
	v_cmp_nlt_f32_e32 vcc, s2, v3
	v_cndmask_b32_e32 v3, v6, v4, vcc
	v_cvt_f16_f32_e32 v4, v3
	v_cmp_nlt_f32_e32 vcc, s2, v1
	v_cndmask_b32_e32 v1, v6, v5, vcc
	v_fmac_f32_e32 v1, v55, v3
	v_mov_b32_e32 v55, v1
	v_mul_u32_u24_e32 v1, 0x10001, v4
	v_pk_mul_f16 v60, v60, v1
	v_pk_mul_f16 v61, v61, v1
	v_mov_b32_e32 v54, v2
.LBB27_11:
	v_add_u32_e32 v1, s42, v57
	v_cmp_gt_i32_e32 vcc, s38, v1
	s_and_saveexec_b64 s[2:3], vcc
	s_cbranch_execz .LBB27_16
; %bb.12:
	s_mul_i32 s33, s33, s38
	v_add_u32_e32 v1, s33, v1
	s_load_dword s2, s[4:5], 0xd4
	v_mul_lo_u32 v1, v1, s39
	s_waitcnt lgkmcnt(0)
	s_cmp_lg_u32 s2, 1
	v_add3_u32 v1, s35, v56, v1
	v_mul_lo_u32 v1, s2, v1
	s_cselect_b64 s[2:3], -1, 0
	v_add_u32_e32 v1, s7, v1
	s_and_saveexec_b64 s[4:5], s[0:1]
	s_cbranch_execz .LBB27_14
; %bb.13:
	v_div_scale_f32 v2, s[0:1], v55, v55, 1.0
	v_div_scale_f32 v3, vcc, 1.0, v55, 1.0
	s_movk_i32 s0, 0x70
	v_cvt_f32_f16_e32 v8, v61
	v_cvt_f32_f16_sdwa v9, v60 dst_sel:DWORD dst_unused:UNUSED_PAD src0_sel:WORD_1
	v_cvt_f32_f16_e32 v10, v60
	v_mov_b32_e32 v11, s29
	v_rcp_f32_e32 v4, v2
	v_fma_f32 v5, -v2, v4, 1.0
	v_fmac_f32_e32 v4, v5, v4
	v_mul_f32_e32 v5, v3, v4
	v_fma_f32 v6, -v2, v5, v3
	v_fmac_f32_e32 v5, v6, v4
	v_fma_f32 v2, -v2, v5, v3
	v_div_fmas_f32 v4, v2, v4, v5
	v_mul_lo_u32 v2, v1, s0
	v_cvt_f32_f16_sdwa v5, v61 dst_sel:DWORD dst_unused:UNUSED_PAD src0_sel:WORD_1
	v_mov_b32_e32 v3, 0
	v_lshl_add_u32 v2, v0, 2, v2
	v_lshlrev_b64 v[6:7], 2, v[2:3]
	v_add_co_u32_e32 v6, vcc, s28, v6
	v_addc_co_u32_e32 v7, vcc, v11, v7, vcc
	v_div_fixup_f32 v2, v4, v55, 1.0
	v_cndmask_b32_e64 v2, v2, 1.0, s[2:3]
	v_mul_f32_e32 v5, v2, v5
	v_mul_f32_e32 v4, v2, v8
	;; [unrolled: 1-line block ×4, first 2 shown]
	global_store_dwordx4 v[6:7], v[2:5], off
.LBB27_14:
	s_or_b64 exec, exec, s[4:5]
	v_cmp_eq_u32_e32 vcc, 0, v0
	s_and_b64 s[0:1], vcc, s[2:3]
	s_and_b64 exec, exec, s[0:1]
	s_cbranch_execz .LBB27_16
; %bb.15:
	v_ashrrev_i32_e32 v2, 31, v1
	v_lshlrev_b64 v[0:1], 3, v[1:2]
	v_mov_b32_e32 v2, s31
	v_add_co_u32_e32 v0, vcc, s30, v0
	v_addc_co_u32_e32 v1, vcc, v2, v1, vcc
	global_store_dwordx2 v[0:1], v[54:55], off
.LBB27_16:
	s_endpgm
.LBB27_17:
                                        ; implicit-def: $vgpr59
                                        ; implicit-def: $vgpr76
                                        ; implicit-def: $vgpr77
                                        ; implicit-def: $vgpr78
                                        ; implicit-def: $vgpr79
                                        ; implicit-def: $vgpr80
                                        ; implicit-def: $vgpr81
.LBB27_18:
	s_load_dwordx2 s[12:13], s[4:5], 0x8c
	s_load_dwordx4 s[8:11], s[4:5], 0x98
	s_sub_i32 s2, 0, s14
	s_mul_i32 s2, s2, s43
	s_mul_hi_u32 s2, s43, s2
	s_abs_i32 s22, s35
	s_add_i32 s43, s43, s2
	s_ashr_i32 s26, s3, 1
	s_ashr_i32 s3, s33, 31
	s_mul_hi_u32 s2, s22, s43
	s_waitcnt lgkmcnt(0)
	s_ashr_i32 s43, s10, 2
	s_ashr_i32 s44, s12, 2
	s_mul_hi_u32 s10, s8, s33
	s_mul_i32 s12, s8, s3
	s_add_i32 s10, s10, s12
	s_mul_i32 s9, s9, s33
	s_ashr_i32 s23, s35, 31
	s_ashr_i32 s15, s15, 31
	s_add_i32 s10, s10, s9
	s_mul_i32 s8, s8, s33
	s_add_u32 s8, s18, s8
	s_mul_i32 s12, s2, s14
	s_addc_u32 s9, s19, s10
	s_sub_i32 s12, s22, s12
	s_xor_b32 s10, s23, s15
	s_add_i32 s15, s2, 1
	s_sub_i32 s18, s12, s14
	s_cmp_ge_u32 s12, s14
	v_add_u32_e32 v7, s42, v57
	s_cselect_b32 s2, s15, s2
	v_mul_hi_u32 v6, s36, v7
	s_cselect_b32 s12, s18, s12
	s_add_i32 s15, s2, 1
	s_cmp_ge_u32 s12, s14
	s_load_dwordx2 s[16:17], s[4:5], 0xa8
	s_cselect_b32 s2, s15, s2
	s_xor_b32 s2, s2, s10
	v_add_u32_e32 v6, v7, v6
	s_sub_i32 s2, s2, s10
	v_lshrrev_b32_e32 v6, s37, v6
	s_mul_i32 s10, s2, s13
	v_mul_lo_u32 v11, v6, s38
	s_ashr_i32 s12, s10, 31
	s_add_u32 s45, s8, s10
	s_waitcnt lgkmcnt(0)
	s_mul_hi_u32 s8, s16, s33
	s_mul_i32 s3, s16, s3
	s_addc_u32 s46, s9, s12
	s_add_i32 s3, s8, s3
	s_mul_i32 s8, s17, s33
	s_add_i32 s3, s3, s8
	s_mul_i32 s8, s16, s33
	v_lshrrev_b32_e32 v4, 1, v0
	v_lshlrev_b32_e32 v14, 2, v0
	v_sub_u32_e32 v17, v7, v11
	v_mov_b32_e32 v7, 0x1740
	s_add_u32 s8, s20, s8
	s_mul_i32 s2, s2, s11
	v_lshl_add_u32 v9, v1, 4, v4
	v_lshrrev_b32_e32 v4, 2, v0
	v_and_b32_e32 v15, 4, v14
	v_lshl_add_u32 v63, v1, 6, v7
	v_lshrrev_b32_e32 v7, 3, v0
	s_addc_u32 s3, s21, s3
	s_ashr_i32 s9, s2, 31
	v_lshl_add_u32 v3, v1, 5, v0
	v_lshl_add_u32 v10, v1, 3, v4
	v_lshlrev_b32_e32 v5, 7, v9
	v_lshlrev_b32_e32 v8, 2, v15
	v_and_b32_e32 v16, 12, v14
	v_lshl_add_u32 v1, v1, 2, v7
	v_mul_u32_u24_e32 v7, 0xe0, v9
	s_add_u32 s47, s8, s2
	v_or3_b32 v62, v5, v8, 64
	v_lshlrev_b32_e32 v12, 2, v16
	v_or_b32_e32 v13, v7, v8
	v_mul_u32_u24_e32 v8, 0xe0, v10
	s_movk_i32 s8, 0x80
	s_addc_u32 s48, s3, s9
	v_cmp_gt_u32_e32 vcc, 32, v3
	v_cmp_gt_u32_e64 s[2:3], 32, v9
	v_mul_lo_u32 v3, s44, v3
	v_mul_lo_u32 v5, s44, v9
	;; [unrolled: 1-line block ×3, first 2 shown]
	v_add3_u32 v64, v8, v12, s8
	v_cmp_gt_u32_e64 s[8:9], 16, v9
	v_mul_lo_u32 v9, s43, v9
	v_mul_lo_u32 v11, s43, v10
	v_add_u32_e32 v66, 0xc0, v13
	v_mul_lo_u32 v13, s43, v1
	v_and_b32_e32 v67, 28, v14
	s_movk_i32 s14, 0xe0
	v_lshlrev_b32_e32 v14, 2, v67
	v_mad_u32_u24 v68, v1, s14, v14
	v_mad_u64_u32 v[53:54], s[14:15], v17, s26, v[0:1]
	v_cmp_gt_u32_e64 s[18:19], 32, v10
	v_ashrrev_i32_e32 v4, 31, v3
	v_ashrrev_i32_e32 v6, 31, v5
	v_lshl_or_b32 v65, v10, 7, v12
	v_ashrrev_i32_e32 v8, 31, v7
	v_cmp_gt_u32_e64 s[10:11], 16, v10
	v_ashrrev_i32_e32 v10, 31, v9
	v_ashrrev_i32_e32 v12, 31, v11
	;; [unrolled: 1-line block ×3, first 2 shown]
	s_add_u32 s22, s4, 0xd0
	v_lshlrev_b64 v[41:42], 2, v[3:4]
	v_lshlrev_b64 v[43:44], 2, v[5:6]
	;; [unrolled: 1-line block ×6, first 2 shown]
	v_lshlrev_b32_e32 v71, 7, v0
	v_cmp_gt_u32_e64 s[12:13], 16, v1
	s_addc_u32 s23, s5, 0
	s_mov_b32 s36, 0x3fb8aa3b
	s_mov_b32 s37, 0xc2ce8ed0
	;; [unrolled: 1-line block ×4, first 2 shown]
	v_lshlrev_b32_e32 v69, 2, v15
	v_lshlrev_b32_e32 v70, 2, v16
	v_mbcnt_hi_u32_b32 v59, -1, v2
	v_or_b32_e32 v72, 0x60, v71
	v_mov_b32_e32 v60, 0
	v_lshl_add_u32 v73, v0, 1, v63
	v_mov_b32_e32 v1, 0xfeffffff
	v_mov_b32_e32 v74, 0x7f800000
	;; [unrolled: 1-line block ×4, first 2 shown]
.LBB27_19:                              ; =>This Inner Loop Header: Depth=1
	s_mul_hi_i32 s15, s6, s44
	s_mul_i32 s14, s6, s44
	s_lshl_b64 s[14:15], s[14:15], 2
	s_add_u32 s20, s45, s14
	s_addc_u32 s21, s46, s15
	s_and_saveexec_b64 s[16:17], vcc
	s_cbranch_execnz .LBB27_37
; %bb.20:                               ;   in Loop: Header=BB27_19 Depth=1
	s_or_b64 exec, exec, s[16:17]
	s_and_saveexec_b64 s[16:17], s[2:3]
	s_cbranch_execnz .LBB27_38
.LBB27_21:                              ;   in Loop: Header=BB27_19 Depth=1
	s_or_b64 exec, exec, s[16:17]
	s_and_saveexec_b64 s[16:17], s[18:19]
	s_cbranch_execz .LBB27_23
.LBB27_22:                              ;   in Loop: Header=BB27_19 Depth=1
	v_mov_b32_e32 v2, s21
	v_add_co_u32_e64 v3, s[14:15], s20, v45
	v_addc_co_u32_e64 v4, s[14:15], v2, v46, s[14:15]
	v_add_co_u32_e64 v2, s[14:15], v3, v70
	v_addc_co_u32_e64 v3, s[14:15], 0, v4, s[14:15]
	global_load_dwordx4 v[2:5], v[2:3], off
	s_waitcnt vmcnt(0)
	ds_write_b128 v65, v[2:5]
.LBB27_23:                              ;   in Loop: Header=BB27_19 Depth=1
	s_or_b64 exec, exec, s[16:17]
	s_waitcnt lgkmcnt(0)
	s_barrier
	ds_read_b128 v[3:6], v71
	ds_read_b128 v[7:10], v55
	v_mov_b32_e32 v2, 0
	s_waitcnt lgkmcnt(0)
	;;#ASMSTART
	v_dot2_f32_f16 v2, v3, v7, v2
	;;#ASMEND
	;;#ASMSTART
	v_dot2_f32_f16 v2, v4, v8, v2
	;;#ASMEND
	;;#ASMSTART
	v_dot2_f32_f16 v2, v5, v9, v2
	;;#ASMEND
	;;#ASMSTART
	v_dot2_f32_f16 v2, v6, v10, v2
	;;#ASMEND
	ds_read_b128 v[3:6], v71 offset:16
	ds_read_b128 v[7:10], v55 offset:16
	s_waitcnt lgkmcnt(0)
	;;#ASMSTART
	v_dot2_f32_f16 v2, v3, v7, v2
	;;#ASMEND
	;;#ASMSTART
	v_dot2_f32_f16 v2, v4, v8, v2
	;;#ASMEND
	;;#ASMSTART
	v_dot2_f32_f16 v2, v5, v9, v2
	;;#ASMEND
	;;#ASMSTART
	v_dot2_f32_f16 v2, v6, v10, v2
	;;#ASMEND
	ds_read_b128 v[3:6], v71 offset:32
	ds_read_b128 v[7:10], v55 offset:32
	;; [unrolled: 15-line block ×6, first 2 shown]
	s_waitcnt lgkmcnt(0)
	;;#ASMSTART
	v_dot2_f32_f16 v2, v3, v7, v2
	;;#ASMEND
	;;#ASMSTART
	v_dot2_f32_f16 v2, v4, v8, v2
	;;#ASMEND
	;; [unrolled: 3-line block ×4, first 2 shown]
	s_barrier
	s_and_saveexec_b64 s[16:17], vcc
	s_cbranch_execnz .LBB27_39
; %bb.24:                               ;   in Loop: Header=BB27_19 Depth=1
	s_or_b64 exec, exec, s[16:17]
	s_and_saveexec_b64 s[16:17], s[2:3]
	s_cbranch_execnz .LBB27_40
.LBB27_25:                              ;   in Loop: Header=BB27_19 Depth=1
	s_or_b64 exec, exec, s[16:17]
	s_and_saveexec_b64 s[16:17], s[18:19]
	s_cbranch_execz .LBB27_27
.LBB27_26:                              ;   in Loop: Header=BB27_19 Depth=1
	v_mov_b32_e32 v3, s21
	v_add_co_u32_e64 v4, s[14:15], s20, v45
	v_addc_co_u32_e64 v5, s[14:15], v3, v46, s[14:15]
	v_add_co_u32_e64 v3, s[14:15], v4, v70
	v_addc_co_u32_e64 v4, s[14:15], 0, v5, s[14:15]
	global_load_dwordx4 v[3:6], v[3:4], off offset:112
	s_waitcnt vmcnt(0)
	ds_write_b128 v65, v[3:6]
.LBB27_27:                              ;   in Loop: Header=BB27_19 Depth=1
	s_or_b64 exec, exec, s[16:17]
	s_waitcnt lgkmcnt(0)
	s_barrier
	ds_read_b128 v[3:6], v71
	ds_read_b128 v[7:10], v55 offset:112
	v_add_u32_e32 v11, s6, v53
	s_waitcnt lgkmcnt(0)
	;;#ASMSTART
	v_dot2_f32_f16 v2, v3, v7, v2
	;;#ASMEND
	;;#ASMSTART
	v_dot2_f32_f16 v2, v4, v8, v2
	;;#ASMEND
	;;#ASMSTART
	v_dot2_f32_f16 v2, v5, v9, v2
	;;#ASMEND
	;;#ASMSTART
	v_dot2_f32_f16 v2, v6, v10, v2
	;;#ASMEND
	ds_read_b128 v[3:6], v71 offset:16
	ds_read_b128 v[7:10], v55 offset:128
	s_waitcnt lgkmcnt(0)
	;;#ASMSTART
	v_dot2_f32_f16 v2, v3, v7, v2
	;;#ASMEND
	;;#ASMSTART
	v_dot2_f32_f16 v2, v4, v8, v2
	;;#ASMEND
	;;#ASMSTART
	v_dot2_f32_f16 v2, v5, v9, v2
	;;#ASMEND
	;;#ASMSTART
	v_dot2_f32_f16 v2, v6, v10, v2
	;;#ASMEND
	ds_read_b128 v[3:6], v71 offset:32
	ds_read_b128 v[7:10], v55 offset:144
	;; [unrolled: 15-line block ×6, first 2 shown]
	v_ashrrev_i32_e32 v12, 31, v11
	v_lshlrev_b64 v[11:12], 1, v[11:12]
	s_waitcnt lgkmcnt(0)
	;;#ASMSTART
	v_dot2_f32_f16 v2, v3, v7, v2
	;;#ASMEND
	v_mov_b32_e32 v13, s41
	v_add_co_u32_e64 v11, s[14:15], s40, v11
	;;#ASMSTART
	v_dot2_f32_f16 v2, v4, v8, v2
	;;#ASMEND
	v_addc_co_u32_e64 v12, s[14:15], v13, v12, s[14:15]
	;;#ASMSTART
	v_dot2_f32_f16 v2, v5, v9, v2
	;;#ASMEND
	;;#ASMSTART
	v_dot2_f32_f16 v2, v6, v10, v2
	;;#ASMEND
	global_load_ushort v3, v[11:12], off
	v_and_b32_e32 v4, 0x60, v59
	v_xor_b32_e32 v77, 16, v59
	v_add_u32_e32 v76, 32, v4
	v_cmp_lt_i32_e64 s[14:15], v77, v76
	v_max_f32_e32 v5, v1, v1
	v_cndmask_b32_e64 v4, v59, v77, s[14:15]
	v_lshlrev_b32_e32 v4, 2, v4
	v_xor_b32_e32 v78, 8, v59
	v_cmp_lt_i32_e64 s[14:15], v78, v76
	v_xor_b32_e32 v79, 4, v59
	v_xor_b32_e32 v80, 2, v59
	;; [unrolled: 1-line block ×3, first 2 shown]
	s_waitcnt vmcnt(0)
	s_barrier
	v_cvt_f32_f16_e32 v3, v3
	v_add_f32_e32 v2, v2, v3
	v_add_f32_e32 v3, 0x40051340, v2
	v_max_f32_e32 v3, v5, v3
	ds_bpermute_b32 v4, v4, v3
	v_cndmask_b32_e64 v5, v59, v78, s[14:15]
	v_lshlrev_b32_e32 v5, 2, v5
	v_cmp_lt_i32_e64 s[14:15], v79, v76
	s_waitcnt lgkmcnt(0)
	v_max_f32_e32 v4, v4, v4
	v_max_f32_e32 v3, v3, v4
	ds_bpermute_b32 v4, v5, v3
	v_cndmask_b32_e64 v5, v59, v79, s[14:15]
	v_lshlrev_b32_e32 v5, 2, v5
	v_cmp_lt_i32_e64 s[14:15], v80, v76
	s_waitcnt lgkmcnt(0)
	v_max_f32_e32 v4, v4, v4
	;; [unrolled: 7-line block ×3, first 2 shown]
	v_max_f32_e32 v3, v3, v4
	ds_bpermute_b32 v4, v5, v3
	v_cndmask_b32_e64 v5, v59, v81, s[14:15]
	v_lshlrev_b32_e32 v5, 2, v5
	s_mul_hi_i32 s15, s6, s43
	s_mul_i32 s14, s6, s43
	s_waitcnt lgkmcnt(0)
	v_max_f32_e32 v4, v4, v4
	v_max_f32_e32 v3, v3, v4
	ds_bpermute_b32 v4, v5, v3
	s_lshl_b64 s[16:17], s[14:15], 2
	s_add_u32 s20, s47, s16
	s_addc_u32 s21, s48, s17
	s_waitcnt lgkmcnt(0)
	v_max_f32_e32 v4, v4, v4
	v_max_f32_e32 v54, v3, v4
	v_sub_f32_e32 v2, v2, v54
	v_mul_f32_e32 v3, 0x3fb8aa3b, v2
	v_fma_f32 v4, v2, s36, -v3
	v_rndne_f32_e32 v5, v3
	v_fmac_f32_e32 v4, 0x32a5705f, v2
	v_sub_f32_e32 v3, v3, v5
	v_add_f32_e32 v3, v3, v4
	v_cvt_i32_f32_e32 v5, v5
	v_exp_f32_e32 v3, v3
	v_cmp_ngt_f32_e64 s[14:15], s37, v2
	v_ldexp_f32 v3, v3, v5
	v_cndmask_b32_e64 v3, 0, v3, s[14:15]
	v_cmp_nlt_f32_e64 s[14:15], s49, v2
	v_cndmask_b32_e64 v82, v74, v3, s[14:15]
	v_cvt_f16_f32_e32 v2, v82
	ds_write_b16 v73, v2
	s_and_saveexec_b64 s[16:17], s[8:9]
	s_cbranch_execnz .LBB27_41
; %bb.28:                               ;   in Loop: Header=BB27_19 Depth=1
	s_or_b64 exec, exec, s[16:17]
	s_and_saveexec_b64 s[16:17], s[10:11]
	s_cbranch_execnz .LBB27_42
.LBB27_29:                              ;   in Loop: Header=BB27_19 Depth=1
	s_or_b64 exec, exec, s[16:17]
	v_lshlrev_b32_e32 v84, 2, v67
	s_and_saveexec_b64 s[16:17], s[12:13]
	s_cbranch_execz .LBB27_31
.LBB27_30:                              ;   in Loop: Header=BB27_19 Depth=1
	v_mov_b32_e32 v2, s21
	v_add_co_u32_e64 v3, s[14:15], s20, v51
	v_addc_co_u32_e64 v4, s[14:15], v2, v52, s[14:15]
	v_add_co_u32_e64 v2, s[14:15], v3, v84
	v_addc_co_u32_e64 v3, s[14:15], 0, v4, s[14:15]
	global_load_dwordx4 v[2:5], v[2:3], off
	s_waitcnt vmcnt(0)
	ds_write_b128 v68, v[2:5]
.LBB27_31:                              ;   in Loop: Header=BB27_19 Depth=1
	s_or_b64 exec, exec, s[16:17]
	s_waitcnt lgkmcnt(0)
	s_barrier
	ds_read2_b64 v[21:24], v58 offset1:28
	ds_read_b128 v[37:40], v63
	ds_read_b128 v[33:36], v63 offset:16
	ds_read2_b64 v[29:32], v58 offset0:56 offset1:84
	ds_read2_b64 v[25:28], v58 offset0:112 offset1:140
	;; [unrolled: 1-line block ×4, first 2 shown]
	v_add_u32_e32 v83, 0x800, v58
	v_sub_f32_e32 v85, v1, v54
	ds_read2_b64 v[13:16], v83 offset0:24 offset1:52
	ds_read2_b64 v[5:8], v83 offset0:80 offset1:108
	ds_read2_b64 v[1:4], v83 offset0:136 offset1:164
	s_or_b32 s20, s6, 16
	s_mul_hi_i32 s21, s20, s43
	s_mul_i32 s20, s20, s43
	s_lshl_b64 s[20:21], s[20:21], 2
	s_add_u32 s51, s47, s20
	v_cmp_ngt_f32_e64 s[14:15], s37, v85
	v_cmp_nlt_f32_e64 s[16:17], s49, v85
	s_addc_u32 s52, s48, s21
	s_waitcnt lgkmcnt(0)
	s_barrier
	s_and_saveexec_b64 s[26:27], s[8:9]
	s_cbranch_execnz .LBB27_43
; %bb.32:                               ;   in Loop: Header=BB27_19 Depth=1
	s_or_b64 exec, exec, s[26:27]
	s_and_saveexec_b64 s[26:27], s[10:11]
	s_cbranch_execnz .LBB27_44
.LBB27_33:                              ;   in Loop: Header=BB27_19 Depth=1
	s_or_b64 exec, exec, s[26:27]
	s_and_saveexec_b64 s[26:27], s[12:13]
	s_cbranch_execz .LBB27_35
.LBB27_34:                              ;   in Loop: Header=BB27_19 Depth=1
	v_mov_b32_e32 v86, s52
	v_add_co_u32_e64 v87, s[20:21], s51, v51
	v_addc_co_u32_e64 v88, s[20:21], v86, v52, s[20:21]
	v_add_co_u32_e64 v86, s[20:21], v87, v84
	v_addc_co_u32_e64 v87, s[20:21], 0, v88, s[20:21]
	global_load_dwordx4 v[86:89], v[86:87], off
	s_waitcnt vmcnt(0)
	ds_write_b128 v68, v[86:89]
.LBB27_35:                              ;   in Loop: Header=BB27_19 Depth=1
	s_or_b64 exec, exec, s[26:27]
	v_mul_f32_e32 v84, 0x3fb8aa3b, v85
	v_fma_f32 v86, v85, s36, -v84
	v_fmac_f32_e32 v86, 0x32a5705f, v85
	v_rndne_f32_e32 v85, v84
	v_sub_f32_e32 v84, v84, v85
	v_add_f32_e32 v84, v84, v86
	v_cvt_i32_f32_e32 v85, v85
	v_exp_f32_e32 v84, v84
	v_mul_u32_u24_sdwa v86, v37, s50 dst_sel:DWORD dst_unused:UNUSED_PAD src0_sel:WORD_0 src1_sel:DWORD
	v_pk_mul_f16 v21, v21, v86
	v_pk_mul_f16 v22, v22, v86
	v_ldexp_f32 v84, v84, v85
	v_cndmask_b32_e64 v84, 0, v84, s[14:15]
	v_cndmask_b32_e64 v84, v74, v84, s[16:17]
	v_cvt_f16_f32_e32 v85, v84
	v_mul_u32_u24_sdwa v37, v37, s50 dst_sel:DWORD dst_unused:UNUSED_PAD src0_sel:WORD_1 src1_sel:DWORD
	v_mul_u32_u24_sdwa v87, v38, s50 dst_sel:DWORD dst_unused:UNUSED_PAD src0_sel:WORD_0 src1_sel:DWORD
	v_mul_u32_u24_sdwa v38, v38, s50 dst_sel:DWORD dst_unused:UNUSED_PAD src0_sel:WORD_1 src1_sel:DWORD
	v_mul_u32_u24_e32 v85, 0x10001, v85
	v_pk_fma_f16 v21, v60, v85, v21
	v_pk_fma_f16 v22, v61, v85, v22
	;; [unrolled: 1-line block ×6, first 2 shown]
	v_mul_u32_u24_sdwa v88, v39, s50 dst_sel:DWORD dst_unused:UNUSED_PAD src0_sel:WORD_0 src1_sel:DWORD
	v_pk_fma_f16 v21, v31, v38, v21
	v_pk_fma_f16 v22, v32, v38, v22
	v_mul_u32_u24_sdwa v39, v39, s50 dst_sel:DWORD dst_unused:UNUSED_PAD src0_sel:WORD_1 src1_sel:DWORD
	v_pk_fma_f16 v21, v25, v88, v21
	v_pk_fma_f16 v22, v26, v88, v22
	v_mul_u32_u24_sdwa v89, v40, s50 dst_sel:DWORD dst_unused:UNUSED_PAD src0_sel:WORD_0 src1_sel:DWORD
	v_pk_fma_f16 v21, v27, v39, v21
	v_pk_fma_f16 v22, v28, v39, v22
	v_mul_u32_u24_sdwa v40, v40, s50 dst_sel:DWORD dst_unused:UNUSED_PAD src0_sel:WORD_1 src1_sel:DWORD
	v_pk_fma_f16 v17, v17, v89, v21
	v_pk_fma_f16 v18, v18, v89, v22
	;; [unrolled: 6-line block ×5, first 2 shown]
	v_mul_u32_u24_sdwa v93, v36, s50 dst_sel:DWORD dst_unused:UNUSED_PAD src0_sel:WORD_0 src1_sel:DWORD
	v_pk_fma_f16 v5, v7, v35, v5
	v_pk_fma_f16 v6, v8, v35, v6
	;; [unrolled: 1-line block ×4, first 2 shown]
	s_waitcnt lgkmcnt(0)
	s_barrier
	ds_read_b128 v[5:8], v63 offset:32
	ds_read2_b64 v[9:12], v58 offset1:28
	v_mul_u32_u24_sdwa v36, v36, s50 dst_sel:DWORD dst_unused:UNUSED_PAD src0_sel:WORD_1 src1_sel:DWORD
	v_pk_fma_f16 v13, v3, v36, v1
	v_pk_fma_f16 v14, v4, v36, v2
	s_waitcnt lgkmcnt(1)
	v_mul_u32_u24_sdwa v15, v5, s50 dst_sel:DWORD dst_unused:UNUSED_PAD src0_sel:WORD_0 src1_sel:DWORD
	s_waitcnt lgkmcnt(0)
	v_pk_fma_f16 v9, v9, v15, v13
	v_pk_fma_f16 v10, v10, v15, v14
	ds_read2_b64 v[13:16], v58 offset0:56 offset1:84
	v_mul_u32_u24_sdwa v5, v5, s50 dst_sel:DWORD dst_unused:UNUSED_PAD src0_sel:WORD_1 src1_sel:DWORD
	v_pk_fma_f16 v9, v11, v5, v9
	v_pk_fma_f16 v5, v12, v5, v10
	v_mul_u32_u24_sdwa v10, v6, s50 dst_sel:DWORD dst_unused:UNUSED_PAD src0_sel:WORD_0 src1_sel:DWORD
	s_waitcnt lgkmcnt(0)
	v_pk_fma_f16 v13, v13, v10, v9
	v_pk_fma_f16 v5, v14, v10, v5
	ds_read2_b64 v[9:12], v58 offset0:112 offset1:140
	v_mul_u32_u24_sdwa v6, v6, s50 dst_sel:DWORD dst_unused:UNUSED_PAD src0_sel:WORD_1 src1_sel:DWORD
	v_pk_fma_f16 v13, v15, v6, v13
	v_pk_fma_f16 v5, v16, v6, v5
	v_mul_u32_u24_sdwa v6, v7, s50 dst_sel:DWORD dst_unused:UNUSED_PAD src0_sel:WORD_0 src1_sel:DWORD
	s_waitcnt lgkmcnt(0)
	v_pk_fma_f16 v9, v9, v6, v13
	ds_read2_b64 v[13:16], v58 offset0:168 offset1:196
	ds_read_b128 v[1:4], v63 offset:48
	v_pk_fma_f16 v5, v10, v6, v5
	v_mul_u32_u24_sdwa v6, v7, s50 dst_sel:DWORD dst_unused:UNUSED_PAD src0_sel:WORD_1 src1_sel:DWORD
	v_pk_fma_f16 v7, v11, v6, v9
	v_pk_fma_f16 v5, v12, v6, v5
	ds_read2_b64 v[9:12], v58 offset0:224 offset1:252
	v_mul_u32_u24_sdwa v6, v8, s50 dst_sel:DWORD dst_unused:UNUSED_PAD src0_sel:WORD_0 src1_sel:DWORD
	s_waitcnt lgkmcnt(2)
	v_pk_fma_f16 v7, v13, v6, v7
	v_pk_fma_f16 v5, v14, v6, v5
	v_mul_u32_u24_sdwa v6, v8, s50 dst_sel:DWORD dst_unused:UNUSED_PAD src0_sel:WORD_1 src1_sel:DWORD
	v_pk_fma_f16 v7, v15, v6, v7
	v_pk_fma_f16 v5, v16, v6, v5
	s_waitcnt lgkmcnt(1)
	v_mul_u32_u24_sdwa v6, v1, s50 dst_sel:DWORD dst_unused:UNUSED_PAD src0_sel:WORD_0 src1_sel:DWORD
	s_waitcnt lgkmcnt(0)
	v_pk_fma_f16 v9, v9, v6, v7
	v_pk_fma_f16 v10, v10, v6, v5
	ds_read2_b64 v[5:8], v83 offset0:24 offset1:52
	v_mul_u32_u24_sdwa v1, v1, s50 dst_sel:DWORD dst_unused:UNUSED_PAD src0_sel:WORD_1 src1_sel:DWORD
	v_pk_fma_f16 v9, v11, v1, v9
	v_pk_fma_f16 v1, v12, v1, v10
	v_mul_u32_u24_sdwa v10, v2, s50 dst_sel:DWORD dst_unused:UNUSED_PAD src0_sel:WORD_0 src1_sel:DWORD
	s_waitcnt lgkmcnt(0)
	v_pk_fma_f16 v5, v5, v10, v9
	v_pk_fma_f16 v1, v6, v10, v1
	ds_read2_b64 v[9:12], v83 offset0:80 offset1:108
	v_mul_u32_u24_sdwa v2, v2, s50 dst_sel:DWORD dst_unused:UNUSED_PAD src0_sel:WORD_1 src1_sel:DWORD
	v_pk_fma_f16 v5, v7, v2, v5
	v_pk_fma_f16 v1, v8, v2, v1
	v_mul_u32_u24_sdwa v2, v3, s50 dst_sel:DWORD dst_unused:UNUSED_PAD src0_sel:WORD_0 src1_sel:DWORD
	s_waitcnt lgkmcnt(0)
	v_pk_fma_f16 v5, v9, v2, v5
	v_pk_fma_f16 v1, v10, v2, v1
	v_mul_u32_u24_sdwa v2, v3, s50 dst_sel:DWORD dst_unused:UNUSED_PAD src0_sel:WORD_1 src1_sel:DWORD
	v_pk_fma_f16 v3, v11, v2, v5
	ds_read2_b64 v[5:8], v83 offset0:136 offset1:164
	s_waitcnt lgkmcnt(0)
	s_barrier
	s_load_dword s14, s[22:23], 0x4
	v_pk_fma_f16 v1, v12, v2, v1
	v_mul_u32_u24_sdwa v2, v4, s50 dst_sel:DWORD dst_unused:UNUSED_PAD src0_sel:WORD_0 src1_sel:DWORD
	v_pk_fma_f16 v3, v5, v2, v3
	v_pk_fma_f16 v1, v6, v2, v1
	s_waitcnt lgkmcnt(0)
	s_lshl_b32 s14, s14, 5
	v_mul_u32_u24_sdwa v2, v4, s50 dst_sel:DWORD dst_unused:UNUSED_PAD src0_sel:WORD_1 src1_sel:DWORD
	s_add_i32 s6, s14, s6
	v_fmac_f32_e32 v82, v75, v84
	v_pk_fma_f16 v60, v7, v2, v3
	s_cmp_ge_i32 s6, s34
	v_pk_fma_f16 v61, v8, v2, v1
	s_cbranch_scc1 .LBB27_9
; %bb.36:                               ;   in Loop: Header=BB27_19 Depth=1
	v_mov_b32_e32 v1, v54
	v_mov_b32_e32 v75, v82
	s_branch .LBB27_19
.LBB27_37:                              ;   in Loop: Header=BB27_19 Depth=1
	v_mov_b32_e32 v3, s21
	v_add_co_u32_e64 v2, s[14:15], s20, v41
	v_addc_co_u32_e64 v3, s[14:15], v3, v42, s[14:15]
	global_load_dwordx4 v[2:5], v[2:3], off offset:96
	s_waitcnt vmcnt(0)
	ds_write_b128 v72, v[2:5]
	s_or_b64 exec, exec, s[16:17]
	s_and_saveexec_b64 s[16:17], s[2:3]
	s_cbranch_execz .LBB27_21
.LBB27_38:                              ;   in Loop: Header=BB27_19 Depth=1
	v_mov_b32_e32 v2, s21
	v_add_co_u32_e64 v3, s[14:15], s20, v43
	v_addc_co_u32_e64 v4, s[14:15], v2, v44, s[14:15]
	v_add_co_u32_e64 v2, s[14:15], v3, v69
	v_addc_co_u32_e64 v3, s[14:15], 0, v4, s[14:15]
	global_load_dwordx4 v[2:5], v[2:3], off offset:64
	s_waitcnt vmcnt(0)
	ds_write_b128 v62, v[2:5]
	s_or_b64 exec, exec, s[16:17]
	s_and_saveexec_b64 s[16:17], s[18:19]
	s_cbranch_execnz .LBB27_22
	s_branch .LBB27_23
.LBB27_39:                              ;   in Loop: Header=BB27_19 Depth=1
	v_mov_b32_e32 v4, s21
	v_add_co_u32_e64 v3, s[14:15], s20, v41
	v_addc_co_u32_e64 v4, s[14:15], v4, v42, s[14:15]
	global_load_dwordx4 v[3:6], v[3:4], off offset:208
	s_waitcnt vmcnt(0)
	ds_write_b128 v72, v[3:6]
	s_or_b64 exec, exec, s[16:17]
	s_and_saveexec_b64 s[16:17], s[2:3]
	s_cbranch_execz .LBB27_25
.LBB27_40:                              ;   in Loop: Header=BB27_19 Depth=1
	v_mov_b32_e32 v3, s21
	v_add_co_u32_e64 v4, s[14:15], s20, v43
	v_addc_co_u32_e64 v5, s[14:15], v3, v44, s[14:15]
	v_add_co_u32_e64 v3, s[14:15], v4, v69
	v_addc_co_u32_e64 v4, s[14:15], 0, v5, s[14:15]
	global_load_dwordx4 v[3:6], v[3:4], off offset:176
	s_waitcnt vmcnt(0)
	ds_write_b128 v62, v[3:6]
	s_or_b64 exec, exec, s[16:17]
	s_and_saveexec_b64 s[16:17], s[18:19]
	s_cbranch_execnz .LBB27_26
	s_branch .LBB27_27
.LBB27_41:                              ;   in Loop: Header=BB27_19 Depth=1
	v_mov_b32_e32 v2, s21
	v_add_co_u32_e64 v3, s[14:15], s20, v47
	v_addc_co_u32_e64 v4, s[14:15], v2, v48, s[14:15]
	v_add_co_u32_e64 v2, s[14:15], v3, v69
	v_addc_co_u32_e64 v3, s[14:15], 0, v4, s[14:15]
	global_load_dwordx4 v[2:5], v[2:3], off offset:192
	s_waitcnt vmcnt(0)
	ds_write_b128 v66, v[2:5]
	s_or_b64 exec, exec, s[16:17]
	s_and_saveexec_b64 s[16:17], s[10:11]
	s_cbranch_execz .LBB27_29
.LBB27_42:                              ;   in Loop: Header=BB27_19 Depth=1
	v_mov_b32_e32 v2, s21
	v_add_co_u32_e64 v3, s[14:15], s20, v49
	v_addc_co_u32_e64 v4, s[14:15], v2, v50, s[14:15]
	v_add_co_u32_e64 v2, s[14:15], v3, v70
	v_addc_co_u32_e64 v3, s[14:15], 0, v4, s[14:15]
	global_load_dwordx4 v[2:5], v[2:3], off offset:128
	s_waitcnt vmcnt(0)
	ds_write_b128 v64, v[2:5]
	s_or_b64 exec, exec, s[16:17]
	v_lshlrev_b32_e32 v84, 2, v67
	s_and_saveexec_b64 s[16:17], s[12:13]
	s_cbranch_execnz .LBB27_30
	s_branch .LBB27_31
.LBB27_43:                              ;   in Loop: Header=BB27_19 Depth=1
	v_mov_b32_e32 v86, s52
	v_add_co_u32_e64 v87, s[20:21], s51, v47
	v_addc_co_u32_e64 v88, s[20:21], v86, v48, s[20:21]
	v_add_co_u32_e64 v86, s[20:21], v87, v69
	v_addc_co_u32_e64 v87, s[20:21], 0, v88, s[20:21]
	global_load_dwordx4 v[86:89], v[86:87], off offset:192
	s_waitcnt vmcnt(0)
	ds_write_b128 v66, v[86:89]
	s_or_b64 exec, exec, s[26:27]
	s_and_saveexec_b64 s[26:27], s[10:11]
	s_cbranch_execz .LBB27_33
.LBB27_44:                              ;   in Loop: Header=BB27_19 Depth=1
	v_mov_b32_e32 v86, s52
	v_add_co_u32_e64 v87, s[20:21], s51, v49
	v_addc_co_u32_e64 v88, s[20:21], v86, v50, s[20:21]
	v_add_co_u32_e64 v86, s[20:21], v87, v70
	v_addc_co_u32_e64 v87, s[20:21], 0, v88, s[20:21]
	global_load_dwordx4 v[86:89], v[86:87], off offset:128
	s_waitcnt vmcnt(0)
	ds_write_b128 v64, v[86:89]
	s_or_b64 exec, exec, s[26:27]
	s_and_saveexec_b64 s[26:27], s[12:13]
	s_cbranch_execnz .LBB27_34
	s_branch .LBB27_35
	.section	.rodata,"a",@progbits
	.p2align	6, 0x0
	.amdhsa_kernel _ZL15flash_attn_tileILi112ELi112ELi2ELi4ELb0EEvPKcS1_S1_S1_S1_PKiPfP15HIP_vector_typeIfLj2EEffffjfiS5_IjLj3EEiiiiiiiiiiiliiliiiiil
		.amdhsa_group_segment_fixed_size 6464
		.amdhsa_private_segment_fixed_size 0
		.amdhsa_kernarg_size 464
		.amdhsa_user_sgpr_count 6
		.amdhsa_user_sgpr_private_segment_buffer 1
		.amdhsa_user_sgpr_dispatch_ptr 0
		.amdhsa_user_sgpr_queue_ptr 0
		.amdhsa_user_sgpr_kernarg_segment_ptr 1
		.amdhsa_user_sgpr_dispatch_id 0
		.amdhsa_user_sgpr_flat_scratch_init 0
		.amdhsa_user_sgpr_private_segment_size 0
		.amdhsa_uses_dynamic_stack 0
		.amdhsa_system_sgpr_private_segment_wavefront_offset 0
		.amdhsa_system_sgpr_workgroup_id_x 1
		.amdhsa_system_sgpr_workgroup_id_y 1
		.amdhsa_system_sgpr_workgroup_id_z 1
		.amdhsa_system_sgpr_workgroup_info 0
		.amdhsa_system_vgpr_workitem_id 1
		.amdhsa_next_free_vgpr 94
		.amdhsa_next_free_sgpr 53
		.amdhsa_reserve_vcc 1
		.amdhsa_reserve_flat_scratch 0
		.amdhsa_float_round_mode_32 0
		.amdhsa_float_round_mode_16_64 0
		.amdhsa_float_denorm_mode_32 3
		.amdhsa_float_denorm_mode_16_64 3
		.amdhsa_dx10_clamp 1
		.amdhsa_ieee_mode 1
		.amdhsa_fp16_overflow 0
		.amdhsa_exception_fp_ieee_invalid_op 0
		.amdhsa_exception_fp_denorm_src 0
		.amdhsa_exception_fp_ieee_div_zero 0
		.amdhsa_exception_fp_ieee_overflow 0
		.amdhsa_exception_fp_ieee_underflow 0
		.amdhsa_exception_fp_ieee_inexact 0
		.amdhsa_exception_int_div_zero 0
	.end_amdhsa_kernel
	.section	.text._ZL15flash_attn_tileILi112ELi112ELi2ELi4ELb0EEvPKcS1_S1_S1_S1_PKiPfP15HIP_vector_typeIfLj2EEffffjfiS5_IjLj3EEiiiiiiiiiiiliiliiiiil,"axG",@progbits,_ZL15flash_attn_tileILi112ELi112ELi2ELi4ELb0EEvPKcS1_S1_S1_S1_PKiPfP15HIP_vector_typeIfLj2EEffffjfiS5_IjLj3EEiiiiiiiiiiiliiliiiiil,comdat
.Lfunc_end27:
	.size	_ZL15flash_attn_tileILi112ELi112ELi2ELi4ELb0EEvPKcS1_S1_S1_S1_PKiPfP15HIP_vector_typeIfLj2EEffffjfiS5_IjLj3EEiiiiiiiiiiiliiliiiiil, .Lfunc_end27-_ZL15flash_attn_tileILi112ELi112ELi2ELi4ELb0EEvPKcS1_S1_S1_S1_PKiPfP15HIP_vector_typeIfLj2EEffffjfiS5_IjLj3EEiiiiiiiiiiiliiliiiiil
                                        ; -- End function
	.set _ZL15flash_attn_tileILi112ELi112ELi2ELi4ELb0EEvPKcS1_S1_S1_S1_PKiPfP15HIP_vector_typeIfLj2EEffffjfiS5_IjLj3EEiiiiiiiiiiiliiliiiiil.num_vgpr, 94
	.set _ZL15flash_attn_tileILi112ELi112ELi2ELi4ELb0EEvPKcS1_S1_S1_S1_PKiPfP15HIP_vector_typeIfLj2EEffffjfiS5_IjLj3EEiiiiiiiiiiiliiliiiiil.num_agpr, 0
	.set _ZL15flash_attn_tileILi112ELi112ELi2ELi4ELb0EEvPKcS1_S1_S1_S1_PKiPfP15HIP_vector_typeIfLj2EEffffjfiS5_IjLj3EEiiiiiiiiiiiliiliiiiil.numbered_sgpr, 53
	.set _ZL15flash_attn_tileILi112ELi112ELi2ELi4ELb0EEvPKcS1_S1_S1_S1_PKiPfP15HIP_vector_typeIfLj2EEffffjfiS5_IjLj3EEiiiiiiiiiiiliiliiiiil.num_named_barrier, 0
	.set _ZL15flash_attn_tileILi112ELi112ELi2ELi4ELb0EEvPKcS1_S1_S1_S1_PKiPfP15HIP_vector_typeIfLj2EEffffjfiS5_IjLj3EEiiiiiiiiiiiliiliiiiil.private_seg_size, 0
	.set _ZL15flash_attn_tileILi112ELi112ELi2ELi4ELb0EEvPKcS1_S1_S1_S1_PKiPfP15HIP_vector_typeIfLj2EEffffjfiS5_IjLj3EEiiiiiiiiiiiliiliiiiil.uses_vcc, 1
	.set _ZL15flash_attn_tileILi112ELi112ELi2ELi4ELb0EEvPKcS1_S1_S1_S1_PKiPfP15HIP_vector_typeIfLj2EEffffjfiS5_IjLj3EEiiiiiiiiiiiliiliiiiil.uses_flat_scratch, 0
	.set _ZL15flash_attn_tileILi112ELi112ELi2ELi4ELb0EEvPKcS1_S1_S1_S1_PKiPfP15HIP_vector_typeIfLj2EEffffjfiS5_IjLj3EEiiiiiiiiiiiliiliiiiil.has_dyn_sized_stack, 0
	.set _ZL15flash_attn_tileILi112ELi112ELi2ELi4ELb0EEvPKcS1_S1_S1_S1_PKiPfP15HIP_vector_typeIfLj2EEffffjfiS5_IjLj3EEiiiiiiiiiiiliiliiiiil.has_recursion, 0
	.set _ZL15flash_attn_tileILi112ELi112ELi2ELi4ELb0EEvPKcS1_S1_S1_S1_PKiPfP15HIP_vector_typeIfLj2EEffffjfiS5_IjLj3EEiiiiiiiiiiiliiliiiiil.has_indirect_call, 0
	.section	.AMDGPU.csdata,"",@progbits
; Kernel info:
; codeLenInByte = 5680
; TotalNumSgprs: 57
; NumVgprs: 94
; ScratchSize: 0
; MemoryBound: 0
; FloatMode: 240
; IeeeMode: 1
; LDSByteSize: 6464 bytes/workgroup (compile time only)
; SGPRBlocks: 7
; VGPRBlocks: 23
; NumSGPRsForWavesPerEU: 57
; NumVGPRsForWavesPerEU: 94
; Occupancy: 2
; WaveLimiterHint : 1
; COMPUTE_PGM_RSRC2:SCRATCH_EN: 0
; COMPUTE_PGM_RSRC2:USER_SGPR: 6
; COMPUTE_PGM_RSRC2:TRAP_HANDLER: 0
; COMPUTE_PGM_RSRC2:TGID_X_EN: 1
; COMPUTE_PGM_RSRC2:TGID_Y_EN: 1
; COMPUTE_PGM_RSRC2:TGID_Z_EN: 1
; COMPUTE_PGM_RSRC2:TIDIG_COMP_CNT: 1
	.section	.text._ZL33flash_attn_stream_k_fixup_uniformILi112ELi2ELi4EEvPfPK15HIP_vector_typeIfLj2EEiiiiiiS1_IjLj3EES5_S5_,"axG",@progbits,_ZL33flash_attn_stream_k_fixup_uniformILi112ELi2ELi4EEvPfPK15HIP_vector_typeIfLj2EEiiiiiiS1_IjLj3EES5_S5_,comdat
	.globl	_ZL33flash_attn_stream_k_fixup_uniformILi112ELi2ELi4EEvPfPK15HIP_vector_typeIfLj2EEiiiiiiS1_IjLj3EES5_S5_ ; -- Begin function _ZL33flash_attn_stream_k_fixup_uniformILi112ELi2ELi4EEvPfPK15HIP_vector_typeIfLj2EEiiiiiiS1_IjLj3EES5_S5_
	.p2align	8
	.type	_ZL33flash_attn_stream_k_fixup_uniformILi112ELi2ELi4EEvPfPK15HIP_vector_typeIfLj2EEiiiiiiS1_IjLj3EES5_S5_,@function
_ZL33flash_attn_stream_k_fixup_uniformILi112ELi2ELi4EEvPfPK15HIP_vector_typeIfLj2EEiiiiiiS1_IjLj3EES5_S5_: ; @_ZL33flash_attn_stream_k_fixup_uniformILi112ELi2ELi4EEvPfPK15HIP_vector_typeIfLj2EEiiiiiiS1_IjLj3EES5_S5_
; %bb.0:
	s_load_dwordx8 s[12:19], s[4:5], 0x1c
	s_load_dwordx2 s[10:11], s[4:5], 0x10
	s_load_dwordx4 s[0:3], s[4:5], 0x3c
	s_waitcnt lgkmcnt(0)
	s_mul_hi_u32 s9, s15, s6
	s_add_i32 s9, s6, s9
	s_lshr_b32 s9, s9, s16
	s_mul_i32 s15, s9, s17
	s_sub_i32 s16, s6, s15
	s_mul_hi_u32 s15, s16, s18
	s_add_i32 s15, s16, s15
	s_lshr_b32 s15, s15, s19
	s_mul_i32 s0, s15, s0
	s_sub_i32 s0, s16, s0
	;; [unrolled: 5-line block ×3, first 2 shown]
	s_lshl_b32 s0, s16, 1
	s_lshl_b32 s17, s1, 2
	s_add_i32 s0, s0, s7
	s_cmp_lt_i32 s0, s10
	s_cselect_b64 s[0:1], -1, 0
	s_add_i32 s17, s17, s8
	s_cmp_lt_i32 s17, s13
	s_cselect_b64 s[2:3], -1, 0
	s_and_b64 s[0:1], s[0:1], s[2:3]
	s_andn2_b64 vcc, exec, s[0:1]
	s_cbranch_vccnz .LBB28_6
; %bb.1:
	s_load_dwordx4 s[0:3], s[4:5], 0x0
	s_mul_i32 s4, s9, s10
	s_mul_i32 s15, s15, s13
	s_add_i32 s4, s4, s7
	s_mul_i32 s4, s4, s11
	s_add_i32 s9, s17, s15
	;; [unrolled: 2-line block ×3, first 2 shown]
	s_mulk_i32 s5, 0xe0
	s_mulk_i32 s4, 0x70
	s_add_i32 s4, s4, s5
	v_add_u32_e32 v1, s4, v0
	v_ashrrev_i32_e32 v2, 31, v1
	v_lshlrev_b64 v[1:2], 2, v[1:2]
	s_waitcnt lgkmcnt(0)
	v_mov_b32_e32 v3, s1
	v_add_co_u32_e32 v1, vcc, s0, v1
	v_addc_co_u32_e32 v2, vcc, v3, v2, vcc
	global_load_dword v8, v[1:2], off
	s_mul_i32 s9, s14, s6
	s_lshl_b32 s4, s7, 2
	s_add_i32 s11, s9, s14
	s_add_i32 s0, s4, s8
	s_lshl_b32 s1, s11, 3
	s_add_i32 s0, s0, s1
	s_add_i32 s0, s0, -8
	s_ashr_i32 s1, s0, 31
	s_lshl_b64 s[0:1], s[0:1], 3
	s_add_u32 s0, s2, s0
	s_addc_u32 s1, s3, s1
	s_load_dword s5, s[0:1], 0x4
	s_add_i32 s10, s11, -2
	s_cmp_lt_i32 s10, s9
	s_cbranch_scc1 .LBB28_4
; %bb.2:
	s_lshl_b32 s16, s12, 5
	s_ashr_i32 s17, s16, 31
	s_lshl_b64 s[16:17], s[16:17], 2
	s_add_u32 s10, s2, s16
	s_addc_u32 s13, s3, s17
	s_add_i32 s6, s6, 1
	s_load_dword s0, s[0:1], 0x0
	s_mul_i32 s1, s14, s6
	s_lshl_b32 s6, s1, 3
	s_add_i32 s6, s8, s6
	s_lshl_b32 s12, s12, 3
	s_add_i32 s6, s6, s12
	s_add_i32 s4, s6, s4
	s_mulk_i32 s7, 0x1c0
	s_mul_i32 s6, s8, 0x70
	s_mulk_i32 s1, 0x380
	s_add_i32 s6, s6, s7
	s_add_i32 s6, s6, s1
	v_add_u32_e32 v0, s6, v0
	s_add_i32 s11, s11, -1
	s_add_i32 s4, s4, -16
	v_add_u32_e32 v3, 0xfffff900, v0
	s_waitcnt lgkmcnt(0)
	v_mov_b32_e32 v7, s5
	v_mov_b32_e32 v6, s0
	;; [unrolled: 1-line block ×3, first 2 shown]
	s_mov_b32 s6, 0x3fb8aa3b
	s_mov_b32 s7, 0xc2ce8ed0
	s_mov_b32 s8, 0x42b17218
	v_mov_b32_e32 v5, 0x7f800000
	s_mov_b32 s12, 0xc1a00000
.LBB28_3:                               ; =>This Inner Loop Header: Depth=1
	v_ashrrev_i32_e32 v4, 31, v3
	v_lshlrev_b64 v[9:10], 2, v[3:4]
	s_ashr_i32 s5, s4, 31
	v_add_co_u32_e32 v9, vcc, s10, v9
	v_addc_co_u32_e32 v10, vcc, v0, v10, vcc
	global_load_dword v4, v[9:10], off
	s_lshl_b64 s[0:1], s[4:5], 3
	s_add_u32 s0, s2, s0
	s_addc_u32 s1, s3, s1
	s_load_dwordx2 s[14:15], s[0:1], 0x0
	s_waitcnt vmcnt(1)
	v_mov_b32_e32 v9, v8
	v_max_f32_e32 v8, v6, v6
	v_mov_b32_e32 v10, v7
	s_add_i32 s11, s11, -1
	s_waitcnt lgkmcnt(0)
	v_max_f32_e64 v7, s14, s14
	v_max_f32_e32 v7, v8, v7
	v_sub_f32_e32 v11, s14, v7
	v_sub_f32_e32 v8, v6, v7
	v_mul_f32_e32 v12, 0x3fb8aa3b, v11
	v_mov_b32_e32 v6, v7
	v_mul_f32_e32 v7, 0x3fb8aa3b, v8
	v_fma_f32 v15, v11, s6, -v12
	v_rndne_f32_e32 v16, v12
	v_fma_f32 v13, v8, s6, -v7
	v_rndne_f32_e32 v14, v7
	v_fmac_f32_e32 v15, 0x32a5705f, v11
	v_sub_f32_e32 v12, v12, v16
	v_fmac_f32_e32 v13, 0x32a5705f, v8
	v_sub_f32_e32 v7, v7, v14
	v_add_f32_e32 v12, v12, v15
	v_cvt_i32_f32_e32 v16, v16
	v_add_f32_e32 v7, v7, v13
	v_exp_f32_e32 v12, v12
	v_cvt_i32_f32_e32 v14, v14
	v_exp_f32_e32 v7, v7
	v_cmp_ngt_f32_e32 vcc, s7, v11
	v_ldexp_f32 v12, v12, v16
	v_cmp_ngt_f32_e64 s[0:1], s7, v8
	v_ldexp_f32 v7, v7, v14
	v_cndmask_b32_e32 v12, 0, v12, vcc
	v_cmp_nlt_f32_e32 vcc, s8, v11
	v_cndmask_b32_e64 v7, 0, v7, s[0:1]
	v_cmp_nlt_f32_e64 s[0:1], s8, v8
	v_cndmask_b32_e32 v12, v5, v12, vcc
	v_cmp_le_f32_e32 vcc, s12, v11
	v_cndmask_b32_e64 v7, v5, v7, s[0:1]
	v_cmp_le_f32_e64 s[0:1], s12, v8
	v_cndmask_b32_e32 v8, 0, v12, vcc
	s_add_i32 s4, s4, -8
	v_cndmask_b32_e64 v11, 0, v7, s[0:1]
	v_mul_f32_e32 v7, s15, v8
	v_add_u32_e32 v3, 0xfffffc80, v3
	s_cmp_le_i32 s11, s9
	v_fmac_f32_e32 v7, v10, v11
	s_waitcnt vmcnt(0)
	v_mul_f32_e32 v8, v4, v8
	v_fmac_f32_e32 v8, v9, v11
	s_cbranch_scc0 .LBB28_3
	s_branch .LBB28_5
.LBB28_4:
	s_waitcnt lgkmcnt(0)
	v_mov_b32_e32 v7, s5
.LBB28_5:
	s_waitcnt vmcnt(0)
	v_div_scale_f32 v0, s[0:1], v7, v7, v8
	v_div_scale_f32 v3, vcc, v8, v7, v8
	v_rcp_f32_e32 v4, v0
	v_fma_f32 v5, -v0, v4, 1.0
	v_fmac_f32_e32 v4, v5, v4
	v_mul_f32_e32 v5, v3, v4
	v_fma_f32 v6, -v0, v5, v3
	v_fmac_f32_e32 v5, v6, v4
	v_fma_f32 v0, -v0, v5, v3
	v_div_fmas_f32 v0, v0, v4, v5
	v_div_fixup_f32 v0, v0, v7, v8
	global_store_dword v[1:2], v0, off
.LBB28_6:
	s_endpgm
	.section	.rodata,"a",@progbits
	.p2align	6, 0x0
	.amdhsa_kernel _ZL33flash_attn_stream_k_fixup_uniformILi112ELi2ELi4EEvPfPK15HIP_vector_typeIfLj2EEiiiiiiS1_IjLj3EES5_S5_
		.amdhsa_group_segment_fixed_size 0
		.amdhsa_private_segment_fixed_size 0
		.amdhsa_kernarg_size 76
		.amdhsa_user_sgpr_count 6
		.amdhsa_user_sgpr_private_segment_buffer 1
		.amdhsa_user_sgpr_dispatch_ptr 0
		.amdhsa_user_sgpr_queue_ptr 0
		.amdhsa_user_sgpr_kernarg_segment_ptr 1
		.amdhsa_user_sgpr_dispatch_id 0
		.amdhsa_user_sgpr_flat_scratch_init 0
		.amdhsa_user_sgpr_private_segment_size 0
		.amdhsa_uses_dynamic_stack 0
		.amdhsa_system_sgpr_private_segment_wavefront_offset 0
		.amdhsa_system_sgpr_workgroup_id_x 1
		.amdhsa_system_sgpr_workgroup_id_y 1
		.amdhsa_system_sgpr_workgroup_id_z 1
		.amdhsa_system_sgpr_workgroup_info 0
		.amdhsa_system_vgpr_workitem_id 0
		.amdhsa_next_free_vgpr 17
		.amdhsa_next_free_sgpr 20
		.amdhsa_reserve_vcc 1
		.amdhsa_reserve_flat_scratch 0
		.amdhsa_float_round_mode_32 0
		.amdhsa_float_round_mode_16_64 0
		.amdhsa_float_denorm_mode_32 3
		.amdhsa_float_denorm_mode_16_64 3
		.amdhsa_dx10_clamp 1
		.amdhsa_ieee_mode 1
		.amdhsa_fp16_overflow 0
		.amdhsa_exception_fp_ieee_invalid_op 0
		.amdhsa_exception_fp_denorm_src 0
		.amdhsa_exception_fp_ieee_div_zero 0
		.amdhsa_exception_fp_ieee_overflow 0
		.amdhsa_exception_fp_ieee_underflow 0
		.amdhsa_exception_fp_ieee_inexact 0
		.amdhsa_exception_int_div_zero 0
	.end_amdhsa_kernel
	.section	.text._ZL33flash_attn_stream_k_fixup_uniformILi112ELi2ELi4EEvPfPK15HIP_vector_typeIfLj2EEiiiiiiS1_IjLj3EES5_S5_,"axG",@progbits,_ZL33flash_attn_stream_k_fixup_uniformILi112ELi2ELi4EEvPfPK15HIP_vector_typeIfLj2EEiiiiiiS1_IjLj3EES5_S5_,comdat
.Lfunc_end28:
	.size	_ZL33flash_attn_stream_k_fixup_uniformILi112ELi2ELi4EEvPfPK15HIP_vector_typeIfLj2EEiiiiiiS1_IjLj3EES5_S5_, .Lfunc_end28-_ZL33flash_attn_stream_k_fixup_uniformILi112ELi2ELi4EEvPfPK15HIP_vector_typeIfLj2EEiiiiiiS1_IjLj3EES5_S5_
                                        ; -- End function
	.set _ZL33flash_attn_stream_k_fixup_uniformILi112ELi2ELi4EEvPfPK15HIP_vector_typeIfLj2EEiiiiiiS1_IjLj3EES5_S5_.num_vgpr, 17
	.set _ZL33flash_attn_stream_k_fixup_uniformILi112ELi2ELi4EEvPfPK15HIP_vector_typeIfLj2EEiiiiiiS1_IjLj3EES5_S5_.num_agpr, 0
	.set _ZL33flash_attn_stream_k_fixup_uniformILi112ELi2ELi4EEvPfPK15HIP_vector_typeIfLj2EEiiiiiiS1_IjLj3EES5_S5_.numbered_sgpr, 20
	.set _ZL33flash_attn_stream_k_fixup_uniformILi112ELi2ELi4EEvPfPK15HIP_vector_typeIfLj2EEiiiiiiS1_IjLj3EES5_S5_.num_named_barrier, 0
	.set _ZL33flash_attn_stream_k_fixup_uniformILi112ELi2ELi4EEvPfPK15HIP_vector_typeIfLj2EEiiiiiiS1_IjLj3EES5_S5_.private_seg_size, 0
	.set _ZL33flash_attn_stream_k_fixup_uniformILi112ELi2ELi4EEvPfPK15HIP_vector_typeIfLj2EEiiiiiiS1_IjLj3EES5_S5_.uses_vcc, 1
	.set _ZL33flash_attn_stream_k_fixup_uniformILi112ELi2ELi4EEvPfPK15HIP_vector_typeIfLj2EEiiiiiiS1_IjLj3EES5_S5_.uses_flat_scratch, 0
	.set _ZL33flash_attn_stream_k_fixup_uniformILi112ELi2ELi4EEvPfPK15HIP_vector_typeIfLj2EEiiiiiiS1_IjLj3EES5_S5_.has_dyn_sized_stack, 0
	.set _ZL33flash_attn_stream_k_fixup_uniformILi112ELi2ELi4EEvPfPK15HIP_vector_typeIfLj2EEiiiiiiS1_IjLj3EES5_S5_.has_recursion, 0
	.set _ZL33flash_attn_stream_k_fixup_uniformILi112ELi2ELi4EEvPfPK15HIP_vector_typeIfLj2EEiiiiiiS1_IjLj3EES5_S5_.has_indirect_call, 0
	.section	.AMDGPU.csdata,"",@progbits
; Kernel info:
; codeLenInByte = 856
; TotalNumSgprs: 24
; NumVgprs: 17
; ScratchSize: 0
; MemoryBound: 0
; FloatMode: 240
; IeeeMode: 1
; LDSByteSize: 0 bytes/workgroup (compile time only)
; SGPRBlocks: 2
; VGPRBlocks: 4
; NumSGPRsForWavesPerEU: 24
; NumVGPRsForWavesPerEU: 17
; Occupancy: 10
; WaveLimiterHint : 0
; COMPUTE_PGM_RSRC2:SCRATCH_EN: 0
; COMPUTE_PGM_RSRC2:USER_SGPR: 6
; COMPUTE_PGM_RSRC2:TRAP_HANDLER: 0
; COMPUTE_PGM_RSRC2:TGID_X_EN: 1
; COMPUTE_PGM_RSRC2:TGID_Y_EN: 1
; COMPUTE_PGM_RSRC2:TGID_Z_EN: 1
; COMPUTE_PGM_RSRC2:TIDIG_COMP_CNT: 0
	.section	.text._ZL33flash_attn_stream_k_fixup_generalILi112ELi2ELi4EEvPfPK15HIP_vector_typeIfLj2EEiiiiS1_IjLj3EES5_S5_S5_,"axG",@progbits,_ZL33flash_attn_stream_k_fixup_generalILi112ELi2ELi4EEvPfPK15HIP_vector_typeIfLj2EEiiiiS1_IjLj3EES5_S5_S5_,comdat
	.globl	_ZL33flash_attn_stream_k_fixup_generalILi112ELi2ELi4EEvPfPK15HIP_vector_typeIfLj2EEiiiiS1_IjLj3EES5_S5_S5_ ; -- Begin function _ZL33flash_attn_stream_k_fixup_generalILi112ELi2ELi4EEvPfPK15HIP_vector_typeIfLj2EEiiiiS1_IjLj3EES5_S5_S5_
	.p2align	8
	.type	_ZL33flash_attn_stream_k_fixup_generalILi112ELi2ELi4EEvPfPK15HIP_vector_typeIfLj2EEiiiiS1_IjLj3EES5_S5_S5_,@function
_ZL33flash_attn_stream_k_fixup_generalILi112ELi2ELi4EEvPfPK15HIP_vector_typeIfLj2EEiiiiS1_IjLj3EES5_S5_S5_: ; @_ZL33flash_attn_stream_k_fixup_generalILi112ELi2ELi4EEvPfPK15HIP_vector_typeIfLj2EEiiiiS1_IjLj3EES5_S5_S5_
; %bb.0:
	s_load_dwordx4 s[0:3], s[4:5], 0x10
	s_load_dword s22, s[4:5], 0x50
	s_mov_b32 s12, 0
	s_waitcnt lgkmcnt(0)
	s_mul_hi_i32 s13, s3, s6
	s_cmp_lg_u64 s[12:13], 0
	s_mul_i32 s9, s3, s6
	s_cbranch_scc0 .LBB29_20
; %bb.1:
	s_add_u32 s10, s22, 0
	s_addc_u32 s11, 0, 0
	s_xor_b64 s[10:11], s[10:11], 0
	v_cvt_f32_u32_e32 v1, s10
	v_cvt_f32_u32_e32 v2, s11
	s_sub_u32 s12, 0, s10
	s_subb_u32 s18, 0, s11
	v_madmk_f32 v1, v2, 0x4f800000, v1
	v_rcp_f32_e32 v1, v1
	v_mul_f32_e32 v1, 0x5f7ffffc, v1
	v_mul_f32_e32 v2, 0x2f800000, v1
	v_trunc_f32_e32 v2, v2
	v_madmk_f32 v1, v2, 0xcf800000, v1
	v_cvt_u32_f32_e32 v2, v2
	v_cvt_u32_f32_e32 v1, v1
	v_readfirstlane_b32 s19, v2
	v_readfirstlane_b32 s14, v1
	s_mul_i32 s15, s12, s19
	s_mul_hi_u32 s21, s12, s14
	s_mul_i32 s20, s18, s14
	s_add_i32 s15, s21, s15
	s_add_i32 s15, s15, s20
	s_mul_i32 s23, s12, s14
	s_mul_i32 s21, s14, s15
	s_mul_hi_u32 s24, s14, s23
	s_mul_hi_u32 s20, s14, s15
	s_add_u32 s21, s24, s21
	s_addc_u32 s20, 0, s20
	s_mul_hi_u32 s25, s19, s23
	s_mul_i32 s23, s19, s23
	s_add_u32 s21, s21, s23
	s_mul_hi_u32 s24, s19, s15
	s_addc_u32 s20, s20, s25
	s_addc_u32 s21, s24, 0
	s_mul_i32 s15, s19, s15
	s_add_u32 s15, s20, s15
	s_addc_u32 s20, 0, s21
	s_add_u32 s21, s14, s15
	s_cselect_b64 s[14:15], -1, 0
	s_cmp_lg_u64 s[14:15], 0
	s_addc_u32 s19, s19, s20
	s_mul_i32 s14, s12, s19
	s_mul_hi_u32 s15, s12, s21
	s_add_i32 s14, s15, s14
	s_mul_i32 s18, s18, s21
	s_add_i32 s14, s14, s18
	s_mul_i32 s12, s12, s21
	s_mul_hi_u32 s18, s19, s12
	s_mul_i32 s20, s19, s12
	s_mul_i32 s24, s21, s14
	s_mul_hi_u32 s12, s21, s12
	s_mul_hi_u32 s23, s21, s14
	s_add_u32 s12, s12, s24
	s_addc_u32 s23, 0, s23
	s_add_u32 s12, s12, s20
	s_mul_hi_u32 s15, s19, s14
	s_addc_u32 s12, s23, s18
	s_addc_u32 s15, s15, 0
	s_mul_i32 s14, s19, s14
	s_add_u32 s12, s12, s14
	s_addc_u32 s18, 0, s15
	s_add_u32 s20, s21, s12
	s_cselect_b64 s[14:15], -1, 0
	s_cmp_lg_u64 s[14:15], 0
	s_addc_u32 s18, s19, s18
	s_ashr_i32 s14, s13, 31
	s_add_u32 s12, s9, s14
	s_mov_b32 s15, s14
	s_addc_u32 s13, s13, s14
	s_xor_b64 s[12:13], s[12:13], s[14:15]
	s_mul_i32 s21, s12, s18
	s_mul_hi_u32 s23, s12, s20
	s_mul_hi_u32 s19, s12, s18
	s_add_u32 s21, s23, s21
	s_addc_u32 s19, 0, s19
	s_mul_hi_u32 s24, s13, s20
	s_mul_i32 s20, s13, s20
	s_add_u32 s20, s21, s20
	s_mul_hi_u32 s23, s13, s18
	s_addc_u32 s19, s19, s24
	s_addc_u32 s20, s23, 0
	s_mul_i32 s18, s13, s18
	s_add_u32 s23, s19, s18
	s_addc_u32 s24, 0, s20
	s_mul_i32 s18, s10, s24
	s_mul_hi_u32 s19, s10, s23
	s_add_i32 s18, s19, s18
	s_mul_i32 s19, s11, s23
	s_add_i32 s25, s18, s19
	s_sub_i32 s20, s13, s25
	s_mul_i32 s18, s10, s23
	s_sub_u32 s12, s12, s18
	s_cselect_b64 s[18:19], -1, 0
	s_cmp_lg_u64 s[18:19], 0
	s_subb_u32 s26, s20, s11
	s_sub_u32 s27, s12, s10
	s_cselect_b64 s[20:21], -1, 0
	s_cmp_lg_u64 s[20:21], 0
	s_subb_u32 s20, s26, 0
	s_cmp_ge_u32 s20, s11
	s_cselect_b32 s21, -1, 0
	s_cmp_ge_u32 s27, s10
	s_cselect_b32 s26, -1, 0
	s_cmp_eq_u32 s20, s11
	s_cselect_b32 s20, s26, s21
	s_add_u32 s21, s23, 1
	s_addc_u32 s26, s24, 0
	s_add_u32 s27, s23, 2
	s_addc_u32 s28, s24, 0
	s_cmp_lg_u32 s20, 0
	s_cselect_b32 s20, s27, s21
	s_cselect_b32 s21, s28, s26
	s_cmp_lg_u64 s[18:19], 0
	s_subb_u32 s13, s13, s25
	s_cmp_ge_u32 s13, s11
	s_cselect_b32 s18, -1, 0
	s_cmp_ge_u32 s12, s10
	s_cselect_b32 s10, -1, 0
	s_cmp_eq_u32 s13, s11
	s_cselect_b32 s10, s10, s18
	s_cmp_lg_u32 s10, 0
	s_cselect_b32 s11, s21, s24
	s_cselect_b32 s10, s20, s23
	s_xor_b64 s[12:13], s[14:15], 0
	s_xor_b64 s[10:11], s[10:11], s[12:13]
	s_sub_u32 s10, s10, s12
	s_load_dwordx4 s[12:15], s[4:5], 0x44
	s_cbranch_execnz .LBB29_3
.LBB29_2:
	v_cvt_f32_u32_e32 v1, s22
	s_sub_i32 s10, 0, s22
	v_rcp_iflag_f32_e32 v1, v1
	v_mul_f32_e32 v1, 0x4f7ffffe, v1
	v_cvt_u32_f32_e32 v1, v1
	v_readfirstlane_b32 s11, v1
	s_mul_i32 s10, s10, s11
	s_mul_hi_u32 s10, s11, s10
	s_add_i32 s11, s11, s10
	s_mul_hi_u32 s10, s9, s11
	s_waitcnt lgkmcnt(0)
	s_mul_i32 s15, s10, s22
	s_sub_i32 s9, s9, s15
	s_add_i32 s11, s10, 1
	s_sub_i32 s15, s9, s22
	s_cmp_ge_u32 s9, s22
	s_cselect_b32 s10, s11, s10
	s_cselect_b32 s9, s15, s9
	s_add_i32 s11, s10, 1
	s_cmp_ge_u32 s9, s22
	s_cselect_b32 s10, s11, s10
.LBB29_3:
	s_add_i32 s9, s6, 1
	s_mul_hi_i32 s21, s3, s9
	s_mov_b32 s20, 0
	s_cmp_lg_u64 s[20:21], 0
	s_mul_i32 s9, s3, s9
	s_cbranch_scc0 .LBB29_21
; %bb.4:
	s_add_u32 s16, s22, 0
	s_addc_u32 s17, 0, 0
	s_xor_b64 s[18:19], s[16:17], 0
	v_cvt_f32_u32_e32 v1, s18
	v_cvt_f32_u32_e32 v2, s19
	s_sub_u32 s11, 0, s18
	s_waitcnt lgkmcnt(0)
	s_subb_u32 s15, 0, s19
	v_madmk_f32 v1, v2, 0x4f800000, v1
	v_rcp_f32_e32 v1, v1
	v_mul_f32_e32 v1, 0x5f7ffffc, v1
	v_mul_f32_e32 v2, 0x2f800000, v1
	v_trunc_f32_e32 v2, v2
	v_madmk_f32 v1, v2, 0xcf800000, v1
	v_cvt_u32_f32_e32 v2, v2
	v_cvt_u32_f32_e32 v1, v1
	v_readfirstlane_b32 s20, v2
	v_readfirstlane_b32 s23, v1
	s_mul_i32 s24, s11, s20
	s_mul_hi_u32 s26, s11, s23
	s_mul_i32 s25, s15, s23
	s_add_i32 s24, s26, s24
	s_add_i32 s24, s24, s25
	s_mul_i32 s27, s11, s23
	s_mul_i32 s26, s23, s24
	s_mul_hi_u32 s28, s23, s27
	s_mul_hi_u32 s25, s23, s24
	s_add_u32 s26, s28, s26
	s_addc_u32 s25, 0, s25
	s_mul_hi_u32 s29, s20, s27
	s_mul_i32 s27, s20, s27
	s_add_u32 s26, s26, s27
	s_mul_hi_u32 s28, s20, s24
	s_addc_u32 s25, s25, s29
	s_addc_u32 s26, s28, 0
	s_mul_i32 s24, s20, s24
	s_add_u32 s24, s25, s24
	s_addc_u32 s26, 0, s26
	s_add_u32 s23, s23, s24
	s_cselect_b64 s[24:25], -1, 0
	s_cmp_lg_u64 s[24:25], 0
	s_addc_u32 s20, s20, s26
	s_mul_i32 s24, s11, s20
	s_mul_hi_u32 s25, s11, s23
	s_add_i32 s24, s25, s24
	s_mul_i32 s15, s15, s23
	s_add_i32 s24, s24, s15
	s_mul_i32 s11, s11, s23
	s_mul_hi_u32 s25, s20, s11
	s_mul_i32 s26, s20, s11
	s_mul_i32 s28, s23, s24
	s_mul_hi_u32 s11, s23, s11
	s_mul_hi_u32 s27, s23, s24
	s_add_u32 s11, s11, s28
	s_addc_u32 s27, 0, s27
	s_add_u32 s11, s11, s26
	s_mul_hi_u32 s15, s20, s24
	s_addc_u32 s11, s27, s25
	s_addc_u32 s15, s15, 0
	s_mul_i32 s24, s20, s24
	s_add_u32 s11, s11, s24
	s_addc_u32 s15, 0, s15
	s_add_u32 s11, s23, s11
	s_cselect_b64 s[24:25], -1, 0
	s_cmp_lg_u64 s[24:25], 0
	s_addc_u32 s15, s20, s15
	s_ashr_i32 s24, s21, 31
	s_add_u32 s20, s9, s24
	s_mov_b32 s25, s24
	s_addc_u32 s21, s21, s24
	s_xor_b64 s[20:21], s[20:21], s[24:25]
	s_mul_i32 s26, s20, s15
	s_mul_hi_u32 s27, s20, s11
	s_mul_hi_u32 s23, s20, s15
	s_add_u32 s26, s27, s26
	s_addc_u32 s23, 0, s23
	s_mul_hi_u32 s28, s21, s11
	s_mul_i32 s11, s21, s11
	s_add_u32 s11, s26, s11
	s_mul_hi_u32 s27, s21, s15
	s_addc_u32 s11, s23, s28
	s_addc_u32 s23, s27, 0
	s_mul_i32 s15, s21, s15
	s_add_u32 s11, s11, s15
	s_addc_u32 s15, 0, s23
	s_mul_i32 s23, s18, s15
	s_mul_hi_u32 s26, s18, s11
	s_add_i32 s23, s26, s23
	s_mul_i32 s26, s19, s11
	s_add_i32 s23, s23, s26
	s_sub_i32 s28, s21, s23
	s_mul_i32 s26, s18, s11
	s_sub_u32 s20, s20, s26
	s_cselect_b64 s[26:27], -1, 0
	s_cmp_lg_u64 s[26:27], 0
	s_subb_u32 s30, s28, s19
	s_sub_u32 s31, s20, s18
	s_cselect_b64 s[28:29], -1, 0
	s_cmp_lg_u64 s[28:29], 0
	s_subb_u32 s28, s30, 0
	s_cmp_ge_u32 s28, s19
	s_cselect_b32 s29, -1, 0
	s_cmp_ge_u32 s31, s18
	s_cselect_b32 s30, -1, 0
	s_cmp_eq_u32 s28, s19
	s_cselect_b32 s28, s30, s29
	s_add_u32 s29, s11, 1
	s_addc_u32 s30, s15, 0
	s_add_u32 s31, s11, 2
	s_addc_u32 s33, s15, 0
	s_cmp_lg_u32 s28, 0
	s_cselect_b32 s28, s31, s29
	s_cselect_b32 s29, s33, s30
	s_cmp_lg_u64 s[26:27], 0
	s_subb_u32 s21, s21, s23
	s_cmp_ge_u32 s21, s19
	s_cselect_b32 s23, -1, 0
	s_cmp_ge_u32 s20, s18
	s_cselect_b32 s18, -1, 0
	s_cmp_eq_u32 s21, s19
	s_cselect_b32 s18, s18, s23
	s_cmp_lg_u32 s18, 0
	s_cselect_b32 s19, s29, s15
	s_cselect_b32 s18, s28, s11
	s_xor_b64 s[20:21], s[24:25], 0
	s_xor_b64 s[18:19], s[18:19], s[20:21]
	s_sub_u32 s18, s18, s20
	s_cbranch_execnz .LBB29_6
.LBB29_5:
	v_cvt_f32_u32_e32 v1, s22
	s_sub_i32 s11, 0, s22
	v_rcp_iflag_f32_e32 v1, v1
	v_mul_f32_e32 v1, 0x4f7ffffe, v1
	v_cvt_u32_f32_e32 v1, v1
	s_waitcnt lgkmcnt(0)
	v_readfirstlane_b32 s15, v1
	s_mul_i32 s11, s11, s15
	s_mul_hi_u32 s11, s15, s11
	s_add_i32 s15, s15, s11
	s_mul_hi_u32 s11, s9, s15
	s_mul_i32 s16, s11, s22
	s_sub_i32 s9, s9, s16
	s_add_i32 s15, s11, 1
	s_sub_i32 s16, s9, s22
	s_cmp_ge_u32 s9, s22
	s_cselect_b32 s11, s15, s11
	s_cselect_b32 s9, s16, s9
	s_add_i32 s15, s11, 1
	s_cmp_ge_u32 s9, s22
	s_cselect_b32 s18, s15, s11
.LBB29_6:
	s_cmp_eq_u32 s10, s18
	s_waitcnt lgkmcnt(0)
	s_mul_hi_u32 s9, s10, s12
	s_cselect_b64 s[16:17], -1, 0
	s_add_i32 s9, s9, s10
	s_lshr_b32 s11, s9, s13
	s_mul_i32 s9, s11, s14
	s_cmp_eq_u32 s9, s10
	s_mul_hi_u32 s9, s18, s12
	s_cselect_b64 s[20:21], -1, 0
	s_add_i32 s9, s9, s18
	s_lshr_b32 s9, s9, s13
	s_cmp_eq_u32 s11, s9
	s_mul_i32 s9, s9, s14
	s_cselect_b64 s[24:25], -1, 0
	s_cmp_lg_u32 s9, s18
	s_cselect_b64 s[18:19], -1, 0
	s_and_b64 s[18:19], s[24:25], s[18:19]
	s_or_b64 s[16:17], s[16:17], s[20:21]
	s_or_b64 s[16:17], s[16:17], s[18:19]
	s_and_b64 vcc, exec, s[16:17]
	s_cbranch_vccnz .LBB29_23
; %bb.7:
	s_load_dwordx8 s[24:31], s[4:5], 0x20
	s_load_dword s15, s[4:5], 0x40
	s_waitcnt lgkmcnt(0)
	s_mul_hi_u32 s9, s10, s24
	s_add_i32 s9, s9, s10
	s_lshr_b32 s9, s9, s25
	s_mul_i32 s16, s9, s26
	s_sub_i32 s16, s10, s16
	s_mul_hi_u32 s17, s16, s27
	s_add_i32 s17, s16, s17
	s_lshr_b32 s23, s17, s28
	s_mul_i32 s17, s23, s29
	s_sub_i32 s16, s16, s17
	;; [unrolled: 5-line block ×3, first 2 shown]
	s_mul_hi_u32 s16, s15, s12
	s_add_i32 s15, s15, s16
	s_lshr_b32 s24, s15, s13
	s_lshl_b32 s15, s24, 1
	s_lshl_b32 s25, s17, 2
	s_add_i32 s15, s15, s7
	s_cmp_lt_i32 s15, s0
	s_cselect_b64 s[16:17], -1, 0
	s_add_i32 s25, s25, s8
	s_cmp_lt_i32 s25, s2
	s_cselect_b64 s[18:19], -1, 0
	s_and_b64 s[16:17], s[16:17], s[18:19]
	s_andn2_b64 vcc, exec, s[16:17]
	s_cbranch_vccnz .LBB29_23
; %bb.8:
	s_load_dwordx4 s[16:19], s[4:5], 0x0
	s_mov_b32 s4, 0
	s_lshl_b32 s15, s7, 2
	s_lshl_b32 s20, s22, 5
	s_mov_b32 s21, s4
	s_add_i32 s15, s15, s8
	s_lshl_b64 s[20:21], s[20:21], 2
	s_waitcnt lgkmcnt(0)
	s_add_u32 s20, s18, s20
	s_mul_i32 s0, s9, s0
	s_addc_u32 s21, s19, s21
	s_mul_i32 s23, s23, s2
	s_add_i32 s0, s0, s7
	s_mul_i32 s2, s1, s24
	s_mul_i32 s0, s0, s1
	s_add_i32 s1, s25, s23
	s_add_i32 s0, s1, s0
	s_mulk_i32 s2, 0xe0
	s_mulk_i32 s0, 0x70
	s_add_i32 s2, s2, s0
	v_add_u32_e32 v1, s2, v0
	v_ashrrev_i32_e32 v2, 31, v1
	v_lshlrev_b64 v[1:2], 2, v[1:2]
	v_mov_b32_e32 v3, s17
	v_add_co_u32_e32 v1, vcc, s16, v1
	v_addc_co_u32_e32 v2, vcc, v3, v2, vcc
	global_load_dword v3, v[1:2], off
	v_cvt_f32_u32_e32 v4, s22
	s_lshl_b32 s0, s6, 3
	s_add_i32 s0, s15, s0
	s_ashr_i32 s1, s0, 31
	s_lshl_b64 s[0:1], s[0:1], 3
	v_rcp_iflag_f32_e32 v4, v4
	s_add_u32 s0, s18, s0
	s_addc_u32 s1, s19, s1
	s_load_dwordx2 s[0:1], s[0:1], 0x0
	v_mul_f32_e32 v4, 0x4f7ffffe, v4
	v_cvt_u32_f32_e32 v4, v4
	s_mul_i32 s2, s15, 0x70
	s_add_i32 s24, s6, -1
	v_add_u32_e32 v0, s2, v0
	s_waitcnt lgkmcnt(0)
	v_mov_b32_e32 v6, s1
	v_mov_b32_e32 v7, s0
	s_mov_b32 s2, 0x3fb8aa3b
	s_mov_b32 s16, 0xc2ce8ed0
	;; [unrolled: 1-line block ×4, first 2 shown]
	v_mov_b32_e32 v5, 0x7f800000
	s_mul_hi_i32 s5, s24, s3
	s_cmp_lg_u64 s[4:5], 0
	s_mul_i32 s8, s24, s3
	s_cbranch_scc0 .LBB29_19
.LBB29_9:
	s_add_u32 s0, s22, 0
	s_addc_u32 s1, 0, 0
	s_xor_b64 s[0:1], s[0:1], 0
	v_cvt_f32_u32_e32 v8, s0
	v_cvt_f32_u32_e32 v9, s1
	s_sub_u32 s9, 0, s0
	s_subb_u32 s25, 0, s1
	v_mac_f32_e32 v8, 0x4f800000, v9
	v_rcp_f32_e32 v8, v8
	v_mul_f32_e32 v8, 0x5f7ffffc, v8
	v_mul_f32_e32 v9, 0x2f800000, v8
	v_trunc_f32_e32 v9, v9
	v_mac_f32_e32 v8, 0xcf800000, v9
	v_cvt_u32_f32_e32 v9, v9
	v_cvt_u32_f32_e32 v8, v8
	v_readfirstlane_b32 s26, v9
	v_readfirstlane_b32 s6, v8
	s_mul_i32 s7, s9, s26
	s_mul_hi_u32 s28, s9, s6
	s_mul_i32 s27, s25, s6
	s_add_i32 s7, s28, s7
	s_mul_i32 s29, s9, s6
	s_add_i32 s7, s7, s27
	s_mul_i32 s28, s6, s7
	s_mul_hi_u32 s30, s6, s29
	s_mul_hi_u32 s27, s6, s7
	s_add_u32 s28, s30, s28
	s_addc_u32 s27, 0, s27
	s_mul_hi_u32 s31, s26, s29
	s_mul_i32 s29, s26, s29
	s_add_u32 s28, s28, s29
	s_mul_hi_u32 s30, s26, s7
	s_addc_u32 s27, s27, s31
	s_addc_u32 s28, s30, 0
	s_mul_i32 s7, s26, s7
	s_add_u32 s7, s27, s7
	s_addc_u32 s27, 0, s28
	s_add_u32 s28, s6, s7
	s_cselect_b64 s[6:7], -1, 0
	s_cmp_lg_u64 s[6:7], 0
	s_addc_u32 s26, s26, s27
	s_mul_i32 s6, s9, s26
	s_mul_hi_u32 s7, s9, s28
	s_add_i32 s6, s7, s6
	s_mul_i32 s25, s25, s28
	s_add_i32 s6, s6, s25
	s_mul_i32 s9, s9, s28
	s_mul_hi_u32 s25, s26, s9
	s_mul_i32 s27, s26, s9
	s_mul_i32 s30, s28, s6
	s_mul_hi_u32 s9, s28, s9
	s_mul_hi_u32 s29, s28, s6
	s_add_u32 s9, s9, s30
	s_addc_u32 s29, 0, s29
	s_add_u32 s9, s9, s27
	s_mul_hi_u32 s7, s26, s6
	s_addc_u32 s9, s29, s25
	s_addc_u32 s7, s7, 0
	s_mul_i32 s6, s26, s6
	s_add_u32 s6, s9, s6
	s_addc_u32 s9, 0, s7
	s_add_u32 s25, s28, s6
	s_cselect_b64 s[6:7], -1, 0
	s_cmp_lg_u64 s[6:7], 0
	s_addc_u32 s9, s26, s9
	s_ashr_i32 s6, s5, 31
	s_add_u32 s26, s8, s6
	s_mov_b32 s7, s6
	s_addc_u32 s27, s5, s6
	s_xor_b64 s[26:27], s[26:27], s[6:7]
	s_mul_i32 s28, s26, s9
	s_mul_hi_u32 s29, s26, s25
	s_mul_hi_u32 s5, s26, s9
	s_add_u32 s28, s29, s28
	s_addc_u32 s5, 0, s5
	s_mul_hi_u32 s30, s27, s25
	s_mul_i32 s25, s27, s25
	s_add_u32 s25, s28, s25
	s_mul_hi_u32 s29, s27, s9
	s_addc_u32 s5, s5, s30
	s_addc_u32 s25, s29, 0
	s_mul_i32 s9, s27, s9
	s_add_u32 s5, s5, s9
	s_addc_u32 s9, 0, s25
	s_mul_i32 s25, s0, s9
	s_mul_hi_u32 s28, s0, s5
	s_add_i32 s25, s28, s25
	s_mul_i32 s28, s1, s5
	s_add_i32 s25, s25, s28
	s_sub_i32 s30, s27, s25
	s_mul_i32 s28, s0, s5
	s_sub_u32 s26, s26, s28
	s_cselect_b64 s[28:29], -1, 0
	s_cmp_lg_u64 s[28:29], 0
	s_subb_u32 s33, s30, s1
	s_sub_u32 s34, s26, s0
	s_cselect_b64 s[30:31], -1, 0
	s_cmp_lg_u64 s[30:31], 0
	s_subb_u32 s30, s33, 0
	s_cmp_ge_u32 s30, s1
	s_cselect_b32 s31, -1, 0
	s_cmp_ge_u32 s34, s0
	s_cselect_b32 s33, -1, 0
	s_cmp_eq_u32 s30, s1
	s_cselect_b32 s30, s33, s31
	s_add_u32 s31, s5, 1
	s_addc_u32 s33, s9, 0
	s_add_u32 s34, s5, 2
	s_addc_u32 s35, s9, 0
	s_cmp_lg_u32 s30, 0
	s_cselect_b32 s30, s34, s31
	s_cselect_b32 s31, s35, s33
	s_cmp_lg_u64 s[28:29], 0
	s_subb_u32 s25, s27, s25
	s_cmp_ge_u32 s25, s1
	s_cselect_b32 s27, -1, 0
	s_cmp_ge_u32 s26, s0
	s_cselect_b32 s0, -1, 0
	s_cmp_eq_u32 s25, s1
	s_cselect_b32 s0, s0, s27
	s_cmp_lg_u32 s0, 0
	s_cselect_b32 s1, s31, s9
	s_cselect_b32 s0, s30, s5
	s_xor_b64 s[6:7], s[6:7], 0
	s_xor_b64 s[0:1], s[0:1], s[6:7]
	s_sub_u32 s6, s0, s6
	s_cbranch_execnz .LBB29_11
.LBB29_10:
	s_sub_i32 s0, 0, s22
	v_readfirstlane_b32 s1, v4
	s_mul_i32 s0, s0, s1
	s_mul_hi_u32 s0, s1, s0
	s_add_i32 s1, s1, s0
	s_mul_hi_u32 s0, s8, s1
	s_mul_i32 s5, s0, s22
	s_sub_i32 s5, s8, s5
	s_add_i32 s1, s0, 1
	s_sub_i32 s6, s5, s22
	s_cmp_ge_u32 s5, s22
	s_cselect_b32 s0, s1, s0
	s_cselect_b32 s5, s6, s5
	s_add_i32 s1, s0, 1
	s_cmp_ge_u32 s5, s22
	s_cselect_b32 s6, s1, s0
.LBB29_11:
	s_cmp_lg_u32 s10, s6
	s_mov_b64 s[8:9], -1
                                        ; implicit-def: $sgpr0_sgpr1
                                        ; implicit-def: $vgpr10
                                        ; implicit-def: $vgpr8
                                        ; implicit-def: $vgpr9
                                        ; implicit-def: $sgpr5
                                        ; implicit-def: $sgpr7
	s_cbranch_scc1 .LBB29_14
; %bb.12:
	s_andn2_b64 vcc, exec, s[8:9]
	s_cbranch_vccz .LBB29_17
.LBB29_13:
	s_andn2_b64 vcc, exec, s[0:1]
	s_cbranch_vccnz .LBB29_18
	s_branch .LBB29_22
.LBB29_14:
	s_add_i32 s0, s24, s22
	s_lshl_b32 s0, s0, 3
	s_add_i32 s0, s0, s15
	s_mov_b32 s1, s4
	s_lshl_b64 s[0:1], s[0:1], 3
	s_add_u32 s8, s18, s0
	s_mul_hi_u32 s0, s6, s12
	s_addc_u32 s9, s19, s1
	s_add_i32 s0, s0, s6
	s_lshr_b32 s5, s0, s13
	s_mul_i32 s0, s5, s14
	s_cmp_eq_u32 s0, s6
	s_cselect_b64 s[0:1], -1, 0
	s_cmp_lt_u32 s5, s11
	s_cselect_b64 s[26:27], -1, 0
	s_or_b64 s[26:27], s[26:27], s[0:1]
	s_mov_b64 s[0:1], -1
	s_and_b64 vcc, exec, s[26:27]
	s_mov_b32 s5, s24
	s_mov_b32 s7, s10
	s_cbranch_vccnz .LBB29_16
; %bb.15:
	s_add_i32 s5, s24, -1
	s_mov_b64 s[0:1], 0
	s_mov_b32 s7, s6
.LBB29_16:
	s_mul_i32 s6, s24, 0x380
	v_add_u32_e32 v8, s6, v0
	v_ashrrev_i32_e32 v9, 31, v8
	v_lshlrev_b64 v[8:9], 2, v[8:9]
	v_mov_b32_e32 v10, s21
	v_add_co_u32_e32 v8, vcc, s20, v8
	v_addc_co_u32_e32 v9, vcc, v10, v9, vcc
	global_load_dword v10, v[8:9], off
	s_load_dwordx2 s[8:9], s[8:9], 0x0
	v_max_f32_e32 v8, v7, v7
	s_waitcnt lgkmcnt(0)
	v_max_f32_e64 v9, s8, s8
	v_max_f32_e32 v8, v8, v9
	v_sub_f32_e32 v9, v7, v8
	v_sub_f32_e32 v11, s8, v8
	v_mul_f32_e32 v12, 0x3fb8aa3b, v9
	v_mul_f32_e32 v13, 0x3fb8aa3b, v11
	v_fma_f32 v14, v9, s2, -v12
	v_rndne_f32_e32 v15, v12
	v_fma_f32 v16, v11, s2, -v13
	v_rndne_f32_e32 v17, v13
	v_fmac_f32_e32 v14, 0x32a5705f, v9
	v_sub_f32_e32 v12, v12, v15
	v_fmac_f32_e32 v16, 0x32a5705f, v11
	v_sub_f32_e32 v13, v13, v17
	v_add_f32_e32 v12, v12, v14
	v_cvt_i32_f32_e32 v15, v15
	v_add_f32_e32 v13, v13, v16
	v_exp_f32_e32 v12, v12
	v_cvt_i32_f32_e32 v17, v17
	v_exp_f32_e32 v13, v13
	v_cmp_ngt_f32_e32 vcc, s16, v9
	v_ldexp_f32 v12, v12, v15
	v_cndmask_b32_e32 v12, 0, v12, vcc
	v_ldexp_f32 v13, v13, v17
	v_cmp_ngt_f32_e32 vcc, s16, v11
	v_cndmask_b32_e32 v13, 0, v13, vcc
	v_cmp_nlt_f32_e32 vcc, s17, v9
	v_cndmask_b32_e32 v12, v5, v12, vcc
	v_cmp_nlt_f32_e32 vcc, s17, v11
	v_cndmask_b32_e32 v13, v5, v13, vcc
	v_cmp_le_f32_e32 vcc, s23, v9
	v_cndmask_b32_e32 v12, 0, v12, vcc
	v_cmp_le_f32_e32 vcc, s23, v11
	v_cndmask_b32_e32 v11, 0, v13, vcc
	v_mul_f32_e32 v9, s9, v11
	v_fmac_f32_e32 v9, v6, v12
	s_waitcnt vmcnt(0)
	v_mul_f32_e32 v10, v10, v11
	v_fmac_f32_e32 v10, v3, v12
	s_cbranch_execnz .LBB29_13
.LBB29_17:
	s_add_i32 s5, s24, -1
	s_mov_b32 s7, s10
	v_mov_b32_e32 v9, v6
	v_mov_b32_e32 v8, v7
	s_waitcnt vmcnt(0)
	v_mov_b32_e32 v10, v3
	s_cbranch_execz .LBB29_22
.LBB29_18:
	s_mov_b32 s10, s7
	s_mov_b32 s24, s5
	v_mov_b32_e32 v6, v9
	v_mov_b32_e32 v7, v8
	s_waitcnt vmcnt(0)
	v_mov_b32_e32 v3, v10
	s_mul_hi_i32 s5, s24, s3
	s_cmp_lg_u64 s[4:5], 0
	s_mul_i32 s8, s24, s3
	s_cbranch_scc1 .LBB29_9
.LBB29_19:
                                        ; implicit-def: $sgpr6_sgpr7
	s_branch .LBB29_10
.LBB29_20:
                                        ; implicit-def: $sgpr10_sgpr11
	s_load_dwordx4 s[12:15], s[4:5], 0x44
	s_branch .LBB29_2
.LBB29_21:
                                        ; implicit-def: $sgpr18_sgpr19
	s_branch .LBB29_5
.LBB29_22:
	v_div_scale_f32 v0, s[0:1], v9, v9, v10
	s_waitcnt vmcnt(0)
	v_div_scale_f32 v3, vcc, v10, v9, v10
	v_rcp_f32_e32 v4, v0
	v_fma_f32 v5, -v0, v4, 1.0
	v_fmac_f32_e32 v4, v5, v4
	v_mul_f32_e32 v5, v3, v4
	v_fma_f32 v6, -v0, v5, v3
	v_fmac_f32_e32 v5, v6, v4
	v_fma_f32 v0, -v0, v5, v3
	v_div_fmas_f32 v0, v0, v4, v5
	v_div_fixup_f32 v0, v0, v9, v10
	global_store_dword v[1:2], v0, off
.LBB29_23:
	s_endpgm
	.section	.rodata,"a",@progbits
	.p2align	6, 0x0
	.amdhsa_kernel _ZL33flash_attn_stream_k_fixup_generalILi112ELi2ELi4EEvPfPK15HIP_vector_typeIfLj2EEiiiiS1_IjLj3EES5_S5_S5_
		.amdhsa_group_segment_fixed_size 0
		.amdhsa_private_segment_fixed_size 0
		.amdhsa_kernarg_size 336
		.amdhsa_user_sgpr_count 6
		.amdhsa_user_sgpr_private_segment_buffer 1
		.amdhsa_user_sgpr_dispatch_ptr 0
		.amdhsa_user_sgpr_queue_ptr 0
		.amdhsa_user_sgpr_kernarg_segment_ptr 1
		.amdhsa_user_sgpr_dispatch_id 0
		.amdhsa_user_sgpr_flat_scratch_init 0
		.amdhsa_user_sgpr_private_segment_size 0
		.amdhsa_uses_dynamic_stack 0
		.amdhsa_system_sgpr_private_segment_wavefront_offset 0
		.amdhsa_system_sgpr_workgroup_id_x 1
		.amdhsa_system_sgpr_workgroup_id_y 1
		.amdhsa_system_sgpr_workgroup_id_z 1
		.amdhsa_system_sgpr_workgroup_info 0
		.amdhsa_system_vgpr_workitem_id 0
		.amdhsa_next_free_vgpr 18
		.amdhsa_next_free_sgpr 36
		.amdhsa_reserve_vcc 1
		.amdhsa_reserve_flat_scratch 0
		.amdhsa_float_round_mode_32 0
		.amdhsa_float_round_mode_16_64 0
		.amdhsa_float_denorm_mode_32 3
		.amdhsa_float_denorm_mode_16_64 3
		.amdhsa_dx10_clamp 1
		.amdhsa_ieee_mode 1
		.amdhsa_fp16_overflow 0
		.amdhsa_exception_fp_ieee_invalid_op 0
		.amdhsa_exception_fp_denorm_src 0
		.amdhsa_exception_fp_ieee_div_zero 0
		.amdhsa_exception_fp_ieee_overflow 0
		.amdhsa_exception_fp_ieee_underflow 0
		.amdhsa_exception_fp_ieee_inexact 0
		.amdhsa_exception_int_div_zero 0
	.end_amdhsa_kernel
	.section	.text._ZL33flash_attn_stream_k_fixup_generalILi112ELi2ELi4EEvPfPK15HIP_vector_typeIfLj2EEiiiiS1_IjLj3EES5_S5_S5_,"axG",@progbits,_ZL33flash_attn_stream_k_fixup_generalILi112ELi2ELi4EEvPfPK15HIP_vector_typeIfLj2EEiiiiS1_IjLj3EES5_S5_S5_,comdat
.Lfunc_end29:
	.size	_ZL33flash_attn_stream_k_fixup_generalILi112ELi2ELi4EEvPfPK15HIP_vector_typeIfLj2EEiiiiS1_IjLj3EES5_S5_S5_, .Lfunc_end29-_ZL33flash_attn_stream_k_fixup_generalILi112ELi2ELi4EEvPfPK15HIP_vector_typeIfLj2EEiiiiS1_IjLj3EES5_S5_S5_
                                        ; -- End function
	.set _ZL33flash_attn_stream_k_fixup_generalILi112ELi2ELi4EEvPfPK15HIP_vector_typeIfLj2EEiiiiS1_IjLj3EES5_S5_S5_.num_vgpr, 18
	.set _ZL33flash_attn_stream_k_fixup_generalILi112ELi2ELi4EEvPfPK15HIP_vector_typeIfLj2EEiiiiS1_IjLj3EES5_S5_S5_.num_agpr, 0
	.set _ZL33flash_attn_stream_k_fixup_generalILi112ELi2ELi4EEvPfPK15HIP_vector_typeIfLj2EEiiiiS1_IjLj3EES5_S5_S5_.numbered_sgpr, 36
	.set _ZL33flash_attn_stream_k_fixup_generalILi112ELi2ELi4EEvPfPK15HIP_vector_typeIfLj2EEiiiiS1_IjLj3EES5_S5_S5_.num_named_barrier, 0
	.set _ZL33flash_attn_stream_k_fixup_generalILi112ELi2ELi4EEvPfPK15HIP_vector_typeIfLj2EEiiiiS1_IjLj3EES5_S5_S5_.private_seg_size, 0
	.set _ZL33flash_attn_stream_k_fixup_generalILi112ELi2ELi4EEvPfPK15HIP_vector_typeIfLj2EEiiiiS1_IjLj3EES5_S5_S5_.uses_vcc, 1
	.set _ZL33flash_attn_stream_k_fixup_generalILi112ELi2ELi4EEvPfPK15HIP_vector_typeIfLj2EEiiiiS1_IjLj3EES5_S5_S5_.uses_flat_scratch, 0
	.set _ZL33flash_attn_stream_k_fixup_generalILi112ELi2ELi4EEvPfPK15HIP_vector_typeIfLj2EEiiiiS1_IjLj3EES5_S5_S5_.has_dyn_sized_stack, 0
	.set _ZL33flash_attn_stream_k_fixup_generalILi112ELi2ELi4EEvPfPK15HIP_vector_typeIfLj2EEiiiiS1_IjLj3EES5_S5_S5_.has_recursion, 0
	.set _ZL33flash_attn_stream_k_fixup_generalILi112ELi2ELi4EEvPfPK15HIP_vector_typeIfLj2EEiiiiS1_IjLj3EES5_S5_S5_.has_indirect_call, 0
	.section	.AMDGPU.csdata,"",@progbits
; Kernel info:
; codeLenInByte = 2944
; TotalNumSgprs: 40
; NumVgprs: 18
; ScratchSize: 0
; MemoryBound: 0
; FloatMode: 240
; IeeeMode: 1
; LDSByteSize: 0 bytes/workgroup (compile time only)
; SGPRBlocks: 4
; VGPRBlocks: 4
; NumSGPRsForWavesPerEU: 40
; NumVGPRsForWavesPerEU: 18
; Occupancy: 10
; WaveLimiterHint : 0
; COMPUTE_PGM_RSRC2:SCRATCH_EN: 0
; COMPUTE_PGM_RSRC2:USER_SGPR: 6
; COMPUTE_PGM_RSRC2:TRAP_HANDLER: 0
; COMPUTE_PGM_RSRC2:TGID_X_EN: 1
; COMPUTE_PGM_RSRC2:TGID_Y_EN: 1
; COMPUTE_PGM_RSRC2:TGID_Z_EN: 1
; COMPUTE_PGM_RSRC2:TIDIG_COMP_CNT: 0
	.section	.text._ZL15flash_attn_tileILi112ELi112ELi1ELi4ELb0EEvPKcS1_S1_S1_S1_PKiPfP15HIP_vector_typeIfLj2EEffffjfiS5_IjLj3EEiiiiiiiiiiiliiliiiiil,"axG",@progbits,_ZL15flash_attn_tileILi112ELi112ELi1ELi4ELb0EEvPKcS1_S1_S1_S1_PKiPfP15HIP_vector_typeIfLj2EEffffjfiS5_IjLj3EEiiiiiiiiiiiliiliiiiil,comdat
	.globl	_ZL15flash_attn_tileILi112ELi112ELi1ELi4ELb0EEvPKcS1_S1_S1_S1_PKiPfP15HIP_vector_typeIfLj2EEffffjfiS5_IjLj3EEiiiiiiiiiiiliiliiiiil ; -- Begin function _ZL15flash_attn_tileILi112ELi112ELi1ELi4ELb0EEvPKcS1_S1_S1_S1_PKiPfP15HIP_vector_typeIfLj2EEffffjfiS5_IjLj3EEiiiiiiiiiiiliiliiiiil
	.p2align	8
	.type	_ZL15flash_attn_tileILi112ELi112ELi1ELi4ELb0EEvPKcS1_S1_S1_S1_PKiPfP15HIP_vector_typeIfLj2EEffffjfiS5_IjLj3EEiiiiiiiiiiiliiliiiiil,@function
_ZL15flash_attn_tileILi112ELi112ELi1ELi4ELb0EEvPKcS1_S1_S1_S1_PKiPfP15HIP_vector_typeIfLj2EEffffjfiS5_IjLj3EEiiiiiiiiiiiliiliiiiil: ; @_ZL15flash_attn_tileILi112ELi112ELi1ELi4ELb0EEvPKcS1_S1_S1_S1_PKiPfP15HIP_vector_typeIfLj2EEffffjfiS5_IjLj3EEiiiiiiiiiiiliiliiiiil
; %bb.0:
	s_load_dwordx4 s[28:31], s[4:5], 0x5c
	s_load_dwordx2 s[34:35], s[4:5], 0x80
	s_load_dwordx16 s[12:27], s[4:5], 0x0
	s_mov_b64 s[36:37], 0
	s_waitcnt lgkmcnt(0)
	s_ashr_i32 s0, s31, 31
	s_lshr_b32 s0, s0, 30
	s_add_i32 s0, s31, s0
	s_ashr_i32 s0, s0, 2
	v_cvt_f32_u32_e32 v2, s0
	s_sub_i32 s1, 0, s0
	v_rcp_iflag_f32_e32 v2, v2
	v_mul_f32_e32 v2, 0x4f7ffffe, v2
	v_cvt_u32_f32_e32 v2, v2
	v_readfirstlane_b32 s2, v2
	s_mul_i32 s1, s1, s2
	s_mul_hi_u32 s1, s2, s1
	s_add_i32 s2, s2, s1
	s_mul_hi_u32 s1, s8, s2
	s_mul_i32 s2, s1, s0
	s_sub_i32 s2, s8, s2
	s_add_i32 s3, s1, 1
	s_sub_i32 s9, s2, s0
	s_cmp_ge_u32 s2, s0
	s_cselect_b32 s1, s3, s1
	s_cselect_b32 s2, s9, s2
	s_add_i32 s3, s1, 1
	s_cmp_ge_u32 s2, s0
	s_cselect_b32 s33, s3, s1
	s_abs_i32 s1, s35
	v_cvt_f32_u32_e32 v2, s1
	s_lshl_b32 s0, s8, 2
	s_sub_i32 s8, 0, s1
	s_abs_i32 s3, s31
	v_rcp_iflag_f32_e32 v2, v2
	s_xor_b32 s2, s31, s35
	s_ashr_i32 s2, s2, 31
	v_mul_f32_e32 v2, 0x4f7ffffe, v2
	v_cvt_u32_f32_e32 v2, v2
	v_readfirstlane_b32 s9, v2
	s_mul_i32 s8, s8, s9
	s_mul_hi_u32 s8, s9, s8
	s_add_i32 s9, s9, s8
	s_mul_hi_u32 s8, s3, s9
	s_mul_i32 s9, s8, s1
	s_sub_i32 s3, s3, s9
	s_add_i32 s10, s8, 1
	s_sub_i32 s9, s3, s1
	s_cmp_ge_u32 s3, s1
	s_cselect_b32 s8, s10, s8
	s_cselect_b32 s3, s9, s3
	s_add_i32 s9, s8, 1
	s_cmp_ge_u32 s3, s1
	s_cselect_b32 s1, s9, s8
	s_xor_b32 s1, s1, s2
	s_sub_i32 s39, s1, s2
	s_abs_i32 s41, s39
	v_cvt_f32_u32_e32 v2, s41
	s_load_dwordx2 s[2:3], s[4:5], 0xb8
	s_mul_i32 s1, s33, s31
	s_cmp_eq_u64 s[18:19], 0
	v_rcp_iflag_f32_e32 v2, v2
	v_mul_f32_e32 v2, 0x4f7ffffe, v2
	v_cvt_u32_f32_e32 v2, v2
	v_readfirstlane_b32 s40, v2
	s_cbranch_scc1 .LBB30_2
; %bb.1:
	s_waitcnt lgkmcnt(0)
	s_abs_i32 s2, s2
	v_cvt_f32_u32_e32 v2, s2
	s_sub_i32 s35, 0, s2
	s_abs_i32 s11, s33
	s_ashr_i32 s10, s33, 31
	v_rcp_iflag_f32_e32 v2, v2
	s_load_dwordx2 s[8:9], s[4:5], 0xc8
	v_mul_f32_e32 v2, 0x4f7ffffe, v2
	v_cvt_u32_f32_e32 v2, v2
	v_readfirstlane_b32 s36, v2
	s_mul_i32 s35, s35, s36
	s_mul_hi_u32 s35, s36, s35
	s_add_i32 s36, s36, s35
	s_mul_hi_u32 s35, s11, s36
	s_mul_i32 s35, s35, s2
	s_sub_i32 s11, s11, s35
	s_sub_i32 s35, s11, s2
	s_cmp_ge_u32 s11, s2
	s_cselect_b32 s11, s35, s11
	s_sub_i32 s35, s11, s2
	s_cmp_ge_u32 s11, s2
	s_cselect_b32 s2, s35, s11
	s_xor_b32 s2, s2, s10
	s_sub_i32 s2, s2, s10
	s_ashr_i32 s10, s2, 31
	s_waitcnt lgkmcnt(0)
	s_mul_hi_u32 s11, s8, s2
	s_mul_i32 s10, s8, s10
	s_mul_i32 s9, s9, s2
	s_add_i32 s10, s11, s10
	s_add_i32 s10, s10, s9
	s_mul_i32 s2, s8, s2
	s_add_u32 s36, s18, s2
	s_addc_u32 s37, s19, s10
.LBB30_2:
	s_waitcnt lgkmcnt(0)
	s_movk_i32 s2, 0xe0
	v_mov_b32_e32 v2, 0x1040
	s_sub_i32 s35, s0, s1
	v_cmp_gt_u32_e64 s[0:1], 28, v0
	v_mad_u32_u24 v57, v1, s2, v2
	v_lshlrev_b32_e32 v58, 3, v0
	v_and_b32_e32 v55, 3, v1
	v_lshrrev_b32_e32 v56, 2, v1
	s_and_saveexec_b64 s[18:19], s[0:1]
	s_cbranch_execz .LBB30_4
; %bb.3:
	s_load_dwordx4 s[8:11], s[4:5], 0x70
	v_add_u32_e32 v5, s6, v56
	v_mul_hi_u32 v4, s28, v5
	s_waitcnt lgkmcnt(0)
	s_mul_i32 s2, s33, s10
	s_ashr_i32 s38, s2, 31
	s_mul_i32 s11, s35, s9
	s_add_u32 s2, s12, s2
	s_addc_u32 s12, s13, s38
	s_ashr_i32 s13, s11, 31
	s_add_u32 s2, s2, s11
	s_mov_b32 s10, s9
	s_addc_u32 s38, s12, s13
	s_ashr_i32 s11, s9, 31
	s_lshr_b64 s[12:13], s[10:11], 2
	v_add_u32_e32 v4, v5, v4
	v_mad_u64_u32 v[2:3], s[12:13], s12, v55, 0
	v_lshrrev_b32_e32 v4, s29, v4
	v_mul_lo_u32 v6, v4, s30
	s_lshr_b32 s9, s11, 2
	v_mad_u64_u32 v[3:4], s[10:11], s9, v55, v[3:4]
	s_ashr_i32 s9, s8, 31
	s_lshr_b64 s[10:11], s[8:9], 2
	v_sub_u32_e32 v6, v5, v6
	v_mad_u64_u32 v[4:5], s[10:11], s10, v6, 0
	s_lshr_b32 s8, s9, 2
	v_lshlrev_b64 v[2:3], 2, v[2:3]
	v_mad_u64_u32 v[5:6], s[8:9], s8, v6, v[5:6]
	v_mov_b32_e32 v7, s38
	v_add_co_u32_e32 v6, vcc, s2, v2
	v_addc_co_u32_e32 v7, vcc, v7, v3, vcc
	v_lshlrev_b64 v[2:3], 2, v[4:5]
	v_lshlrev_b32_e32 v4, 4, v0
	v_add_co_u32_e32 v2, vcc, v6, v2
	v_addc_co_u32_e32 v3, vcc, v7, v3, vcc
	v_add_co_u32_e32 v2, vcc, v2, v4
	v_addc_co_u32_e32 v3, vcc, 0, v3, vcc
	global_load_dwordx4 v[2:5], v[2:3], off
	s_load_dword s2, s[4:5], 0x40
	v_add_u32_e32 v6, v57, v58
	s_waitcnt vmcnt(0) lgkmcnt(0)
	v_fma_mixlo_f16 v2, s2, v2, 0
	v_fma_mixlo_f16 v3, s2, v3, 0
	;; [unrolled: 1-line block ×4, first 2 shown]
	v_lshlrev_b32_e32 v3, 16, v3
	v_and_b32_e32 v2, 0xffff, v2
	v_lshlrev_b32_e32 v5, 16, v5
	v_and_b32_e32 v4, 0xffff, v4
	v_or_b32_e32 v2, v3, v2
	v_or3_b32 v3, v5, v4, 0
	v_or3_b32 v2, 0, 0, v2
	ds_write_b64 v6, v[2:3]
.LBB30_4:
	s_or_b64 exec, exec, s[18:19]
	s_cmp_eq_u64 s[22:23], 0
	s_waitcnt lgkmcnt(0)
	s_barrier
	s_cbranch_scc1 .LBB30_6
; %bb.5:
	s_load_dword s2, s[4:5], 0xd0
	s_mov_b32 s9, 0
	s_waitcnt lgkmcnt(0)
	s_mul_i32 s2, s2, s33
	s_add_i32 s8, s2, s6
	s_lshl_b64 s[8:9], s[8:9], 2
	s_add_u32 s8, s22, s8
	s_addc_u32 s9, s23, s9
	s_load_dword s34, s[8:9], 0x0
.LBB30_6:
	s_lshl_b32 s38, s7, 5
	s_waitcnt lgkmcnt(0)
	s_cmp_lt_i32 s38, s34
	v_mbcnt_lo_u32_b32 v2, -1, 0
	s_cbranch_scc1 .LBB30_16
; %bb.7:
	v_mbcnt_hi_u32_b32 v60, -1, v2
	v_and_b32_e32 v3, 0x60, v60
	v_add_u32_e32 v76, 32, v3
	v_xor_b32_e32 v77, 16, v60
	v_xor_b32_e32 v78, 8, v60
	;; [unrolled: 1-line block ×5, first 2 shown]
	s_cbranch_execz .LBB30_17
; %bb.8:
	v_mov_b32_e32 v61, 0
	v_mov_b32_e32 v82, 0
	;; [unrolled: 1-line block ×4, first 2 shown]
.LBB30_9:
	v_cmp_lt_i32_e32 vcc, v77, v76
	v_cndmask_b32_e32 v1, v60, v77, vcc
	v_lshlrev_b32_e32 v1, 2, v1
	ds_bpermute_b32 v1, v1, v82
	v_cmp_lt_i32_e32 vcc, v78, v76
	v_cndmask_b32_e32 v2, v60, v78, vcc
	v_lshlrev_b32_e32 v2, 2, v2
	v_cmp_lt_i32_e32 vcc, v79, v76
	s_waitcnt lgkmcnt(0)
	v_add_f32_e32 v1, v82, v1
	ds_bpermute_b32 v2, v2, v1
	v_cndmask_b32_e32 v3, v60, v79, vcc
	v_lshlrev_b32_e32 v3, 2, v3
	v_cmp_lt_i32_e32 vcc, v80, v76
	s_cmp_lg_u64 s[20:21], 0
	s_waitcnt lgkmcnt(0)
	v_add_f32_e32 v1, v1, v2
	ds_bpermute_b32 v2, v3, v1
	v_cndmask_b32_e32 v3, v60, v80, vcc
	v_lshlrev_b32_e32 v3, 2, v3
	v_cmp_lt_i32_e32 vcc, v81, v76
	v_cndmask_b32_e32 v4, v60, v81, vcc
	s_waitcnt lgkmcnt(0)
	v_add_f32_e32 v2, v1, v2
	ds_bpermute_b32 v3, v3, v2
	v_lshlrev_b32_e32 v4, 2, v4
	s_cselect_b64 s[2:3], -1, 0
	s_cmp_eq_u32 s7, 0
	s_cselect_b64 s[8:9], -1, 0
	s_waitcnt lgkmcnt(0)
	v_add_f32_e32 v2, v2, v3
	ds_bpermute_b32 v3, v4, v2
	s_and_b64 s[2:3], s[8:9], s[2:3]
	v_add_u32_e32 v1, s35, v55
	s_and_b64 vcc, exec, s[2:3]
	s_waitcnt lgkmcnt(0)
	v_add_f32_e32 v55, v2, v3
	s_cbranch_vccz .LBB30_11
; %bb.10:
	v_ashrrev_i32_e32 v2, 31, v1
	v_lshlrev_b64 v[2:3], 2, v[1:2]
	v_mov_b32_e32 v4, s21
	v_add_co_u32_e32 v2, vcc, s20, v2
	v_addc_co_u32_e32 v3, vcc, v4, v3, vcc
	global_load_dword v2, v[2:3], off
	v_max_f32_e32 v3, v54, v54
	s_mov_b32 s2, 0x3fb8aa3b
	s_mov_b32 s3, 0xc2ce8ed0
	s_waitcnt vmcnt(0)
	v_max_f32_e32 v4, v2, v2
	v_max_f32_e32 v3, v3, v4
	v_sub_f32_e32 v4, v54, v3
	v_sub_f32_e32 v2, v2, v3
	v_mul_f32_e32 v5, 0x3fb8aa3b, v4
	v_mul_f32_e32 v6, 0x3fb8aa3b, v2
	v_fma_f32 v7, v4, s2, -v5
	v_rndne_f32_e32 v8, v5
	v_fma_f32 v9, v2, s2, -v6
	v_rndne_f32_e32 v10, v6
	v_fmac_f32_e32 v7, 0x32a5705f, v4
	v_sub_f32_e32 v5, v5, v8
	v_fmac_f32_e32 v9, 0x32a5705f, v2
	v_sub_f32_e32 v6, v6, v10
	v_add_f32_e32 v5, v5, v7
	v_cvt_i32_f32_e32 v8, v8
	v_add_f32_e32 v6, v6, v9
	v_exp_f32_e32 v5, v5
	v_cvt_i32_f32_e32 v10, v10
	v_exp_f32_e32 v6, v6
	v_cmp_ngt_f32_e32 vcc, s3, v4
	v_ldexp_f32 v5, v5, v8
	s_mov_b32 s2, 0x42b17218
	v_ldexp_f32 v6, v6, v10
	v_cndmask_b32_e32 v5, 0, v5, vcc
	v_cmp_ngt_f32_e32 vcc, s3, v2
	v_mov_b32_e32 v7, 0x7f800000
	v_cndmask_b32_e32 v6, 0, v6, vcc
	v_cmp_nlt_f32_e32 vcc, s2, v4
	v_cndmask_b32_e32 v4, v7, v5, vcc
	v_cvt_f16_f32_e32 v5, v4
	v_cmp_nlt_f32_e32 vcc, s2, v2
	v_cndmask_b32_e32 v2, v7, v6, vcc
	v_fmac_f32_e32 v2, v55, v4
	v_mov_b32_e32 v55, v2
	v_mul_u32_u24_e32 v2, 0x10001, v5
	v_pk_mul_f16 v59, v59, v2
	v_pk_mul_f16 v61, v61, v2
	v_mov_b32_e32 v54, v3
.LBB30_11:
	s_load_dword s8, s[4:5], 0xd4
	s_mul_i32 s4, s33, s30
	s_waitcnt lgkmcnt(0)
	s_cmp_lg_u32 s8, 1
	s_cselect_b64 s[2:3], -1, 0
	s_add_i32 s4, s4, s6
	v_add_u32_e32 v2, s4, v56
	v_mad_u64_u32 v[1:2], s[4:5], v2, s31, v[1:2]
	v_mul_lo_u32 v1, s8, v1
	v_add_u32_e32 v1, s7, v1
	s_and_saveexec_b64 s[4:5], s[0:1]
	s_cbranch_execz .LBB30_13
; %bb.12:
	v_div_scale_f32 v2, s[0:1], v55, v55, 1.0
	v_div_scale_f32 v3, vcc, 1.0, v55, 1.0
	s_movk_i32 s0, 0x70
	v_cvt_f32_f16_sdwa v8, v61 dst_sel:DWORD dst_unused:UNUSED_PAD src0_sel:WORD_1
	v_cvt_f32_f16_e32 v9, v61
	v_cvt_f32_f16_sdwa v10, v59 dst_sel:DWORD dst_unused:UNUSED_PAD src0_sel:WORD_1
	v_cvt_f32_f16_e32 v11, v59
	v_rcp_f32_e32 v4, v2
	v_fma_f32 v5, -v2, v4, 1.0
	v_fmac_f32_e32 v4, v5, v4
	v_mul_f32_e32 v5, v3, v4
	v_fma_f32 v6, -v2, v5, v3
	v_fmac_f32_e32 v5, v6, v4
	v_fma_f32 v2, -v2, v5, v3
	v_div_fmas_f32 v4, v2, v4, v5
	v_mul_lo_u32 v2, v1, s0
	v_mov_b32_e32 v3, 0
	v_mov_b32_e32 v5, s25
	v_lshl_add_u32 v2, v0, 2, v2
	v_lshlrev_b64 v[2:3], 2, v[2:3]
	v_add_co_u32_e32 v6, vcc, s24, v2
	v_addc_co_u32_e32 v7, vcc, v5, v3, vcc
	v_div_fixup_f32 v2, v4, v55, 1.0
	v_cndmask_b32_e64 v2, v2, 1.0, s[2:3]
	v_mul_f32_e32 v5, v2, v8
	v_mul_f32_e32 v4, v2, v9
	;; [unrolled: 1-line block ×4, first 2 shown]
	global_store_dwordx4 v[6:7], v[2:5], off
.LBB30_13:
	s_or_b64 exec, exec, s[4:5]
	v_cmp_eq_u32_e32 vcc, 0, v0
	s_and_b64 s[0:1], vcc, s[2:3]
	s_and_saveexec_b64 s[2:3], s[0:1]
	s_cbranch_execz .LBB30_15
; %bb.14:
	v_ashrrev_i32_e32 v2, 31, v1
	v_lshlrev_b64 v[0:1], 3, v[1:2]
	v_mov_b32_e32 v2, s27
	v_add_co_u32_e32 v0, vcc, s26, v0
	v_addc_co_u32_e32 v1, vcc, v2, v1, vcc
	global_store_dwordx2 v[0:1], v[54:55], off
.LBB30_15:
	s_endpgm
.LBB30_16:
                                        ; implicit-def: $vgpr60
                                        ; implicit-def: $vgpr76
                                        ; implicit-def: $vgpr77
                                        ; implicit-def: $vgpr78
                                        ; implicit-def: $vgpr79
                                        ; implicit-def: $vgpr80
                                        ; implicit-def: $vgpr81
.LBB30_17:
	s_load_dwordx2 s[12:13], s[4:5], 0x8c
	s_load_dwordx4 s[8:11], s[4:5], 0x98
	s_sub_i32 s2, 0, s41
	s_mul_i32 s2, s2, s40
	s_mul_hi_u32 s2, s40, s2
	s_abs_i32 s22, s35
	s_add_i32 s40, s40, s2
	s_ashr_i32 s42, s39, 31
	s_waitcnt lgkmcnt(0)
	s_ashr_i32 s39, s10, 2
	s_ashr_i32 s10, s3, 1
	s_ashr_i32 s3, s33, 31
	s_mul_hi_u32 s2, s22, s40
	s_ashr_i32 s40, s12, 2
	s_mul_hi_u32 s12, s8, s33
	s_mul_i32 s43, s8, s3
	s_add_i32 s12, s12, s43
	s_mul_i32 s9, s9, s33
	s_ashr_i32 s23, s35, 31
	s_add_i32 s12, s12, s9
	s_mul_i32 s8, s8, s33
	s_add_u32 s8, s14, s8
	s_mul_i32 s14, s2, s41
	s_addc_u32 s9, s15, s12
	s_sub_i32 s14, s22, s14
	s_xor_b32 s12, s23, s42
	s_add_i32 s15, s2, 1
	s_sub_i32 s22, s14, s41
	s_cmp_ge_u32 s14, s41
	s_cselect_b32 s2, s15, s2
	s_cselect_b32 s14, s22, s14
	s_add_i32 s15, s2, 1
	v_lshl_add_u32 v3, v1, 5, v0
	s_cmp_ge_u32 s14, s41
	v_cmp_gt_u32_e32 vcc, 32, v3
	v_mul_lo_u32 v6, s40, v3
	v_add_u32_e32 v3, s6, v56
	s_load_dwordx2 s[18:19], s[4:5], 0xa8
	s_cselect_b32 s2, s15, s2
	v_mul_hi_u32 v9, s28, v3
	s_xor_b32 s2, s2, s12
	s_sub_i32 s2, s2, s12
	s_mul_i32 s12, s2, s13
	s_ashr_i32 s13, s12, 31
	v_add_u32_e32 v9, v3, v9
	s_add_u32 s41, s8, s12
	s_waitcnt lgkmcnt(0)
	s_mul_hi_u32 s8, s18, s33
	s_mul_i32 s3, s18, s3
	v_lshrrev_b32_e32 v9, s29, v9
	s_addc_u32 s42, s9, s13
	s_add_i32 s3, s8, s3
	s_mul_i32 s8, s19, s33
	v_mul_lo_u32 v11, v9, s30
	s_add_i32 s3, s3, s8
	s_mul_i32 s8, s18, s33
	s_add_u32 s8, s16, s8
	s_mul_i32 s2, s2, s11
	s_addc_u32 s3, s17, s3
	s_ashr_i32 s9, s2, 31
	s_add_u32 s43, s8, s2
	v_sub_u32_e32 v3, v3, v11
	s_addc_u32 s44, s3, s9
	v_lshrrev_b32_e32 v4, 1, v0
	v_lshlrev_b32_e32 v16, 2, v0
	v_mad_u64_u32 v[41:42], s[8:9], v3, s10, v[0:1]
	v_mov_b32_e32 v3, 0x13c0
	v_lshl_add_u32 v13, v1, 4, v4
	v_lshrrev_b32_e32 v4, 2, v0
	v_and_b32_e32 v19, 4, v16
	v_lshl_add_u32 v66, v1, 6, v3
	v_lshrrev_b32_e32 v3, 3, v0
	v_lshl_add_u32 v15, v1, 3, v4
	v_lshlrev_b32_e32 v10, 7, v13
	v_lshlrev_b32_e32 v14, 2, v19
	v_lshl_add_u32 v1, v1, 2, v3
	v_mul_u32_u24_e32 v3, 0xe0, v13
	v_mul_lo_u32 v4, s40, v15
	v_mul_lo_u32 v8, s40, v13
	v_or3_b32 v65, v10, v14, 64
	v_mul_lo_u32 v10, s39, v1
	v_mul_lo_u32 v12, s39, v13
	v_or_b32_e32 v3, v3, v14
	v_mul_lo_u32 v14, s39, v15
	v_and_b32_e32 v17, 12, v16
	v_lshlrev_b32_e32 v18, 2, v17
	v_cmp_gt_u32_e64 s[2:3], 32, v13
	v_lshl_or_b32 v62, v15, 7, v18
	v_ashrrev_i32_e32 v5, 31, v4
	v_ashrrev_i32_e32 v7, 31, v6
	;; [unrolled: 1-line block ×3, first 2 shown]
	v_cmp_gt_u32_e64 s[14:15], 16, v13
	v_cmp_gt_u32_e64 s[8:9], 16, v15
	v_ashrrev_i32_e32 v11, 31, v10
	v_add_u32_e32 v68, 0xc0, v3
	v_ashrrev_i32_e32 v13, 31, v12
	v_mul_u32_u24_e32 v3, 0xe0, v15
	s_movk_i32 s11, 0x80
	v_ashrrev_i32_e32 v15, 31, v14
	v_and_b32_e32 v16, 28, v16
	v_lshlrev_b32_e32 v63, 7, v0
	s_movk_i32 s10, 0xe0
	v_add3_u32 v69, v3, v18, s11
	v_lshlrev_b32_e32 v3, 2, v16
	s_add_u32 s18, s4, 0xd0
	v_lshlrev_b64 v[42:43], 2, v[6:7]
	v_lshlrev_b64 v[44:45], 2, v[8:9]
	;; [unrolled: 1-line block ×6, first 2 shown]
	v_mov_b32_e32 v59, 0
	v_or_b32_e32 v64, 0x60, v63
	v_lshl_add_u32 v67, v0, 1, v66
	v_mad_u32_u24 v70, v1, s10, v3
	s_addc_u32 s19, s5, 0
	v_mov_b32_e32 v3, 0xfeffffff
	v_lshlrev_b32_e32 v71, 2, v17
	s_mov_b32 s28, 0x3fb8aa3b
	s_mov_b32 s29, 0xc2ce8ed0
	;; [unrolled: 1-line block ×4, first 2 shown]
	v_lshlrev_b32_e32 v72, 2, v16
	v_lshlrev_b32_e32 v73, 2, v19
	v_mbcnt_hi_u32_b32 v60, -1, v2
	v_mov_b32_e32 v74, 0x7f800000
	v_mov_b32_e32 v61, 0
	;; [unrolled: 1-line block ×3, first 2 shown]
.LBB30_18:                              ; =>This Inner Loop Header: Depth=1
	s_mul_hi_i32 s11, s38, s40
	s_mul_i32 s10, s38, s40
	s_lshl_b64 s[10:11], s[10:11], 2
	s_add_u32 s16, s41, s10
	s_addc_u32 s17, s42, s11
	s_and_saveexec_b64 s[12:13], vcc
	s_cbranch_execz .LBB30_20
; %bb.19:                               ;   in Loop: Header=BB30_18 Depth=1
	v_mov_b32_e32 v2, s17
	v_add_co_u32_e64 v1, s[10:11], s16, v42
	v_addc_co_u32_e64 v2, s[10:11], v2, v43, s[10:11]
	global_load_dwordx4 v[4:7], v[1:2], off offset:96
	s_waitcnt vmcnt(0)
	ds_write_b128 v64, v[4:7]
.LBB30_20:                              ;   in Loop: Header=BB30_18 Depth=1
	s_or_b64 exec, exec, s[12:13]
	s_and_saveexec_b64 s[12:13], s[2:3]
	s_cbranch_execz .LBB30_22
; %bb.21:                               ;   in Loop: Header=BB30_18 Depth=1
	v_mov_b32_e32 v1, s17
	v_add_co_u32_e64 v2, s[10:11], s16, v44
	v_addc_co_u32_e64 v4, s[10:11], v1, v45, s[10:11]
	v_add_co_u32_e64 v1, s[10:11], v2, v73
	v_addc_co_u32_e64 v2, s[10:11], 0, v4, s[10:11]
	global_load_dwordx4 v[4:7], v[1:2], off offset:64
	s_waitcnt vmcnt(0)
	ds_write_b128 v65, v[4:7]
.LBB30_22:                              ;   in Loop: Header=BB30_18 Depth=1
	s_or_b64 exec, exec, s[12:13]
	v_mov_b32_e32 v1, s17
	v_add_co_u32_e64 v2, s[10:11], s16, v46
	v_addc_co_u32_e64 v4, s[10:11], v1, v47, s[10:11]
	v_add_co_u32_e64 v1, s[10:11], v2, v71
	v_addc_co_u32_e64 v2, s[10:11], 0, v4, s[10:11]
	global_load_dwordx4 v[4:7], v[1:2], off
	s_waitcnt vmcnt(0)
	ds_write_b128 v62, v[4:7]
	s_waitcnt lgkmcnt(0)
	s_barrier
	ds_read_b128 v[5:8], v63
	ds_read_b128 v[9:12], v57
	v_mov_b32_e32 v4, 0
	s_waitcnt lgkmcnt(0)
	;;#ASMSTART
	v_dot2_f32_f16 v4, v5, v9, v4
	;;#ASMEND
	;;#ASMSTART
	v_dot2_f32_f16 v4, v6, v10, v4
	;;#ASMEND
	;;#ASMSTART
	v_dot2_f32_f16 v4, v7, v11, v4
	;;#ASMEND
	;;#ASMSTART
	v_dot2_f32_f16 v4, v8, v12, v4
	;;#ASMEND
	ds_read_b128 v[5:8], v63 offset:16
	ds_read_b128 v[9:12], v57 offset:16
	s_waitcnt lgkmcnt(0)
	;;#ASMSTART
	v_dot2_f32_f16 v4, v5, v9, v4
	;;#ASMEND
	;;#ASMSTART
	v_dot2_f32_f16 v4, v6, v10, v4
	;;#ASMEND
	;;#ASMSTART
	v_dot2_f32_f16 v4, v7, v11, v4
	;;#ASMEND
	;;#ASMSTART
	v_dot2_f32_f16 v4, v8, v12, v4
	;;#ASMEND
	ds_read_b128 v[5:8], v63 offset:32
	ds_read_b128 v[9:12], v57 offset:32
	;; [unrolled: 15-line block ×6, first 2 shown]
	s_waitcnt lgkmcnt(0)
	;;#ASMSTART
	v_dot2_f32_f16 v4, v5, v9, v4
	;;#ASMEND
	;;#ASMSTART
	v_dot2_f32_f16 v4, v6, v10, v4
	;;#ASMEND
	;; [unrolled: 3-line block ×4, first 2 shown]
	s_barrier
	s_and_saveexec_b64 s[12:13], vcc
	s_cbranch_execz .LBB30_24
; %bb.23:                               ;   in Loop: Header=BB30_18 Depth=1
	v_mov_b32_e32 v6, s17
	v_add_co_u32_e64 v5, s[10:11], s16, v42
	v_addc_co_u32_e64 v6, s[10:11], v6, v43, s[10:11]
	global_load_dwordx4 v[5:8], v[5:6], off offset:208
	s_waitcnt vmcnt(0)
	ds_write_b128 v64, v[5:8]
.LBB30_24:                              ;   in Loop: Header=BB30_18 Depth=1
	s_or_b64 exec, exec, s[12:13]
	s_and_saveexec_b64 s[12:13], s[2:3]
	s_cbranch_execz .LBB30_26
; %bb.25:                               ;   in Loop: Header=BB30_18 Depth=1
	v_mov_b32_e32 v5, s17
	v_add_co_u32_e64 v6, s[10:11], s16, v44
	v_addc_co_u32_e64 v7, s[10:11], v5, v45, s[10:11]
	v_add_co_u32_e64 v5, s[10:11], v6, v73
	v_addc_co_u32_e64 v6, s[10:11], 0, v7, s[10:11]
	global_load_dwordx4 v[5:8], v[5:6], off offset:176
	s_waitcnt vmcnt(0)
	ds_write_b128 v65, v[5:8]
.LBB30_26:                              ;   in Loop: Header=BB30_18 Depth=1
	s_or_b64 exec, exec, s[12:13]
	global_load_dwordx4 v[5:8], v[1:2], off offset:112
	v_add_u32_e32 v1, s38, v41
	v_ashrrev_i32_e32 v2, 31, v1
	v_lshlrev_b64 v[1:2], 1, v[1:2]
	v_mov_b32_e32 v13, s37
	v_add_co_u32_e64 v1, s[10:11], s36, v1
	v_addc_co_u32_e64 v2, s[10:11], v13, v2, s[10:11]
	v_xor_b32_e32 v77, 16, v60
	v_xor_b32_e32 v78, 8, v60
	v_xor_b32_e32 v79, 4, v60
	v_xor_b32_e32 v80, 2, v60
	v_xor_b32_e32 v81, 1, v60
	s_waitcnt vmcnt(0)
	ds_write_b128 v62, v[5:8]
	s_waitcnt lgkmcnt(0)
	s_barrier
	ds_read_b128 v[5:8], v63
	ds_read_b128 v[9:12], v57 offset:112
	s_waitcnt lgkmcnt(0)
	;;#ASMSTART
	v_dot2_f32_f16 v4, v5, v9, v4
	;;#ASMEND
	;;#ASMSTART
	v_dot2_f32_f16 v4, v6, v10, v4
	;;#ASMEND
	;;#ASMSTART
	v_dot2_f32_f16 v4, v7, v11, v4
	;;#ASMEND
	;;#ASMSTART
	v_dot2_f32_f16 v4, v8, v12, v4
	;;#ASMEND
	ds_read_b128 v[5:8], v63 offset:16
	ds_read_b128 v[9:12], v57 offset:128
	s_waitcnt lgkmcnt(0)
	;;#ASMSTART
	v_dot2_f32_f16 v4, v5, v9, v4
	;;#ASMEND
	;;#ASMSTART
	v_dot2_f32_f16 v4, v6, v10, v4
	;;#ASMEND
	;;#ASMSTART
	v_dot2_f32_f16 v4, v7, v11, v4
	;;#ASMEND
	;;#ASMSTART
	v_dot2_f32_f16 v4, v8, v12, v4
	;;#ASMEND
	ds_read_b128 v[5:8], v63 offset:32
	;; [unrolled: 15-line block ×6, first 2 shown]
	ds_read_b128 v[9:12], v57 offset:208
	s_waitcnt lgkmcnt(0)
	;;#ASMSTART
	v_dot2_f32_f16 v4, v5, v9, v4
	;;#ASMEND
	;;#ASMSTART
	v_dot2_f32_f16 v4, v6, v10, v4
	;;#ASMEND
	;; [unrolled: 3-line block ×4, first 2 shown]
	global_load_ushort v1, v[1:2], off
	v_and_b32_e32 v2, 0x60, v60
	v_add_u32_e32 v76, 32, v2
	v_cmp_lt_i32_e64 s[10:11], v77, v76
	v_max_f32_e32 v5, v3, v3
	v_cndmask_b32_e64 v2, v60, v77, s[10:11]
	v_lshlrev_b32_e32 v2, 2, v2
	v_cmp_lt_i32_e64 s[10:11], v78, v76
	s_waitcnt vmcnt(0)
	s_barrier
	v_cvt_f32_f16_e32 v1, v1
	v_add_f32_e32 v1, v4, v1
	v_add_f32_e32 v4, 0x40051340, v1
	v_max_f32_e32 v4, v5, v4
	ds_bpermute_b32 v2, v2, v4
	v_cndmask_b32_e64 v5, v60, v78, s[10:11]
	v_lshlrev_b32_e32 v5, 2, v5
	v_cmp_lt_i32_e64 s[10:11], v79, v76
	s_waitcnt lgkmcnt(0)
	v_max_f32_e32 v2, v2, v2
	v_max_f32_e32 v2, v4, v2
	ds_bpermute_b32 v4, v5, v2
	v_cndmask_b32_e64 v5, v60, v79, s[10:11]
	v_lshlrev_b32_e32 v5, 2, v5
	v_cmp_lt_i32_e64 s[10:11], v80, v76
	s_waitcnt lgkmcnt(0)
	v_max_f32_e32 v4, v4, v4
	;; [unrolled: 7-line block ×3, first 2 shown]
	v_max_f32_e32 v2, v2, v4
	ds_bpermute_b32 v4, v5, v2
	v_cndmask_b32_e64 v5, v60, v81, s[10:11]
	v_lshlrev_b32_e32 v5, 2, v5
	s_mul_hi_i32 s11, s38, s39
	s_mul_i32 s10, s38, s39
	s_waitcnt lgkmcnt(0)
	v_max_f32_e32 v4, v4, v4
	v_max_f32_e32 v2, v2, v4
	ds_bpermute_b32 v4, v5, v2
	s_lshl_b64 s[12:13], s[10:11], 2
	s_add_u32 s16, s43, s12
	s_addc_u32 s17, s44, s13
	s_waitcnt lgkmcnt(0)
	v_max_f32_e32 v4, v4, v4
	v_max_f32_e32 v54, v2, v4
	v_sub_f32_e32 v1, v1, v54
	v_mul_f32_e32 v2, 0x3fb8aa3b, v1
	v_fma_f32 v4, v1, s28, -v2
	v_rndne_f32_e32 v5, v2
	v_fmac_f32_e32 v4, 0x32a5705f, v1
	v_sub_f32_e32 v2, v2, v5
	v_add_f32_e32 v2, v2, v4
	v_cvt_i32_f32_e32 v5, v5
	v_exp_f32_e32 v2, v2
	v_cmp_ngt_f32_e64 s[10:11], s29, v1
	v_ldexp_f32 v2, v2, v5
	v_cndmask_b32_e64 v2, 0, v2, s[10:11]
	v_cmp_nlt_f32_e64 s[10:11], s45, v1
	v_cndmask_b32_e64 v82, v74, v2, s[10:11]
	v_cvt_f16_f32_e32 v1, v82
	ds_write_b16 v67, v1
	s_and_saveexec_b64 s[12:13], s[14:15]
	s_cbranch_execz .LBB30_28
; %bb.27:                               ;   in Loop: Header=BB30_18 Depth=1
	v_mov_b32_e32 v1, s17
	v_add_co_u32_e64 v2, s[10:11], s16, v48
	v_addc_co_u32_e64 v4, s[10:11], v1, v49, s[10:11]
	v_add_co_u32_e64 v1, s[10:11], v2, v73
	v_addc_co_u32_e64 v2, s[10:11], 0, v4, s[10:11]
	global_load_dwordx4 v[4:7], v[1:2], off offset:192
	s_waitcnt vmcnt(0)
	ds_write_b128 v68, v[4:7]
.LBB30_28:                              ;   in Loop: Header=BB30_18 Depth=1
	s_or_b64 exec, exec, s[12:13]
	s_and_saveexec_b64 s[12:13], s[8:9]
	s_cbranch_execz .LBB30_30
; %bb.29:                               ;   in Loop: Header=BB30_18 Depth=1
	v_mov_b32_e32 v1, s17
	v_add_co_u32_e64 v2, s[10:11], s16, v50
	v_addc_co_u32_e64 v4, s[10:11], v1, v51, s[10:11]
	v_add_co_u32_e64 v1, s[10:11], v2, v71
	v_addc_co_u32_e64 v2, s[10:11], 0, v4, s[10:11]
	global_load_dwordx4 v[4:7], v[1:2], off offset:128
	s_waitcnt vmcnt(0)
	ds_write_b128 v69, v[4:7]
.LBB30_30:                              ;   in Loop: Header=BB30_18 Depth=1
	s_or_b64 exec, exec, s[12:13]
	v_mov_b32_e32 v1, s17
	v_add_co_u32_e64 v2, s[10:11], s16, v52
	v_addc_co_u32_e64 v4, s[10:11], v1, v53, s[10:11]
	v_add_co_u32_e64 v1, s[10:11], v2, v72
	v_addc_co_u32_e64 v2, s[10:11], 0, v4, s[10:11]
	global_load_dwordx4 v[4:7], v[1:2], off
	v_sub_f32_e32 v84, v3, v54
	v_add_u32_e32 v83, 0x800, v58
	s_or_b32 s16, s38, 16
	s_mul_hi_i32 s17, s16, s39
	s_mul_i32 s16, s16, s39
	s_lshl_b64 s[16:17], s[16:17], 2
	s_add_u32 s47, s43, s16
	v_cmp_ngt_f32_e64 s[10:11], s29, v84
	v_cmp_nlt_f32_e64 s[12:13], s45, v84
	s_addc_u32 s48, s44, s17
	s_waitcnt vmcnt(0)
	ds_write_b128 v70, v[4:7]
	s_waitcnt lgkmcnt(0)
	s_barrier
	ds_read2_b64 v[29:32], v58 offset1:28
	ds_read_b128 v[37:40], v66
	ds_read_b128 v[33:36], v66 offset:16
	ds_read2_b64 v[25:28], v58 offset0:56 offset1:84
	ds_read2_b64 v[21:24], v58 offset0:112 offset1:140
	;; [unrolled: 1-line block ×7, first 2 shown]
	s_waitcnt lgkmcnt(0)
	s_barrier
	s_and_saveexec_b64 s[22:23], s[14:15]
	s_cbranch_execz .LBB30_32
; %bb.31:                               ;   in Loop: Header=BB30_18 Depth=1
	v_mov_b32_e32 v85, s48
	v_add_co_u32_e64 v86, s[16:17], s47, v48
	v_addc_co_u32_e64 v87, s[16:17], v85, v49, s[16:17]
	v_add_co_u32_e64 v85, s[16:17], v86, v73
	v_addc_co_u32_e64 v86, s[16:17], 0, v87, s[16:17]
	global_load_dwordx4 v[85:88], v[85:86], off offset:192
	s_waitcnt vmcnt(0)
	ds_write_b128 v68, v[85:88]
.LBB30_32:                              ;   in Loop: Header=BB30_18 Depth=1
	s_or_b64 exec, exec, s[22:23]
	s_and_saveexec_b64 s[22:23], s[8:9]
	s_cbranch_execz .LBB30_34
; %bb.33:                               ;   in Loop: Header=BB30_18 Depth=1
	v_mov_b32_e32 v85, s48
	v_add_co_u32_e64 v86, s[16:17], s47, v50
	v_addc_co_u32_e64 v87, s[16:17], v85, v51, s[16:17]
	v_add_co_u32_e64 v85, s[16:17], v86, v71
	v_addc_co_u32_e64 v86, s[16:17], 0, v87, s[16:17]
	global_load_dwordx4 v[85:88], v[85:86], off offset:128
	s_waitcnt vmcnt(0)
	ds_write_b128 v69, v[85:88]
.LBB30_34:                              ;   in Loop: Header=BB30_18 Depth=1
	s_or_b64 exec, exec, s[22:23]
	v_mov_b32_e32 v85, s48
	v_add_co_u32_e64 v86, s[16:17], s47, v52
	v_addc_co_u32_e64 v87, s[16:17], v85, v53, s[16:17]
	v_add_co_u32_e64 v85, s[16:17], v86, v72
	v_addc_co_u32_e64 v86, s[16:17], 0, v87, s[16:17]
	global_load_dwordx4 v[85:88], v[85:86], off
	v_mul_f32_e32 v89, 0x3fb8aa3b, v84
	v_fma_f32 v97, v84, s28, -v89
	v_rndne_f32_e32 v98, v89
	v_fmac_f32_e32 v97, 0x32a5705f, v84
	v_sub_f32_e32 v84, v89, v98
	v_add_f32_e32 v84, v84, v97
	v_cvt_i32_f32_e32 v89, v98
	v_exp_f32_e32 v84, v84
	v_mul_u32_u24_sdwa v90, v37, s46 dst_sel:DWORD dst_unused:UNUSED_PAD src0_sel:WORD_0 src1_sel:DWORD
	v_pk_mul_f16 v29, v29, v90
	v_pk_mul_f16 v30, v30, v90
	v_ldexp_f32 v84, v84, v89
	v_cndmask_b32_e64 v84, 0, v84, s[10:11]
	v_cndmask_b32_e64 v84, v74, v84, s[12:13]
	v_cvt_f16_f32_e32 v89, v84
	v_fmac_f32_e32 v82, v75, v84
	v_mul_u32_u24_sdwa v37, v37, s46 dst_sel:DWORD dst_unused:UNUSED_PAD src0_sel:WORD_1 src1_sel:DWORD
	v_mul_u32_u24_sdwa v91, v38, s46 dst_sel:DWORD dst_unused:UNUSED_PAD src0_sel:WORD_0 src1_sel:DWORD
	v_mul_u32_u24_e32 v75, 0x10001, v89
	v_pk_fma_f16 v29, v59, v75, v29
	v_pk_fma_f16 v30, v61, v75, v30
	;; [unrolled: 1-line block ×4, first 2 shown]
	v_mul_u32_u24_sdwa v38, v38, s46 dst_sel:DWORD dst_unused:UNUSED_PAD src0_sel:WORD_1 src1_sel:DWORD
	v_pk_fma_f16 v25, v25, v91, v29
	v_pk_fma_f16 v26, v26, v91, v30
	v_mul_u32_u24_sdwa v92, v39, s46 dst_sel:DWORD dst_unused:UNUSED_PAD src0_sel:WORD_0 src1_sel:DWORD
	v_pk_fma_f16 v25, v27, v38, v25
	v_pk_fma_f16 v26, v28, v38, v26
	v_mul_u32_u24_sdwa v39, v39, s46 dst_sel:DWORD dst_unused:UNUSED_PAD src0_sel:WORD_1 src1_sel:DWORD
	v_pk_fma_f16 v21, v21, v92, v25
	v_pk_fma_f16 v22, v22, v92, v26
	v_mul_u32_u24_sdwa v93, v40, s46 dst_sel:DWORD dst_unused:UNUSED_PAD src0_sel:WORD_0 src1_sel:DWORD
	v_pk_fma_f16 v21, v23, v39, v21
	v_pk_fma_f16 v22, v24, v39, v22
	;; [unrolled: 6-line block ×6, first 2 shown]
	v_mul_u32_u24_sdwa v36, v36, s46 dst_sel:DWORD dst_unused:UNUSED_PAD src0_sel:WORD_1 src1_sel:DWORD
	v_pk_fma_f16 v1, v1, v97, v5
	v_pk_fma_f16 v2, v2, v97, v6
	;; [unrolled: 1-line block ×4, first 2 shown]
	s_waitcnt vmcnt(0)
	ds_write_b128 v70, v[85:88]
	s_waitcnt lgkmcnt(0)
	s_barrier
	ds_read_b128 v[1:4], v66 offset:32
	ds_read2_b64 v[5:8], v58 offset1:28
	ds_read_b128 v[9:12], v66 offset:48
	ds_read2_b64 v[13:16], v58 offset0:56 offset1:84
	ds_read2_b64 v[17:20], v58 offset0:112 offset1:140
	s_waitcnt lgkmcnt(4)
	v_mul_u32_u24_sdwa v23, v1, s46 dst_sel:DWORD dst_unused:UNUSED_PAD src0_sel:WORD_0 src1_sel:DWORD
	v_mul_u32_u24_sdwa v1, v1, s46 dst_sel:DWORD dst_unused:UNUSED_PAD src0_sel:WORD_1 src1_sel:DWORD
	s_waitcnt lgkmcnt(3)
	v_pk_fma_f16 v5, v5, v23, v21
	v_pk_fma_f16 v6, v6, v23, v22
	v_mul_u32_u24_sdwa v24, v2, s46 dst_sel:DWORD dst_unused:UNUSED_PAD src0_sel:WORD_0 src1_sel:DWORD
	v_pk_fma_f16 v5, v7, v1, v5
	v_pk_fma_f16 v1, v8, v1, v6
	s_waitcnt lgkmcnt(1)
	v_pk_fma_f16 v5, v13, v24, v5
	v_pk_fma_f16 v1, v14, v24, v1
	v_mul_u32_u24_sdwa v2, v2, s46 dst_sel:DWORD dst_unused:UNUSED_PAD src0_sel:WORD_1 src1_sel:DWORD
	v_pk_fma_f16 v5, v15, v2, v5
	v_pk_fma_f16 v1, v16, v2, v1
	v_mul_u32_u24_sdwa v2, v3, s46 dst_sel:DWORD dst_unused:UNUSED_PAD src0_sel:WORD_0 src1_sel:DWORD
	s_waitcnt lgkmcnt(0)
	v_pk_fma_f16 v13, v17, v2, v5
	ds_read2_b64 v[5:8], v58 offset0:168 offset1:196
	v_pk_fma_f16 v1, v18, v2, v1
	v_mul_u32_u24_sdwa v2, v3, s46 dst_sel:DWORD dst_unused:UNUSED_PAD src0_sel:WORD_1 src1_sel:DWORD
	v_pk_fma_f16 v3, v19, v2, v13
	ds_read2_b64 v[13:16], v58 offset0:224 offset1:252
	v_pk_fma_f16 v1, v20, v2, v1
	v_mul_u32_u24_sdwa v2, v4, s46 dst_sel:DWORD dst_unused:UNUSED_PAD src0_sel:WORD_0 src1_sel:DWORD
	s_waitcnt lgkmcnt(1)
	v_pk_fma_f16 v3, v5, v2, v3
	v_pk_fma_f16 v1, v6, v2, v1
	v_mul_u32_u24_sdwa v2, v4, s46 dst_sel:DWORD dst_unused:UNUSED_PAD src0_sel:WORD_1 src1_sel:DWORD
	v_pk_fma_f16 v3, v7, v2, v3
	v_pk_fma_f16 v1, v8, v2, v1
	v_mul_u32_u24_sdwa v2, v9, s46 dst_sel:DWORD dst_unused:UNUSED_PAD src0_sel:WORD_0 src1_sel:DWORD
	s_waitcnt lgkmcnt(0)
	v_pk_fma_f16 v5, v13, v2, v3
	v_pk_fma_f16 v6, v14, v2, v1
	ds_read2_b64 v[1:4], v83 offset0:24 offset1:52
	v_mul_u32_u24_sdwa v7, v9, s46 dst_sel:DWORD dst_unused:UNUSED_PAD src0_sel:WORD_1 src1_sel:DWORD
	v_pk_fma_f16 v5, v15, v7, v5
	v_pk_fma_f16 v6, v16, v7, v6
	v_mul_u32_u24_sdwa v7, v10, s46 dst_sel:DWORD dst_unused:UNUSED_PAD src0_sel:WORD_0 src1_sel:DWORD
	s_waitcnt lgkmcnt(0)
	v_pk_fma_f16 v1, v1, v7, v5
	v_pk_fma_f16 v2, v2, v7, v6
	ds_read2_b64 v[5:8], v83 offset0:80 offset1:108
	v_mul_u32_u24_sdwa v9, v10, s46 dst_sel:DWORD dst_unused:UNUSED_PAD src0_sel:WORD_1 src1_sel:DWORD
	v_pk_fma_f16 v1, v3, v9, v1
	v_pk_fma_f16 v2, v4, v9, v2
	v_mul_u32_u24_sdwa v3, v11, s46 dst_sel:DWORD dst_unused:UNUSED_PAD src0_sel:WORD_0 src1_sel:DWORD
	s_waitcnt lgkmcnt(0)
	v_pk_fma_f16 v1, v5, v3, v1
	v_pk_fma_f16 v2, v6, v3, v2
	v_mul_u32_u24_sdwa v3, v11, s46 dst_sel:DWORD dst_unused:UNUSED_PAD src0_sel:WORD_1 src1_sel:DWORD
	v_pk_fma_f16 v5, v7, v3, v1
	v_pk_fma_f16 v6, v8, v3, v2
	ds_read2_b64 v[1:4], v83 offset0:136 offset1:164
	s_waitcnt lgkmcnt(0)
	s_barrier
	s_load_dword s10, s[18:19], 0x4
	v_mul_u32_u24_sdwa v7, v12, s46 dst_sel:DWORD dst_unused:UNUSED_PAD src0_sel:WORD_0 src1_sel:DWORD
	v_pk_fma_f16 v1, v1, v7, v5
	v_pk_fma_f16 v2, v2, v7, v6
	v_mul_u32_u24_sdwa v5, v12, s46 dst_sel:DWORD dst_unused:UNUSED_PAD src0_sel:WORD_1 src1_sel:DWORD
	s_waitcnt lgkmcnt(0)
	s_lshl_b32 s10, s10, 5
	s_add_i32 s38, s10, s38
	v_pk_fma_f16 v59, v3, v5, v1
	s_cmp_ge_i32 s38, s34
	v_pk_fma_f16 v61, v4, v5, v2
	s_cbranch_scc1 .LBB30_9
; %bb.35:                               ;   in Loop: Header=BB30_18 Depth=1
	v_mov_b32_e32 v3, v54
	v_mov_b32_e32 v75, v82
	s_branch .LBB30_18
	.section	.rodata,"a",@progbits
	.p2align	6, 0x0
	.amdhsa_kernel _ZL15flash_attn_tileILi112ELi112ELi1ELi4ELb0EEvPKcS1_S1_S1_S1_PKiPfP15HIP_vector_typeIfLj2EEffffjfiS5_IjLj3EEiiiiiiiiiiiliiliiiiil
		.amdhsa_group_segment_fixed_size 5312
		.amdhsa_private_segment_fixed_size 0
		.amdhsa_kernarg_size 464
		.amdhsa_user_sgpr_count 6
		.amdhsa_user_sgpr_private_segment_buffer 1
		.amdhsa_user_sgpr_dispatch_ptr 0
		.amdhsa_user_sgpr_queue_ptr 0
		.amdhsa_user_sgpr_kernarg_segment_ptr 1
		.amdhsa_user_sgpr_dispatch_id 0
		.amdhsa_user_sgpr_flat_scratch_init 0
		.amdhsa_user_sgpr_private_segment_size 0
		.amdhsa_uses_dynamic_stack 0
		.amdhsa_system_sgpr_private_segment_wavefront_offset 0
		.amdhsa_system_sgpr_workgroup_id_x 1
		.amdhsa_system_sgpr_workgroup_id_y 1
		.amdhsa_system_sgpr_workgroup_id_z 1
		.amdhsa_system_sgpr_workgroup_info 0
		.amdhsa_system_vgpr_workitem_id 1
		.amdhsa_next_free_vgpr 99
		.amdhsa_next_free_sgpr 93
		.amdhsa_reserve_vcc 1
		.amdhsa_reserve_flat_scratch 0
		.amdhsa_float_round_mode_32 0
		.amdhsa_float_round_mode_16_64 0
		.amdhsa_float_denorm_mode_32 3
		.amdhsa_float_denorm_mode_16_64 3
		.amdhsa_dx10_clamp 1
		.amdhsa_ieee_mode 1
		.amdhsa_fp16_overflow 0
		.amdhsa_exception_fp_ieee_invalid_op 0
		.amdhsa_exception_fp_denorm_src 0
		.amdhsa_exception_fp_ieee_div_zero 0
		.amdhsa_exception_fp_ieee_overflow 0
		.amdhsa_exception_fp_ieee_underflow 0
		.amdhsa_exception_fp_ieee_inexact 0
		.amdhsa_exception_int_div_zero 0
	.end_amdhsa_kernel
	.section	.text._ZL15flash_attn_tileILi112ELi112ELi1ELi4ELb0EEvPKcS1_S1_S1_S1_PKiPfP15HIP_vector_typeIfLj2EEffffjfiS5_IjLj3EEiiiiiiiiiiiliiliiiiil,"axG",@progbits,_ZL15flash_attn_tileILi112ELi112ELi1ELi4ELb0EEvPKcS1_S1_S1_S1_PKiPfP15HIP_vector_typeIfLj2EEffffjfiS5_IjLj3EEiiiiiiiiiiiliiliiiiil,comdat
.Lfunc_end30:
	.size	_ZL15flash_attn_tileILi112ELi112ELi1ELi4ELb0EEvPKcS1_S1_S1_S1_PKiPfP15HIP_vector_typeIfLj2EEffffjfiS5_IjLj3EEiiiiiiiiiiiliiliiiiil, .Lfunc_end30-_ZL15flash_attn_tileILi112ELi112ELi1ELi4ELb0EEvPKcS1_S1_S1_S1_PKiPfP15HIP_vector_typeIfLj2EEffffjfiS5_IjLj3EEiiiiiiiiiiiliiliiiiil
                                        ; -- End function
	.set _ZL15flash_attn_tileILi112ELi112ELi1ELi4ELb0EEvPKcS1_S1_S1_S1_PKiPfP15HIP_vector_typeIfLj2EEffffjfiS5_IjLj3EEiiiiiiiiiiiliiliiiiil.num_vgpr, 99
	.set _ZL15flash_attn_tileILi112ELi112ELi1ELi4ELb0EEvPKcS1_S1_S1_S1_PKiPfP15HIP_vector_typeIfLj2EEffffjfiS5_IjLj3EEiiiiiiiiiiiliiliiiiil.num_agpr, 0
	.set _ZL15flash_attn_tileILi112ELi112ELi1ELi4ELb0EEvPKcS1_S1_S1_S1_PKiPfP15HIP_vector_typeIfLj2EEffffjfiS5_IjLj3EEiiiiiiiiiiiliiliiiiil.numbered_sgpr, 49
	.set _ZL15flash_attn_tileILi112ELi112ELi1ELi4ELb0EEvPKcS1_S1_S1_S1_PKiPfP15HIP_vector_typeIfLj2EEffffjfiS5_IjLj3EEiiiiiiiiiiiliiliiiiil.num_named_barrier, 0
	.set _ZL15flash_attn_tileILi112ELi112ELi1ELi4ELb0EEvPKcS1_S1_S1_S1_PKiPfP15HIP_vector_typeIfLj2EEffffjfiS5_IjLj3EEiiiiiiiiiiiliiliiiiil.private_seg_size, 0
	.set _ZL15flash_attn_tileILi112ELi112ELi1ELi4ELb0EEvPKcS1_S1_S1_S1_PKiPfP15HIP_vector_typeIfLj2EEffffjfiS5_IjLj3EEiiiiiiiiiiiliiliiiiil.uses_vcc, 1
	.set _ZL15flash_attn_tileILi112ELi112ELi1ELi4ELb0EEvPKcS1_S1_S1_S1_PKiPfP15HIP_vector_typeIfLj2EEffffjfiS5_IjLj3EEiiiiiiiiiiiliiliiiiil.uses_flat_scratch, 0
	.set _ZL15flash_attn_tileILi112ELi112ELi1ELi4ELb0EEvPKcS1_S1_S1_S1_PKiPfP15HIP_vector_typeIfLj2EEffffjfiS5_IjLj3EEiiiiiiiiiiiliiliiiiil.has_dyn_sized_stack, 0
	.set _ZL15flash_attn_tileILi112ELi112ELi1ELi4ELb0EEvPKcS1_S1_S1_S1_PKiPfP15HIP_vector_typeIfLj2EEffffjfiS5_IjLj3EEiiiiiiiiiiiliiliiiiil.has_recursion, 0
	.set _ZL15flash_attn_tileILi112ELi112ELi1ELi4ELb0EEvPKcS1_S1_S1_S1_PKiPfP15HIP_vector_typeIfLj2EEffffjfiS5_IjLj3EEiiiiiiiiiiiliiliiiiil.has_indirect_call, 0
	.section	.AMDGPU.csdata,"",@progbits
; Kernel info:
; codeLenInByte = 5436
; TotalNumSgprs: 53
; NumVgprs: 99
; ScratchSize: 0
; MemoryBound: 0
; FloatMode: 240
; IeeeMode: 1
; LDSByteSize: 5312 bytes/workgroup (compile time only)
; SGPRBlocks: 12
; VGPRBlocks: 24
; NumSGPRsForWavesPerEU: 97
; NumVGPRsForWavesPerEU: 99
; Occupancy: 2
; WaveLimiterHint : 1
; COMPUTE_PGM_RSRC2:SCRATCH_EN: 0
; COMPUTE_PGM_RSRC2:USER_SGPR: 6
; COMPUTE_PGM_RSRC2:TRAP_HANDLER: 0
; COMPUTE_PGM_RSRC2:TGID_X_EN: 1
; COMPUTE_PGM_RSRC2:TGID_Y_EN: 1
; COMPUTE_PGM_RSRC2:TGID_Z_EN: 1
; COMPUTE_PGM_RSRC2:TIDIG_COMP_CNT: 1
	.section	.text._ZL33flash_attn_stream_k_fixup_uniformILi112ELi1ELi4EEvPfPK15HIP_vector_typeIfLj2EEiiiiiiS1_IjLj3EES5_S5_,"axG",@progbits,_ZL33flash_attn_stream_k_fixup_uniformILi112ELi1ELi4EEvPfPK15HIP_vector_typeIfLj2EEiiiiiiS1_IjLj3EES5_S5_,comdat
	.globl	_ZL33flash_attn_stream_k_fixup_uniformILi112ELi1ELi4EEvPfPK15HIP_vector_typeIfLj2EEiiiiiiS1_IjLj3EES5_S5_ ; -- Begin function _ZL33flash_attn_stream_k_fixup_uniformILi112ELi1ELi4EEvPfPK15HIP_vector_typeIfLj2EEiiiiiiS1_IjLj3EES5_S5_
	.p2align	8
	.type	_ZL33flash_attn_stream_k_fixup_uniformILi112ELi1ELi4EEvPfPK15HIP_vector_typeIfLj2EEiiiiiiS1_IjLj3EES5_S5_,@function
_ZL33flash_attn_stream_k_fixup_uniformILi112ELi1ELi4EEvPfPK15HIP_vector_typeIfLj2EEiiiiiiS1_IjLj3EES5_S5_: ; @_ZL33flash_attn_stream_k_fixup_uniformILi112ELi1ELi4EEvPfPK15HIP_vector_typeIfLj2EEiiiiiiS1_IjLj3EES5_S5_
; %bb.0:
	s_load_dwordx8 s[12:19], s[4:5], 0x1c
	s_load_dwordx2 s[10:11], s[4:5], 0x10
	s_load_dwordx4 s[0:3], s[4:5], 0x3c
	s_waitcnt lgkmcnt(0)
	s_mul_hi_u32 s9, s15, s6
	s_add_i32 s9, s6, s9
	s_lshr_b32 s9, s9, s16
	s_mul_i32 s15, s9, s17
	s_sub_i32 s16, s6, s15
	s_mul_hi_u32 s15, s16, s18
	s_add_i32 s15, s16, s15
	s_lshr_b32 s15, s15, s19
	s_mul_i32 s0, s15, s0
	s_sub_i32 s0, s16, s0
	s_mul_hi_u32 s1, s0, s1
	s_add_i32 s1, s0, s1
	s_lshr_b32 s1, s1, s2
	s_mul_i32 s2, s1, s3
	s_sub_i32 s16, s0, s2
	s_lshl_b32 s17, s1, 2
	s_add_i32 s16, s16, s7
	s_cmp_lt_i32 s16, s10
	s_cselect_b64 s[0:1], -1, 0
	s_add_i32 s17, s17, s8
	s_cmp_lt_i32 s17, s13
	s_cselect_b64 s[2:3], -1, 0
	s_and_b64 s[0:1], s[0:1], s[2:3]
	s_andn2_b64 vcc, exec, s[0:1]
	s_cbranch_vccnz .LBB31_6
; %bb.1:
	s_mul_i32 s9, s9, s10
	s_load_dwordx4 s[0:3], s[4:5], 0x0
	s_mul_i32 s15, s15, s13
	s_add_i32 s4, s16, s9
	s_mul_i32 s4, s4, s11
	s_add_i32 s5, s17, s15
	s_add_i32 s4, s5, s4
	s_mulk_i32 s4, 0x70
	v_add_u32_e32 v1, s4, v0
	v_ashrrev_i32_e32 v2, 31, v1
	v_lshlrev_b64 v[1:2], 2, v[1:2]
	s_waitcnt lgkmcnt(0)
	v_mov_b32_e32 v3, s1
	v_add_co_u32_e32 v1, vcc, s0, v1
	v_addc_co_u32_e32 v2, vcc, v3, v2, vcc
	global_load_dword v8, v[1:2], off
	s_mul_i32 s9, s14, s6
	s_add_i32 s4, s9, s14
	s_add_i32 s0, s7, s4
	s_lshl_b32 s0, s0, 2
	s_add_i32 s0, s0, s8
	s_add_i32 s0, s0, -4
	s_ashr_i32 s1, s0, 31
	s_lshl_b64 s[0:1], s[0:1], 3
	s_add_u32 s0, s2, s0
	s_addc_u32 s1, s3, s1
	s_load_dword s5, s[0:1], 0x4
	s_add_i32 s10, s4, -2
	s_cmp_lt_i32 s10, s9
	s_cbranch_scc1 .LBB31_4
; %bb.2:
	s_lshl_b32 s10, s12, 4
	s_ashr_i32 s11, s10, 31
	s_lshl_b64 s[10:11], s[10:11], 2
	s_add_u32 s10, s2, s10
	s_addc_u32 s13, s3, s11
	s_add_i32 s6, s6, 1
	s_load_dword s0, s[0:1], 0x0
	s_mul_i32 s1, s14, s6
	s_mul_i32 s6, s7, 0x1c0
	;; [unrolled: 1-line block ×3, first 2 shown]
	s_mulk_i32 s1, 0x1c0
	s_add_i32 s6, s14, s6
	s_add_i32 s6, s6, s1
	;; [unrolled: 1-line block ×4, first 2 shown]
	s_lshl_b32 s1, s1, 2
	v_add_u32_e32 v0, s6, v0
	s_add_i32 s1, s8, s1
	s_add_i32 s11, s4, -1
	v_add_u32_e32 v3, 0xfffffc80, v0
	s_add_i32 s4, s1, -8
	s_waitcnt lgkmcnt(0)
	v_mov_b32_e32 v7, s5
	v_mov_b32_e32 v6, s0
	;; [unrolled: 1-line block ×3, first 2 shown]
	s_mov_b32 s6, 0x3fb8aa3b
	s_mov_b32 s7, 0xc2ce8ed0
	;; [unrolled: 1-line block ×3, first 2 shown]
	v_mov_b32_e32 v5, 0x7f800000
	s_mov_b32 s12, 0xc1a00000
.LBB31_3:                               ; =>This Inner Loop Header: Depth=1
	v_ashrrev_i32_e32 v4, 31, v3
	v_lshlrev_b64 v[9:10], 2, v[3:4]
	s_ashr_i32 s5, s4, 31
	v_add_co_u32_e32 v9, vcc, s10, v9
	v_addc_co_u32_e32 v10, vcc, v0, v10, vcc
	global_load_dword v4, v[9:10], off
	s_lshl_b64 s[0:1], s[4:5], 3
	s_add_u32 s0, s2, s0
	s_addc_u32 s1, s3, s1
	s_load_dwordx2 s[14:15], s[0:1], 0x0
	s_waitcnt vmcnt(1)
	v_mov_b32_e32 v9, v8
	v_max_f32_e32 v8, v6, v6
	v_mov_b32_e32 v10, v7
	s_add_i32 s11, s11, -1
	s_waitcnt lgkmcnt(0)
	v_max_f32_e64 v7, s14, s14
	v_max_f32_e32 v7, v8, v7
	v_sub_f32_e32 v11, s14, v7
	v_sub_f32_e32 v8, v6, v7
	v_mul_f32_e32 v12, 0x3fb8aa3b, v11
	v_mov_b32_e32 v6, v7
	v_mul_f32_e32 v7, 0x3fb8aa3b, v8
	v_fma_f32 v15, v11, s6, -v12
	v_rndne_f32_e32 v16, v12
	v_fma_f32 v13, v8, s6, -v7
	v_rndne_f32_e32 v14, v7
	v_fmac_f32_e32 v15, 0x32a5705f, v11
	v_sub_f32_e32 v12, v12, v16
	v_fmac_f32_e32 v13, 0x32a5705f, v8
	v_sub_f32_e32 v7, v7, v14
	v_add_f32_e32 v12, v12, v15
	v_cvt_i32_f32_e32 v16, v16
	v_add_f32_e32 v7, v7, v13
	v_exp_f32_e32 v12, v12
	v_cvt_i32_f32_e32 v14, v14
	v_exp_f32_e32 v7, v7
	v_cmp_ngt_f32_e32 vcc, s7, v11
	v_ldexp_f32 v12, v12, v16
	v_cmp_ngt_f32_e64 s[0:1], s7, v8
	v_ldexp_f32 v7, v7, v14
	v_cndmask_b32_e32 v12, 0, v12, vcc
	v_cmp_nlt_f32_e32 vcc, s8, v11
	v_cndmask_b32_e64 v7, 0, v7, s[0:1]
	v_cmp_nlt_f32_e64 s[0:1], s8, v8
	v_cndmask_b32_e32 v12, v5, v12, vcc
	v_cmp_le_f32_e32 vcc, s12, v11
	v_cndmask_b32_e64 v7, v5, v7, s[0:1]
	v_cmp_le_f32_e64 s[0:1], s12, v8
	v_cndmask_b32_e32 v8, 0, v12, vcc
	s_add_i32 s4, s4, -4
	v_cndmask_b32_e64 v11, 0, v7, s[0:1]
	v_mul_f32_e32 v7, s15, v8
	v_add_u32_e32 v3, 0xfffffe40, v3
	s_cmp_le_i32 s11, s9
	v_fmac_f32_e32 v7, v10, v11
	s_waitcnt vmcnt(0)
	v_mul_f32_e32 v8, v4, v8
	v_fmac_f32_e32 v8, v9, v11
	s_cbranch_scc0 .LBB31_3
	s_branch .LBB31_5
.LBB31_4:
	s_waitcnt lgkmcnt(0)
	v_mov_b32_e32 v7, s5
.LBB31_5:
	s_waitcnt vmcnt(0)
	v_div_scale_f32 v0, s[0:1], v7, v7, v8
	v_div_scale_f32 v3, vcc, v8, v7, v8
	v_rcp_f32_e32 v4, v0
	v_fma_f32 v5, -v0, v4, 1.0
	v_fmac_f32_e32 v4, v5, v4
	v_mul_f32_e32 v5, v3, v4
	v_fma_f32 v6, -v0, v5, v3
	v_fmac_f32_e32 v5, v6, v4
	v_fma_f32 v0, -v0, v5, v3
	v_div_fmas_f32 v0, v0, v4, v5
	v_div_fixup_f32 v0, v0, v7, v8
	global_store_dword v[1:2], v0, off
.LBB31_6:
	s_endpgm
	.section	.rodata,"a",@progbits
	.p2align	6, 0x0
	.amdhsa_kernel _ZL33flash_attn_stream_k_fixup_uniformILi112ELi1ELi4EEvPfPK15HIP_vector_typeIfLj2EEiiiiiiS1_IjLj3EES5_S5_
		.amdhsa_group_segment_fixed_size 0
		.amdhsa_private_segment_fixed_size 0
		.amdhsa_kernarg_size 76
		.amdhsa_user_sgpr_count 6
		.amdhsa_user_sgpr_private_segment_buffer 1
		.amdhsa_user_sgpr_dispatch_ptr 0
		.amdhsa_user_sgpr_queue_ptr 0
		.amdhsa_user_sgpr_kernarg_segment_ptr 1
		.amdhsa_user_sgpr_dispatch_id 0
		.amdhsa_user_sgpr_flat_scratch_init 0
		.amdhsa_user_sgpr_private_segment_size 0
		.amdhsa_uses_dynamic_stack 0
		.amdhsa_system_sgpr_private_segment_wavefront_offset 0
		.amdhsa_system_sgpr_workgroup_id_x 1
		.amdhsa_system_sgpr_workgroup_id_y 1
		.amdhsa_system_sgpr_workgroup_id_z 1
		.amdhsa_system_sgpr_workgroup_info 0
		.amdhsa_system_vgpr_workitem_id 0
		.amdhsa_next_free_vgpr 17
		.amdhsa_next_free_sgpr 20
		.amdhsa_reserve_vcc 1
		.amdhsa_reserve_flat_scratch 0
		.amdhsa_float_round_mode_32 0
		.amdhsa_float_round_mode_16_64 0
		.amdhsa_float_denorm_mode_32 3
		.amdhsa_float_denorm_mode_16_64 3
		.amdhsa_dx10_clamp 1
		.amdhsa_ieee_mode 1
		.amdhsa_fp16_overflow 0
		.amdhsa_exception_fp_ieee_invalid_op 0
		.amdhsa_exception_fp_denorm_src 0
		.amdhsa_exception_fp_ieee_div_zero 0
		.amdhsa_exception_fp_ieee_overflow 0
		.amdhsa_exception_fp_ieee_underflow 0
		.amdhsa_exception_fp_ieee_inexact 0
		.amdhsa_exception_int_div_zero 0
	.end_amdhsa_kernel
	.section	.text._ZL33flash_attn_stream_k_fixup_uniformILi112ELi1ELi4EEvPfPK15HIP_vector_typeIfLj2EEiiiiiiS1_IjLj3EES5_S5_,"axG",@progbits,_ZL33flash_attn_stream_k_fixup_uniformILi112ELi1ELi4EEvPfPK15HIP_vector_typeIfLj2EEiiiiiiS1_IjLj3EES5_S5_,comdat
.Lfunc_end31:
	.size	_ZL33flash_attn_stream_k_fixup_uniformILi112ELi1ELi4EEvPfPK15HIP_vector_typeIfLj2EEiiiiiiS1_IjLj3EES5_S5_, .Lfunc_end31-_ZL33flash_attn_stream_k_fixup_uniformILi112ELi1ELi4EEvPfPK15HIP_vector_typeIfLj2EEiiiiiiS1_IjLj3EES5_S5_
                                        ; -- End function
	.set _ZL33flash_attn_stream_k_fixup_uniformILi112ELi1ELi4EEvPfPK15HIP_vector_typeIfLj2EEiiiiiiS1_IjLj3EES5_S5_.num_vgpr, 17
	.set _ZL33flash_attn_stream_k_fixup_uniformILi112ELi1ELi4EEvPfPK15HIP_vector_typeIfLj2EEiiiiiiS1_IjLj3EES5_S5_.num_agpr, 0
	.set _ZL33flash_attn_stream_k_fixup_uniformILi112ELi1ELi4EEvPfPK15HIP_vector_typeIfLj2EEiiiiiiS1_IjLj3EES5_S5_.numbered_sgpr, 20
	.set _ZL33flash_attn_stream_k_fixup_uniformILi112ELi1ELi4EEvPfPK15HIP_vector_typeIfLj2EEiiiiiiS1_IjLj3EES5_S5_.num_named_barrier, 0
	.set _ZL33flash_attn_stream_k_fixup_uniformILi112ELi1ELi4EEvPfPK15HIP_vector_typeIfLj2EEiiiiiiS1_IjLj3EES5_S5_.private_seg_size, 0
	.set _ZL33flash_attn_stream_k_fixup_uniformILi112ELi1ELi4EEvPfPK15HIP_vector_typeIfLj2EEiiiiiiS1_IjLj3EES5_S5_.uses_vcc, 1
	.set _ZL33flash_attn_stream_k_fixup_uniformILi112ELi1ELi4EEvPfPK15HIP_vector_typeIfLj2EEiiiiiiS1_IjLj3EES5_S5_.uses_flat_scratch, 0
	.set _ZL33flash_attn_stream_k_fixup_uniformILi112ELi1ELi4EEvPfPK15HIP_vector_typeIfLj2EEiiiiiiS1_IjLj3EES5_S5_.has_dyn_sized_stack, 0
	.set _ZL33flash_attn_stream_k_fixup_uniformILi112ELi1ELi4EEvPfPK15HIP_vector_typeIfLj2EEiiiiiiS1_IjLj3EES5_S5_.has_recursion, 0
	.set _ZL33flash_attn_stream_k_fixup_uniformILi112ELi1ELi4EEvPfPK15HIP_vector_typeIfLj2EEiiiiiiS1_IjLj3EES5_S5_.has_indirect_call, 0
	.section	.AMDGPU.csdata,"",@progbits
; Kernel info:
; codeLenInByte = 836
; TotalNumSgprs: 24
; NumVgprs: 17
; ScratchSize: 0
; MemoryBound: 0
; FloatMode: 240
; IeeeMode: 1
; LDSByteSize: 0 bytes/workgroup (compile time only)
; SGPRBlocks: 2
; VGPRBlocks: 4
; NumSGPRsForWavesPerEU: 24
; NumVGPRsForWavesPerEU: 17
; Occupancy: 10
; WaveLimiterHint : 0
; COMPUTE_PGM_RSRC2:SCRATCH_EN: 0
; COMPUTE_PGM_RSRC2:USER_SGPR: 6
; COMPUTE_PGM_RSRC2:TRAP_HANDLER: 0
; COMPUTE_PGM_RSRC2:TGID_X_EN: 1
; COMPUTE_PGM_RSRC2:TGID_Y_EN: 1
; COMPUTE_PGM_RSRC2:TGID_Z_EN: 1
; COMPUTE_PGM_RSRC2:TIDIG_COMP_CNT: 0
	.section	.text._ZL33flash_attn_stream_k_fixup_generalILi112ELi1ELi4EEvPfPK15HIP_vector_typeIfLj2EEiiiiS1_IjLj3EES5_S5_S5_,"axG",@progbits,_ZL33flash_attn_stream_k_fixup_generalILi112ELi1ELi4EEvPfPK15HIP_vector_typeIfLj2EEiiiiS1_IjLj3EES5_S5_S5_,comdat
	.globl	_ZL33flash_attn_stream_k_fixup_generalILi112ELi1ELi4EEvPfPK15HIP_vector_typeIfLj2EEiiiiS1_IjLj3EES5_S5_S5_ ; -- Begin function _ZL33flash_attn_stream_k_fixup_generalILi112ELi1ELi4EEvPfPK15HIP_vector_typeIfLj2EEiiiiS1_IjLj3EES5_S5_S5_
	.p2align	8
	.type	_ZL33flash_attn_stream_k_fixup_generalILi112ELi1ELi4EEvPfPK15HIP_vector_typeIfLj2EEiiiiS1_IjLj3EES5_S5_S5_,@function
_ZL33flash_attn_stream_k_fixup_generalILi112ELi1ELi4EEvPfPK15HIP_vector_typeIfLj2EEiiiiS1_IjLj3EES5_S5_S5_: ; @_ZL33flash_attn_stream_k_fixup_generalILi112ELi1ELi4EEvPfPK15HIP_vector_typeIfLj2EEiiiiS1_IjLj3EES5_S5_S5_
; %bb.0:
	s_load_dwordx4 s[0:3], s[4:5], 0x10
	s_load_dword s9, s[4:5], 0x50
	s_mov_b32 s12, 0
	s_waitcnt lgkmcnt(0)
	s_mul_hi_i32 s13, s3, s6
	s_cmp_lg_u64 s[12:13], 0
	s_mul_i32 s18, s3, s6
	s_cbranch_scc0 .LBB32_20
; %bb.1:
	s_add_u32 s10, s9, 0
	s_addc_u32 s11, 0, 0
	s_xor_b64 s[10:11], s[10:11], 0
	v_cvt_f32_u32_e32 v1, s10
	v_cvt_f32_u32_e32 v2, s11
	s_sub_u32 s12, 0, s10
	s_subb_u32 s19, 0, s11
	v_madmk_f32 v1, v2, 0x4f800000, v1
	v_rcp_f32_e32 v1, v1
	v_mul_f32_e32 v1, 0x5f7ffffc, v1
	v_mul_f32_e32 v2, 0x2f800000, v1
	v_trunc_f32_e32 v2, v2
	v_madmk_f32 v1, v2, 0xcf800000, v1
	v_cvt_u32_f32_e32 v2, v2
	v_cvt_u32_f32_e32 v1, v1
	v_readfirstlane_b32 s20, v2
	v_readfirstlane_b32 s14, v1
	s_mul_i32 s15, s12, s20
	s_mul_hi_u32 s22, s12, s14
	s_mul_i32 s21, s19, s14
	s_add_i32 s15, s22, s15
	s_add_i32 s15, s15, s21
	s_mul_i32 s23, s12, s14
	s_mul_i32 s22, s14, s15
	s_mul_hi_u32 s24, s14, s23
	s_mul_hi_u32 s21, s14, s15
	s_add_u32 s22, s24, s22
	s_addc_u32 s21, 0, s21
	s_mul_hi_u32 s25, s20, s23
	s_mul_i32 s23, s20, s23
	s_add_u32 s22, s22, s23
	s_mul_hi_u32 s24, s20, s15
	s_addc_u32 s21, s21, s25
	s_addc_u32 s22, s24, 0
	s_mul_i32 s15, s20, s15
	s_add_u32 s15, s21, s15
	s_addc_u32 s21, 0, s22
	s_add_u32 s22, s14, s15
	s_cselect_b64 s[14:15], -1, 0
	s_cmp_lg_u64 s[14:15], 0
	s_addc_u32 s20, s20, s21
	s_mul_i32 s14, s12, s20
	s_mul_hi_u32 s15, s12, s22
	s_add_i32 s14, s15, s14
	s_mul_i32 s19, s19, s22
	s_add_i32 s14, s14, s19
	s_mul_i32 s12, s12, s22
	s_mul_hi_u32 s19, s20, s12
	s_mul_i32 s21, s20, s12
	s_mul_i32 s24, s22, s14
	s_mul_hi_u32 s12, s22, s12
	s_mul_hi_u32 s23, s22, s14
	s_add_u32 s12, s12, s24
	s_addc_u32 s23, 0, s23
	s_add_u32 s12, s12, s21
	s_mul_hi_u32 s15, s20, s14
	s_addc_u32 s12, s23, s19
	s_addc_u32 s15, s15, 0
	s_mul_i32 s14, s20, s14
	s_add_u32 s12, s12, s14
	s_addc_u32 s19, 0, s15
	s_add_u32 s21, s22, s12
	s_cselect_b64 s[14:15], -1, 0
	s_cmp_lg_u64 s[14:15], 0
	s_addc_u32 s19, s20, s19
	s_ashr_i32 s14, s13, 31
	s_add_u32 s12, s18, s14
	s_mov_b32 s15, s14
	s_addc_u32 s13, s13, s14
	s_xor_b64 s[12:13], s[12:13], s[14:15]
	s_mul_i32 s22, s12, s19
	s_mul_hi_u32 s23, s12, s21
	s_mul_hi_u32 s20, s12, s19
	s_add_u32 s22, s23, s22
	s_addc_u32 s20, 0, s20
	s_mul_hi_u32 s24, s13, s21
	s_mul_i32 s21, s13, s21
	s_add_u32 s21, s22, s21
	s_mul_hi_u32 s23, s13, s19
	s_addc_u32 s20, s20, s24
	s_addc_u32 s21, s23, 0
	s_mul_i32 s19, s13, s19
	s_add_u32 s19, s20, s19
	s_addc_u32 s24, 0, s21
	s_mul_i32 s20, s10, s24
	s_mul_hi_u32 s21, s10, s19
	s_add_i32 s20, s21, s20
	s_mul_i32 s21, s11, s19
	s_add_i32 s25, s20, s21
	s_sub_i32 s22, s13, s25
	s_mul_i32 s20, s10, s19
	s_sub_u32 s12, s12, s20
	s_cselect_b64 s[20:21], -1, 0
	s_cmp_lg_u64 s[20:21], 0
	s_subb_u32 s26, s22, s11
	s_sub_u32 s27, s12, s10
	s_cselect_b64 s[22:23], -1, 0
	s_cmp_lg_u64 s[22:23], 0
	s_subb_u32 s22, s26, 0
	s_cmp_ge_u32 s22, s11
	s_cselect_b32 s23, -1, 0
	s_cmp_ge_u32 s27, s10
	s_cselect_b32 s26, -1, 0
	s_cmp_eq_u32 s22, s11
	s_cselect_b32 s22, s26, s23
	s_add_u32 s23, s19, 1
	s_addc_u32 s26, s24, 0
	s_add_u32 s27, s19, 2
	s_addc_u32 s28, s24, 0
	s_cmp_lg_u32 s22, 0
	s_cselect_b32 s22, s27, s23
	s_cselect_b32 s23, s28, s26
	s_cmp_lg_u64 s[20:21], 0
	s_subb_u32 s13, s13, s25
	s_cmp_ge_u32 s13, s11
	s_cselect_b32 s20, -1, 0
	s_cmp_ge_u32 s12, s10
	s_cselect_b32 s10, -1, 0
	s_cmp_eq_u32 s13, s11
	s_cselect_b32 s10, s10, s20
	s_cmp_lg_u32 s10, 0
	s_cselect_b32 s11, s23, s24
	s_cselect_b32 s10, s22, s19
	s_xor_b64 s[12:13], s[14:15], 0
	s_xor_b64 s[10:11], s[10:11], s[12:13]
	s_sub_u32 s10, s10, s12
	s_load_dwordx4 s[12:15], s[4:5], 0x44
	s_cbranch_execnz .LBB32_3
.LBB32_2:
	v_cvt_f32_u32_e32 v1, s9
	s_sub_i32 s10, 0, s9
	v_rcp_iflag_f32_e32 v1, v1
	v_mul_f32_e32 v1, 0x4f7ffffe, v1
	v_cvt_u32_f32_e32 v1, v1
	v_readfirstlane_b32 s11, v1
	s_mul_i32 s10, s10, s11
	s_mul_hi_u32 s10, s11, s10
	s_add_i32 s11, s11, s10
	s_mul_hi_u32 s10, s18, s11
	s_waitcnt lgkmcnt(0)
	s_mul_i32 s15, s10, s9
	s_sub_i32 s15, s18, s15
	s_add_i32 s11, s10, 1
	s_sub_i32 s16, s15, s9
	s_cmp_ge_u32 s15, s9
	s_cselect_b32 s10, s11, s10
	s_cselect_b32 s15, s16, s15
	s_add_i32 s11, s10, 1
	s_cmp_ge_u32 s15, s9
	s_cselect_b32 s10, s11, s10
.LBB32_3:
	s_add_i32 s11, s6, 1
	s_mul_hi_i32 s21, s3, s11
	s_mov_b32 s20, 0
	s_cmp_lg_u64 s[20:21], 0
	s_mul_i32 s11, s3, s11
	s_cbranch_scc0 .LBB32_21
; %bb.4:
	s_add_u32 s16, s9, 0
	s_addc_u32 s17, 0, 0
	s_xor_b64 s[18:19], s[16:17], 0
	v_cvt_f32_u32_e32 v1, s18
	v_cvt_f32_u32_e32 v2, s19
	s_waitcnt lgkmcnt(0)
	s_sub_u32 s15, 0, s18
	s_subb_u32 s20, 0, s19
	v_madmk_f32 v1, v2, 0x4f800000, v1
	v_rcp_f32_e32 v1, v1
	v_mul_f32_e32 v1, 0x5f7ffffc, v1
	v_mul_f32_e32 v2, 0x2f800000, v1
	v_trunc_f32_e32 v2, v2
	v_madmk_f32 v1, v2, 0xcf800000, v1
	v_cvt_u32_f32_e32 v2, v2
	v_cvt_u32_f32_e32 v1, v1
	v_readfirstlane_b32 s24, v2
	v_readfirstlane_b32 s22, v1
	s_mul_i32 s23, s15, s24
	s_mul_hi_u32 s26, s15, s22
	s_mul_i32 s25, s20, s22
	s_add_i32 s23, s26, s23
	s_add_i32 s23, s23, s25
	s_mul_i32 s27, s15, s22
	s_mul_i32 s26, s22, s23
	s_mul_hi_u32 s28, s22, s27
	s_mul_hi_u32 s25, s22, s23
	s_add_u32 s26, s28, s26
	s_addc_u32 s25, 0, s25
	s_mul_hi_u32 s29, s24, s27
	s_mul_i32 s27, s24, s27
	s_add_u32 s26, s26, s27
	s_mul_hi_u32 s28, s24, s23
	s_addc_u32 s25, s25, s29
	s_addc_u32 s26, s28, 0
	s_mul_i32 s23, s24, s23
	s_add_u32 s23, s25, s23
	s_addc_u32 s25, 0, s26
	s_add_u32 s26, s22, s23
	s_cselect_b64 s[22:23], -1, 0
	s_cmp_lg_u64 s[22:23], 0
	s_addc_u32 s24, s24, s25
	s_mul_i32 s22, s15, s24
	s_mul_hi_u32 s23, s15, s26
	s_add_i32 s22, s23, s22
	s_mul_i32 s20, s20, s26
	s_add_i32 s22, s22, s20
	s_mul_i32 s15, s15, s26
	s_mul_hi_u32 s23, s24, s15
	s_mul_i32 s25, s24, s15
	s_mul_i32 s28, s26, s22
	s_mul_hi_u32 s15, s26, s15
	s_mul_hi_u32 s27, s26, s22
	s_add_u32 s15, s15, s28
	s_addc_u32 s27, 0, s27
	s_add_u32 s15, s15, s25
	s_mul_hi_u32 s20, s24, s22
	s_addc_u32 s15, s27, s23
	s_addc_u32 s20, s20, 0
	s_mul_i32 s22, s24, s22
	s_add_u32 s15, s15, s22
	s_addc_u32 s20, 0, s20
	s_add_u32 s15, s26, s15
	s_cselect_b64 s[22:23], -1, 0
	s_cmp_lg_u64 s[22:23], 0
	s_addc_u32 s24, s24, s20
	s_ashr_i32 s22, s21, 31
	s_add_u32 s20, s11, s22
	s_mov_b32 s23, s22
	s_addc_u32 s21, s21, s22
	s_xor_b64 s[20:21], s[20:21], s[22:23]
	s_mul_i32 s26, s20, s24
	s_mul_hi_u32 s27, s20, s15
	s_mul_hi_u32 s25, s20, s24
	s_add_u32 s26, s27, s26
	s_addc_u32 s25, 0, s25
	s_mul_hi_u32 s28, s21, s15
	s_mul_i32 s15, s21, s15
	s_add_u32 s15, s26, s15
	s_mul_hi_u32 s27, s21, s24
	s_addc_u32 s15, s25, s28
	s_addc_u32 s25, s27, 0
	s_mul_i32 s24, s21, s24
	s_add_u32 s15, s15, s24
	s_addc_u32 s28, 0, s25
	s_mul_i32 s24, s18, s28
	s_mul_hi_u32 s25, s18, s15
	s_add_i32 s24, s25, s24
	s_mul_i32 s25, s19, s15
	s_add_i32 s29, s24, s25
	s_sub_i32 s26, s21, s29
	s_mul_i32 s24, s18, s15
	s_sub_u32 s20, s20, s24
	s_cselect_b64 s[24:25], -1, 0
	s_cmp_lg_u64 s[24:25], 0
	s_subb_u32 s30, s26, s19
	s_sub_u32 s31, s20, s18
	s_cselect_b64 s[26:27], -1, 0
	s_cmp_lg_u64 s[26:27], 0
	s_subb_u32 s26, s30, 0
	s_cmp_ge_u32 s26, s19
	s_cselect_b32 s27, -1, 0
	s_cmp_ge_u32 s31, s18
	s_cselect_b32 s30, -1, 0
	s_cmp_eq_u32 s26, s19
	s_cselect_b32 s26, s30, s27
	s_add_u32 s27, s15, 1
	s_addc_u32 s30, s28, 0
	s_add_u32 s31, s15, 2
	s_addc_u32 s33, s28, 0
	s_cmp_lg_u32 s26, 0
	s_cselect_b32 s26, s31, s27
	s_cselect_b32 s27, s33, s30
	s_cmp_lg_u64 s[24:25], 0
	s_subb_u32 s21, s21, s29
	s_cmp_ge_u32 s21, s19
	s_cselect_b32 s24, -1, 0
	s_cmp_ge_u32 s20, s18
	s_cselect_b32 s18, -1, 0
	s_cmp_eq_u32 s21, s19
	s_cselect_b32 s18, s18, s24
	s_cmp_lg_u32 s18, 0
	s_cselect_b32 s19, s27, s28
	s_cselect_b32 s18, s26, s15
	s_xor_b64 s[20:21], s[22:23], 0
	s_xor_b64 s[18:19], s[18:19], s[20:21]
	s_sub_u32 s18, s18, s20
	s_cbranch_execnz .LBB32_6
.LBB32_5:
	v_cvt_f32_u32_e32 v1, s9
	s_waitcnt lgkmcnt(0)
	s_sub_i32 s15, 0, s9
	v_rcp_iflag_f32_e32 v1, v1
	v_mul_f32_e32 v1, 0x4f7ffffe, v1
	v_cvt_u32_f32_e32 v1, v1
	v_readfirstlane_b32 s16, v1
	s_mul_i32 s15, s15, s16
	s_mul_hi_u32 s15, s16, s15
	s_add_i32 s16, s16, s15
	s_mul_hi_u32 s15, s11, s16
	s_mul_i32 s17, s15, s9
	s_sub_i32 s11, s11, s17
	s_add_i32 s16, s15, 1
	s_sub_i32 s17, s11, s9
	s_cmp_ge_u32 s11, s9
	s_cselect_b32 s15, s16, s15
	s_cselect_b32 s11, s17, s11
	s_add_i32 s16, s15, 1
	s_cmp_ge_u32 s11, s9
	s_cselect_b32 s18, s16, s15
.LBB32_6:
	s_cmp_eq_u32 s10, s18
	s_waitcnt lgkmcnt(0)
	s_mul_hi_u32 s11, s10, s12
	s_cselect_b64 s[16:17], -1, 0
	s_add_i32 s11, s11, s10
	s_lshr_b32 s11, s11, s13
	s_mul_i32 s15, s11, s14
	s_cmp_eq_u32 s15, s10
	s_mul_hi_u32 s15, s18, s12
	s_cselect_b64 s[20:21], -1, 0
	s_add_i32 s15, s15, s18
	s_lshr_b32 s15, s15, s13
	s_cmp_eq_u32 s11, s15
	s_mul_i32 s15, s15, s14
	s_cselect_b64 s[22:23], -1, 0
	s_cmp_lg_u32 s15, s18
	s_cselect_b64 s[18:19], -1, 0
	s_and_b64 s[18:19], s[22:23], s[18:19]
	s_or_b64 s[16:17], s[16:17], s[20:21]
	s_or_b64 s[16:17], s[16:17], s[18:19]
	s_and_b64 vcc, exec, s[16:17]
	s_cbranch_vccnz .LBB32_23
; %bb.7:
	s_load_dwordx8 s[20:27], s[4:5], 0x20
	s_load_dword s15, s[4:5], 0x40
	s_waitcnt lgkmcnt(0)
	s_mul_hi_u32 s16, s10, s20
	s_add_i32 s16, s16, s10
	s_lshr_b32 s21, s16, s21
	s_mul_i32 s16, s21, s22
	s_sub_i32 s16, s10, s16
	s_mul_hi_u32 s17, s16, s23
	s_add_i32 s17, s16, s17
	s_lshr_b32 s22, s17, s24
	s_mul_i32 s17, s22, s25
	s_sub_i32 s16, s16, s17
	;; [unrolled: 5-line block ×3, first 2 shown]
	s_mul_hi_u32 s16, s15, s12
	s_add_i32 s15, s15, s16
	s_lshr_b32 s23, s15, s13
	s_lshl_b32 s24, s17, 2
	s_add_i32 s23, s23, s7
	s_cmp_lt_i32 s23, s0
	s_cselect_b64 s[16:17], -1, 0
	s_add_i32 s24, s24, s8
	s_cmp_lt_i32 s24, s2
	s_cselect_b64 s[18:19], -1, 0
	s_and_b64 s[16:17], s[16:17], s[18:19]
	s_andn2_b64 vcc, exec, s[16:17]
	s_cbranch_vccnz .LBB32_23
; %bb.8:
	s_load_dwordx4 s[16:19], s[4:5], 0x0
	s_lshl_b32 s4, s7, 2
	s_add_i32 s5, s4, s8
	s_mov_b32 s4, 0
	s_lshl_b32 s26, s9, 4
	s_mov_b32 s27, s4
	s_lshl_b64 s[26:27], s[26:27], 2
	s_waitcnt lgkmcnt(0)
	s_add_u32 s15, s18, s26
	s_mul_i32 s21, s21, s0
	s_addc_u32 s20, s19, s27
	s_mul_i32 s22, s22, s2
	s_add_i32 s0, s23, s21
	s_mul_i32 s0, s0, s1
	s_add_i32 s1, s24, s22
	s_add_i32 s0, s1, s0
	s_mulk_i32 s0, 0x70
	v_add_u32_e32 v1, s0, v0
	v_ashrrev_i32_e32 v2, 31, v1
	v_lshlrev_b64 v[1:2], 2, v[1:2]
	v_mov_b32_e32 v3, s17
	v_add_co_u32_e32 v1, vcc, s16, v1
	v_addc_co_u32_e32 v2, vcc, v3, v2, vcc
	global_load_dword v3, v[1:2], off
	s_add_i32 s0, s7, s6
	v_cvt_f32_u32_e32 v4, s9
	s_lshl_b32 s0, s0, 2
	s_add_i32 s0, s0, s8
	s_ashr_i32 s1, s0, 31
	s_lshl_b64 s[0:1], s[0:1], 3
	v_rcp_iflag_f32_e32 v4, v4
	s_add_u32 s0, s18, s0
	s_addc_u32 s1, s19, s1
	s_load_dwordx2 s[0:1], s[0:1], 0x0
	v_mul_f32_e32 v4, 0x4f7ffffe, v4
	v_cvt_u32_f32_e32 v4, v4
	s_mulk_i32 s5, 0x70
	s_add_i32 s25, s6, -1
	v_add_u32_e32 v0, s5, v0
	s_add_i32 s2, s9, s7
	s_waitcnt lgkmcnt(0)
	v_mov_b32_e32 v6, s1
	v_mov_b32_e32 v7, s0
	s_mov_b32 s21, 0x3fb8aa3b
	s_mov_b32 s22, 0xc2ce8ed0
	s_mov_b32 s23, 0x42b17218
	s_mov_b32 s24, 0xc1a00000
	v_mov_b32_e32 v5, 0x7f800000
	s_mul_hi_i32 s5, s25, s3
	s_cmp_lg_u64 s[4:5], 0
	s_mul_i32 s16, s25, s3
	s_cbranch_scc0 .LBB32_19
.LBB32_9:
	s_add_u32 s0, s9, 0
	s_addc_u32 s1, 0, 0
	s_xor_b64 s[0:1], s[0:1], 0
	v_cvt_f32_u32_e32 v8, s0
	v_cvt_f32_u32_e32 v9, s1
	s_sub_u32 s17, 0, s0
	s_subb_u32 s26, 0, s1
	v_mac_f32_e32 v8, 0x4f800000, v9
	v_rcp_f32_e32 v8, v8
	v_mul_f32_e32 v8, 0x5f7ffffc, v8
	v_mul_f32_e32 v9, 0x2f800000, v8
	v_trunc_f32_e32 v9, v9
	v_mac_f32_e32 v8, 0xcf800000, v9
	v_cvt_u32_f32_e32 v9, v9
	v_cvt_u32_f32_e32 v8, v8
	v_readfirstlane_b32 s27, v9
	v_readfirstlane_b32 s6, v8
	s_mul_i32 s7, s17, s27
	s_mul_hi_u32 s29, s17, s6
	s_mul_i32 s28, s26, s6
	s_add_i32 s7, s29, s7
	s_mul_i32 s30, s17, s6
	s_add_i32 s7, s7, s28
	s_mul_i32 s29, s6, s7
	s_mul_hi_u32 s31, s6, s30
	s_mul_hi_u32 s28, s6, s7
	s_add_u32 s29, s31, s29
	s_addc_u32 s28, 0, s28
	s_mul_hi_u32 s33, s27, s30
	s_mul_i32 s30, s27, s30
	s_add_u32 s29, s29, s30
	s_mul_hi_u32 s31, s27, s7
	s_addc_u32 s28, s28, s33
	s_addc_u32 s29, s31, 0
	s_mul_i32 s7, s27, s7
	s_add_u32 s7, s28, s7
	s_addc_u32 s28, 0, s29
	s_add_u32 s29, s6, s7
	s_cselect_b64 s[6:7], -1, 0
	s_cmp_lg_u64 s[6:7], 0
	s_addc_u32 s27, s27, s28
	s_mul_i32 s6, s17, s27
	s_mul_hi_u32 s7, s17, s29
	s_add_i32 s6, s7, s6
	s_mul_i32 s26, s26, s29
	s_add_i32 s6, s6, s26
	s_mul_i32 s17, s17, s29
	s_mul_hi_u32 s26, s27, s17
	s_mul_i32 s28, s27, s17
	s_mul_i32 s31, s29, s6
	s_mul_hi_u32 s17, s29, s17
	s_mul_hi_u32 s30, s29, s6
	s_add_u32 s17, s17, s31
	s_addc_u32 s30, 0, s30
	s_add_u32 s17, s17, s28
	s_mul_hi_u32 s7, s27, s6
	s_addc_u32 s17, s30, s26
	s_addc_u32 s7, s7, 0
	s_mul_i32 s6, s27, s6
	s_add_u32 s6, s17, s6
	s_addc_u32 s17, 0, s7
	s_add_u32 s28, s29, s6
	s_cselect_b64 s[6:7], -1, 0
	s_cmp_lg_u64 s[6:7], 0
	s_addc_u32 s17, s27, s17
	s_ashr_i32 s6, s5, 31
	s_add_u32 s26, s16, s6
	s_mov_b32 s7, s6
	s_addc_u32 s27, s5, s6
	s_xor_b64 s[26:27], s[26:27], s[6:7]
	s_mul_i32 s29, s26, s17
	s_mul_hi_u32 s30, s26, s28
	s_mul_hi_u32 s5, s26, s17
	s_add_u32 s29, s30, s29
	s_addc_u32 s5, 0, s5
	s_mul_hi_u32 s31, s27, s28
	s_mul_i32 s28, s27, s28
	s_add_u32 s28, s29, s28
	s_mul_hi_u32 s30, s27, s17
	s_addc_u32 s5, s5, s31
	s_addc_u32 s28, s30, 0
	s_mul_i32 s17, s27, s17
	s_add_u32 s5, s5, s17
	s_addc_u32 s17, 0, s28
	s_mul_i32 s28, s0, s17
	s_mul_hi_u32 s29, s0, s5
	s_add_i32 s28, s29, s28
	s_mul_i32 s29, s1, s5
	s_add_i32 s33, s28, s29
	s_sub_i32 s30, s27, s33
	s_mul_i32 s28, s0, s5
	s_sub_u32 s26, s26, s28
	s_cselect_b64 s[28:29], -1, 0
	s_cmp_lg_u64 s[28:29], 0
	s_subb_u32 s34, s30, s1
	s_sub_u32 s35, s26, s0
	s_cselect_b64 s[30:31], -1, 0
	s_cmp_lg_u64 s[30:31], 0
	s_subb_u32 s30, s34, 0
	s_cmp_ge_u32 s30, s1
	s_cselect_b32 s31, -1, 0
	s_cmp_ge_u32 s35, s0
	s_cselect_b32 s34, -1, 0
	s_cmp_eq_u32 s30, s1
	s_cselect_b32 s30, s34, s31
	s_add_u32 s31, s5, 1
	s_addc_u32 s34, s17, 0
	s_add_u32 s35, s5, 2
	s_addc_u32 s36, s17, 0
	s_cmp_lg_u32 s30, 0
	s_cselect_b32 s30, s35, s31
	s_cselect_b32 s31, s36, s34
	s_cmp_lg_u64 s[28:29], 0
	s_subb_u32 s27, s27, s33
	s_cmp_ge_u32 s27, s1
	s_cselect_b32 s28, -1, 0
	s_cmp_ge_u32 s26, s0
	s_cselect_b32 s0, -1, 0
	s_cmp_eq_u32 s27, s1
	s_cselect_b32 s0, s0, s28
	s_cmp_lg_u32 s0, 0
	s_cselect_b32 s1, s31, s17
	s_cselect_b32 s0, s30, s5
	s_xor_b64 s[6:7], s[6:7], 0
	s_xor_b64 s[0:1], s[0:1], s[6:7]
	s_sub_u32 s6, s0, s6
	s_cbranch_execnz .LBB32_11
.LBB32_10:
	s_sub_i32 s0, 0, s9
	v_readfirstlane_b32 s1, v4
	s_mul_i32 s0, s0, s1
	s_mul_hi_u32 s0, s1, s0
	s_add_i32 s1, s1, s0
	s_mul_hi_u32 s0, s16, s1
	s_mul_i32 s5, s0, s9
	s_sub_i32 s5, s16, s5
	s_add_i32 s1, s0, 1
	s_sub_i32 s6, s5, s9
	s_cmp_ge_u32 s5, s9
	s_cselect_b32 s0, s1, s0
	s_cselect_b32 s5, s6, s5
	s_add_i32 s1, s0, 1
	s_cmp_ge_u32 s5, s9
	s_cselect_b32 s6, s1, s0
.LBB32_11:
	s_cmp_lg_u32 s10, s6
	s_mov_b64 s[16:17], -1
                                        ; implicit-def: $sgpr0_sgpr1
                                        ; implicit-def: $vgpr10
                                        ; implicit-def: $vgpr8
                                        ; implicit-def: $vgpr9
                                        ; implicit-def: $sgpr5
                                        ; implicit-def: $sgpr7
	s_cbranch_scc1 .LBB32_14
; %bb.12:
	s_andn2_b64 vcc, exec, s[16:17]
	s_cbranch_vccz .LBB32_17
.LBB32_13:
	s_andn2_b64 vcc, exec, s[0:1]
	s_cbranch_vccnz .LBB32_18
	s_branch .LBB32_22
.LBB32_14:
	s_add_i32 s0, s2, s25
	s_lshl_b32 s0, s0, 2
	s_add_i32 s0, s0, s8
	s_mov_b32 s1, s4
	s_lshl_b64 s[0:1], s[0:1], 3
	s_add_u32 s16, s18, s0
	s_mul_hi_u32 s0, s6, s12
	s_addc_u32 s17, s19, s1
	s_add_i32 s0, s0, s6
	s_lshr_b32 s5, s0, s13
	s_mul_i32 s0, s5, s14
	s_cmp_eq_u32 s0, s6
	s_cselect_b64 s[0:1], -1, 0
	s_cmp_lt_u32 s5, s11
	s_cselect_b64 s[26:27], -1, 0
	s_or_b64 s[26:27], s[26:27], s[0:1]
	s_mov_b64 s[0:1], -1
	s_and_b64 vcc, exec, s[26:27]
	s_mov_b32 s5, s25
	s_mov_b32 s7, s10
	s_cbranch_vccnz .LBB32_16
; %bb.15:
	s_add_i32 s5, s25, -1
	s_mov_b64 s[0:1], 0
	s_mov_b32 s7, s6
.LBB32_16:
	s_mul_i32 s6, s25, 0x1c0
	v_add_u32_e32 v8, s6, v0
	v_ashrrev_i32_e32 v9, 31, v8
	v_lshlrev_b64 v[8:9], 2, v[8:9]
	v_mov_b32_e32 v10, s20
	v_add_co_u32_e32 v8, vcc, s15, v8
	v_addc_co_u32_e32 v9, vcc, v10, v9, vcc
	global_load_dword v10, v[8:9], off
	s_load_dwordx2 s[16:17], s[16:17], 0x0
	v_max_f32_e32 v8, v7, v7
	s_waitcnt lgkmcnt(0)
	v_max_f32_e64 v9, s16, s16
	v_max_f32_e32 v8, v8, v9
	v_sub_f32_e32 v9, v7, v8
	v_sub_f32_e32 v11, s16, v8
	v_mul_f32_e32 v12, 0x3fb8aa3b, v9
	v_mul_f32_e32 v13, 0x3fb8aa3b, v11
	v_fma_f32 v14, v9, s21, -v12
	v_rndne_f32_e32 v15, v12
	v_fma_f32 v16, v11, s21, -v13
	v_rndne_f32_e32 v17, v13
	v_fmac_f32_e32 v14, 0x32a5705f, v9
	v_sub_f32_e32 v12, v12, v15
	v_fmac_f32_e32 v16, 0x32a5705f, v11
	v_sub_f32_e32 v13, v13, v17
	v_add_f32_e32 v12, v12, v14
	v_cvt_i32_f32_e32 v15, v15
	v_add_f32_e32 v13, v13, v16
	v_exp_f32_e32 v12, v12
	v_cvt_i32_f32_e32 v17, v17
	v_exp_f32_e32 v13, v13
	v_cmp_ngt_f32_e32 vcc, s22, v9
	v_ldexp_f32 v12, v12, v15
	v_cndmask_b32_e32 v12, 0, v12, vcc
	v_ldexp_f32 v13, v13, v17
	v_cmp_ngt_f32_e32 vcc, s22, v11
	v_cndmask_b32_e32 v13, 0, v13, vcc
	v_cmp_nlt_f32_e32 vcc, s23, v9
	v_cndmask_b32_e32 v12, v5, v12, vcc
	v_cmp_nlt_f32_e32 vcc, s23, v11
	v_cndmask_b32_e32 v13, v5, v13, vcc
	v_cmp_le_f32_e32 vcc, s24, v9
	v_cndmask_b32_e32 v12, 0, v12, vcc
	v_cmp_le_f32_e32 vcc, s24, v11
	v_cndmask_b32_e32 v11, 0, v13, vcc
	v_mul_f32_e32 v9, s17, v11
	v_fmac_f32_e32 v9, v6, v12
	s_waitcnt vmcnt(0)
	v_mul_f32_e32 v10, v10, v11
	v_fmac_f32_e32 v10, v3, v12
	s_cbranch_execnz .LBB32_13
.LBB32_17:
	s_add_i32 s5, s25, -1
	s_mov_b32 s7, s10
	v_mov_b32_e32 v9, v6
	v_mov_b32_e32 v8, v7
	s_waitcnt vmcnt(0)
	v_mov_b32_e32 v10, v3
	s_cbranch_execz .LBB32_22
.LBB32_18:
	s_mov_b32 s10, s7
	s_mov_b32 s25, s5
	v_mov_b32_e32 v6, v9
	v_mov_b32_e32 v7, v8
	s_waitcnt vmcnt(0)
	v_mov_b32_e32 v3, v10
	s_mul_hi_i32 s5, s25, s3
	s_cmp_lg_u64 s[4:5], 0
	s_mul_i32 s16, s25, s3
	s_cbranch_scc1 .LBB32_9
.LBB32_19:
                                        ; implicit-def: $sgpr6_sgpr7
	s_branch .LBB32_10
.LBB32_20:
                                        ; implicit-def: $sgpr10_sgpr11
	s_load_dwordx4 s[12:15], s[4:5], 0x44
	s_branch .LBB32_2
.LBB32_21:
                                        ; implicit-def: $sgpr18_sgpr19
	s_branch .LBB32_5
.LBB32_22:
	v_div_scale_f32 v0, s[0:1], v9, v9, v10
	s_waitcnt vmcnt(0)
	v_div_scale_f32 v3, vcc, v10, v9, v10
	v_rcp_f32_e32 v4, v0
	v_fma_f32 v5, -v0, v4, 1.0
	v_fmac_f32_e32 v4, v5, v4
	v_mul_f32_e32 v5, v3, v4
	v_fma_f32 v6, -v0, v5, v3
	v_fmac_f32_e32 v5, v6, v4
	v_fma_f32 v0, -v0, v5, v3
	v_div_fmas_f32 v0, v0, v4, v5
	v_div_fixup_f32 v0, v0, v9, v10
	global_store_dword v[1:2], v0, off
.LBB32_23:
	s_endpgm
	.section	.rodata,"a",@progbits
	.p2align	6, 0x0
	.amdhsa_kernel _ZL33flash_attn_stream_k_fixup_generalILi112ELi1ELi4EEvPfPK15HIP_vector_typeIfLj2EEiiiiS1_IjLj3EES5_S5_S5_
		.amdhsa_group_segment_fixed_size 0
		.amdhsa_private_segment_fixed_size 0
		.amdhsa_kernarg_size 336
		.amdhsa_user_sgpr_count 6
		.amdhsa_user_sgpr_private_segment_buffer 1
		.amdhsa_user_sgpr_dispatch_ptr 0
		.amdhsa_user_sgpr_queue_ptr 0
		.amdhsa_user_sgpr_kernarg_segment_ptr 1
		.amdhsa_user_sgpr_dispatch_id 0
		.amdhsa_user_sgpr_flat_scratch_init 0
		.amdhsa_user_sgpr_private_segment_size 0
		.amdhsa_uses_dynamic_stack 0
		.amdhsa_system_sgpr_private_segment_wavefront_offset 0
		.amdhsa_system_sgpr_workgroup_id_x 1
		.amdhsa_system_sgpr_workgroup_id_y 1
		.amdhsa_system_sgpr_workgroup_id_z 1
		.amdhsa_system_sgpr_workgroup_info 0
		.amdhsa_system_vgpr_workitem_id 0
		.amdhsa_next_free_vgpr 18
		.amdhsa_next_free_sgpr 37
		.amdhsa_reserve_vcc 1
		.amdhsa_reserve_flat_scratch 0
		.amdhsa_float_round_mode_32 0
		.amdhsa_float_round_mode_16_64 0
		.amdhsa_float_denorm_mode_32 3
		.amdhsa_float_denorm_mode_16_64 3
		.amdhsa_dx10_clamp 1
		.amdhsa_ieee_mode 1
		.amdhsa_fp16_overflow 0
		.amdhsa_exception_fp_ieee_invalid_op 0
		.amdhsa_exception_fp_denorm_src 0
		.amdhsa_exception_fp_ieee_div_zero 0
		.amdhsa_exception_fp_ieee_overflow 0
		.amdhsa_exception_fp_ieee_underflow 0
		.amdhsa_exception_fp_ieee_inexact 0
		.amdhsa_exception_int_div_zero 0
	.end_amdhsa_kernel
	.section	.text._ZL33flash_attn_stream_k_fixup_generalILi112ELi1ELi4EEvPfPK15HIP_vector_typeIfLj2EEiiiiS1_IjLj3EES5_S5_S5_,"axG",@progbits,_ZL33flash_attn_stream_k_fixup_generalILi112ELi1ELi4EEvPfPK15HIP_vector_typeIfLj2EEiiiiS1_IjLj3EES5_S5_S5_,comdat
.Lfunc_end32:
	.size	_ZL33flash_attn_stream_k_fixup_generalILi112ELi1ELi4EEvPfPK15HIP_vector_typeIfLj2EEiiiiS1_IjLj3EES5_S5_S5_, .Lfunc_end32-_ZL33flash_attn_stream_k_fixup_generalILi112ELi1ELi4EEvPfPK15HIP_vector_typeIfLj2EEiiiiS1_IjLj3EES5_S5_S5_
                                        ; -- End function
	.set _ZL33flash_attn_stream_k_fixup_generalILi112ELi1ELi4EEvPfPK15HIP_vector_typeIfLj2EEiiiiS1_IjLj3EES5_S5_S5_.num_vgpr, 18
	.set _ZL33flash_attn_stream_k_fixup_generalILi112ELi1ELi4EEvPfPK15HIP_vector_typeIfLj2EEiiiiS1_IjLj3EES5_S5_S5_.num_agpr, 0
	.set _ZL33flash_attn_stream_k_fixup_generalILi112ELi1ELi4EEvPfPK15HIP_vector_typeIfLj2EEiiiiS1_IjLj3EES5_S5_S5_.numbered_sgpr, 37
	.set _ZL33flash_attn_stream_k_fixup_generalILi112ELi1ELi4EEvPfPK15HIP_vector_typeIfLj2EEiiiiS1_IjLj3EES5_S5_S5_.num_named_barrier, 0
	.set _ZL33flash_attn_stream_k_fixup_generalILi112ELi1ELi4EEvPfPK15HIP_vector_typeIfLj2EEiiiiS1_IjLj3EES5_S5_S5_.private_seg_size, 0
	.set _ZL33flash_attn_stream_k_fixup_generalILi112ELi1ELi4EEvPfPK15HIP_vector_typeIfLj2EEiiiiS1_IjLj3EES5_S5_S5_.uses_vcc, 1
	.set _ZL33flash_attn_stream_k_fixup_generalILi112ELi1ELi4EEvPfPK15HIP_vector_typeIfLj2EEiiiiS1_IjLj3EES5_S5_S5_.uses_flat_scratch, 0
	.set _ZL33flash_attn_stream_k_fixup_generalILi112ELi1ELi4EEvPfPK15HIP_vector_typeIfLj2EEiiiiS1_IjLj3EES5_S5_S5_.has_dyn_sized_stack, 0
	.set _ZL33flash_attn_stream_k_fixup_generalILi112ELi1ELi4EEvPfPK15HIP_vector_typeIfLj2EEiiiiS1_IjLj3EES5_S5_S5_.has_recursion, 0
	.set _ZL33flash_attn_stream_k_fixup_generalILi112ELi1ELi4EEvPfPK15HIP_vector_typeIfLj2EEiiiiS1_IjLj3EES5_S5_S5_.has_indirect_call, 0
	.section	.AMDGPU.csdata,"",@progbits
; Kernel info:
; codeLenInByte = 2932
; TotalNumSgprs: 41
; NumVgprs: 18
; ScratchSize: 0
; MemoryBound: 0
; FloatMode: 240
; IeeeMode: 1
; LDSByteSize: 0 bytes/workgroup (compile time only)
; SGPRBlocks: 5
; VGPRBlocks: 4
; NumSGPRsForWavesPerEU: 41
; NumVGPRsForWavesPerEU: 18
; Occupancy: 10
; WaveLimiterHint : 0
; COMPUTE_PGM_RSRC2:SCRATCH_EN: 0
; COMPUTE_PGM_RSRC2:USER_SGPR: 6
; COMPUTE_PGM_RSRC2:TRAP_HANDLER: 0
; COMPUTE_PGM_RSRC2:TGID_X_EN: 1
; COMPUTE_PGM_RSRC2:TGID_Y_EN: 1
; COMPUTE_PGM_RSRC2:TGID_Z_EN: 1
; COMPUTE_PGM_RSRC2:TIDIG_COMP_CNT: 0
	.section	.text._ZL15flash_attn_tileILi112ELi112ELi32ELi2ELb0EEvPKcS1_S1_S1_S1_PKiPfP15HIP_vector_typeIfLj2EEffffjfiS5_IjLj3EEiiiiiiiiiiiliiliiiiil,"axG",@progbits,_ZL15flash_attn_tileILi112ELi112ELi32ELi2ELb0EEvPKcS1_S1_S1_S1_PKiPfP15HIP_vector_typeIfLj2EEffffjfiS5_IjLj3EEiiiiiiiiiiiliiliiiiil,comdat
	.globl	_ZL15flash_attn_tileILi112ELi112ELi32ELi2ELb0EEvPKcS1_S1_S1_S1_PKiPfP15HIP_vector_typeIfLj2EEffffjfiS5_IjLj3EEiiiiiiiiiiiliiliiiiil ; -- Begin function _ZL15flash_attn_tileILi112ELi112ELi32ELi2ELb0EEvPKcS1_S1_S1_S1_PKiPfP15HIP_vector_typeIfLj2EEffffjfiS5_IjLj3EEiiiiiiiiiiiliiliiiiil
	.p2align	8
	.type	_ZL15flash_attn_tileILi112ELi112ELi32ELi2ELb0EEvPKcS1_S1_S1_S1_PKiPfP15HIP_vector_typeIfLj2EEffffjfiS5_IjLj3EEiiiiiiiiiiiliiliiiiil,@function
_ZL15flash_attn_tileILi112ELi112ELi32ELi2ELb0EEvPKcS1_S1_S1_S1_PKiPfP15HIP_vector_typeIfLj2EEffffjfiS5_IjLj3EEiiiiiiiiiiiliiliiiiil: ; @_ZL15flash_attn_tileILi112ELi112ELi32ELi2ELb0EEvPKcS1_S1_S1_S1_PKiPfP15HIP_vector_typeIfLj2EEffffjfiS5_IjLj3EEiiiiiiiiiiiliiliiiiil
; %bb.0:
	s_mov_b64 s[86:87], s[2:3]
	s_mov_b64 s[84:85], s[0:1]
	s_add_u32 s84, s84, s9
	s_addc_u32 s85, s85, 0
	buffer_store_dword v0, off, s[84:87], 0 offset:172 ; 4-byte Folded Spill
	s_load_dwordx4 s[60:63], s[4:5], 0x5c
	s_load_dwordx2 s[66:67], s[4:5], 0x80
	s_load_dwordx16 s[44:59], s[4:5], 0x0
	s_mov_b64 s[68:69], 0
	s_waitcnt lgkmcnt(0)
	s_lshr_b32 s0, s63, 31
	s_add_i32 s0, s63, s0
	s_ashr_i32 s0, s0, 1
	v_cvt_f32_u32_e32 v0, s0
	s_sub_i32 s1, 0, s0
	v_rcp_iflag_f32_e32 v0, v0
	v_mul_f32_e32 v0, 0x4f7ffffe, v0
	v_cvt_u32_f32_e32 v0, v0
	v_readfirstlane_b32 s2, v0
	s_mul_i32 s1, s1, s2
	s_mul_hi_u32 s1, s2, s1
	s_add_i32 s2, s2, s1
	s_mul_hi_u32 s1, s8, s2
	s_mul_i32 s2, s1, s0
	s_sub_i32 s2, s8, s2
	s_add_i32 s3, s1, 1
	s_sub_i32 s9, s2, s0
	s_cmp_ge_u32 s2, s0
	s_cselect_b32 s1, s3, s1
	s_cselect_b32 s2, s9, s2
	s_add_i32 s3, s1, 1
	s_cmp_ge_u32 s2, s0
	s_cselect_b32 s70, s3, s1
	s_abs_i32 s0, s67
	v_cvt_f32_u32_e32 v0, s0
	s_lshl_b32 s1, s8, 1
	s_mul_i32 s8, s70, s63
	s_sub_i32 s9, 0, s0
	v_rcp_iflag_f32_e32 v0, v0
	s_sub_i32 s64, s1, s8
	s_abs_i32 s3, s63
	s_xor_b32 s2, s63, s67
	v_mul_f32_e32 v0, 0x4f7ffffe, v0
	v_cvt_u32_f32_e32 v0, v0
	s_ashr_i32 s2, s2, 31
	v_readfirstlane_b32 s1, v0
	s_mul_i32 s9, s9, s1
	s_mul_hi_u32 s8, s1, s9
	s_add_i32 s1, s1, s8
	s_mul_hi_u32 s1, s3, s1
	s_mul_i32 s8, s1, s0
	s_sub_i32 s3, s3, s8
	s_add_i32 s9, s1, 1
	s_sub_i32 s8, s3, s0
	s_cmp_ge_u32 s3, s0
	s_cselect_b32 s1, s9, s1
	s_cselect_b32 s3, s8, s3
	s_add_i32 s8, s1, 1
	s_cmp_ge_u32 s3, s0
	s_cselect_b32 s0, s8, s1
	s_xor_b32 s0, s0, s2
	s_sub_i32 s15, s0, s2
	s_abs_i32 s14, s15
	v_cvt_f32_u32_e32 v0, s14
	s_load_dwordx2 s[2:3], s[4:5], 0xb8
	s_cmp_eq_u64 s[50:51], 0
	v_rcp_iflag_f32_e32 v0, v0
	v_mul_f32_e32 v0, 0x4f7ffffe, v0
	v_cvt_u32_f32_e32 v0, v0
	v_readfirstlane_b32 s16, v0
	s_cbranch_scc1 .LBB33_2
; %bb.1:
	s_waitcnt lgkmcnt(0)
	s_abs_i32 s2, s2
	v_cvt_f32_u32_e32 v0, s2
	s_sub_i32 s10, 0, s2
	s_abs_i32 s9, s70
	s_ashr_i32 s8, s70, 31
	v_rcp_iflag_f32_e32 v0, v0
	s_load_dwordx2 s[0:1], s[4:5], 0xc8
	v_mul_f32_e32 v0, 0x4f7ffffe, v0
	v_cvt_u32_f32_e32 v0, v0
	v_readfirstlane_b32 s11, v0
	s_mul_i32 s10, s10, s11
	s_mul_hi_u32 s10, s11, s10
	s_add_i32 s11, s11, s10
	s_mul_hi_u32 s10, s9, s11
	s_mul_i32 s10, s10, s2
	s_sub_i32 s9, s9, s10
	s_sub_i32 s10, s9, s2
	s_cmp_ge_u32 s9, s2
	s_cselect_b32 s9, s10, s9
	s_sub_i32 s10, s9, s2
	s_cmp_ge_u32 s9, s2
	s_cselect_b32 s2, s10, s9
	s_xor_b32 s2, s2, s8
	s_sub_i32 s2, s2, s8
	s_ashr_i32 s8, s2, 31
	s_waitcnt lgkmcnt(0)
	s_mul_hi_u32 s9, s0, s2
	s_mul_i32 s8, s0, s8
	s_mul_i32 s1, s1, s2
	s_add_i32 s8, s9, s8
	s_add_i32 s8, s8, s1
	s_mul_i32 s0, s0, s2
	s_add_u32 s68, s50, s0
	s_addc_u32 s69, s51, s8
.LBB33_2:
	s_load_dwordx4 s[20:23], s[4:5], 0x70
	s_waitcnt lgkmcnt(0)
	s_load_dword s2, s[4:5], 0x40
	buffer_load_dword v0, off, s[84:87], 0 offset:172 ; 4-byte Folded Reload
	s_lshl_b32 s33, s6, 5
	s_mul_i32 s0, s70, s22
	s_ashr_i32 s8, s0, 31
	s_mul_i32 s1, s64, s21
	s_add_u32 s0, s44, s0
	s_addc_u32 s8, s45, s8
	s_ashr_i32 s9, s1, 31
	s_add_u32 s17, s0, s1
	s_addc_u32 s18, s8, s9
	s_ashr_i32 s9, s21, 31
	s_mov_b32 s8, s21
	s_ashr_i32 s21, s20, 31
	s_lshr_b64 s[8:9], s[8:9], 2
	s_lshr_b64 s[10:11], s[20:21], 2
	s_waitcnt vmcnt(0)
	v_cmp_gt_u32_e64 s[0:1], 28, v0
	v_lshlrev_b32_e32 v2, 2, v0
	v_lshlrev_b32_e32 v0, 3, v0
	buffer_store_dword v0, off, s[84:87], 0 offset:168 ; 4-byte Folded Spill
	v_mov_b32_e32 v0, v2
	v_lshlrev_b32_e32 v2, 2, v2
	buffer_store_dword v0, off, s[84:87], 0 offset:312 ; 4-byte Folded Spill
	s_nop 0
	buffer_store_dword v1, off, s[84:87], 0 offset:316 ; 4-byte Folded Spill
	s_and_saveexec_b64 s[12:13], s[0:1]
	s_cbranch_execz .LBB33_4
; %bb.3:
	v_lshl_add_u32 v0, v1, 2, s33
	v_mul_hi_u32 v3, v0, s60
	v_mov_b32_e32 v6, s18
	v_add_u32_e32 v3, v0, v3
	v_lshrrev_b32_e32 v3, s61, v3
	v_mul_lo_u32 v3, v3, s62
	v_sub_u32_e32 v5, v0, v3
	v_mad_u64_u32 v[3:4], s[20:21], s10, v5, 0
	s_lshl_b64 s[20:21], s[8:9], 2
	s_add_u32 s19, s17, s20
	v_mov_b32_e32 v0, v4
	v_mad_u64_u32 v[4:5], s[22:23], s11, v5, v[0:1]
	s_addc_u32 s20, s18, s21
	v_mov_b32_e32 v0, s20
	v_lshlrev_b64 v[7:8], 2, v[3:4]
	v_add_co_u32_e32 v3, vcc, s17, v7
	v_addc_co_u32_e32 v4, vcc, v6, v8, vcc
	v_add_co_u32_e32 v3, vcc, v3, v2
	v_addc_co_u32_e32 v4, vcc, 0, v4, vcc
	;; [unrolled: 2-line block ×4, first 2 shown]
	global_load_dwordx4 v[3:6], v[3:4], off
	s_movk_i32 s19, 0x700
	global_load_dwordx4 v[7:10], v[7:8], off
	s_waitcnt vmcnt(1) lgkmcnt(0)
	v_fma_mixlo_f16 v3, s2, v3, 0
	buffer_load_dword v0, off, s[84:87], 0 offset:168 ; 4-byte Folded Reload
	v_fma_mixlo_f16 v4, s2, v4, 0
	v_fma_mixlo_f16 v5, s2, v5, 0
	;; [unrolled: 1-line block ×3, first 2 shown]
	s_waitcnt vmcnt(1)
	v_fma_mixlo_f16 v7, s2, v7, 0
	v_fma_mixlo_f16 v8, s2, v8, 0
	;; [unrolled: 1-line block ×4, first 2 shown]
	v_lshlrev_b32_e32 v4, 16, v4
	v_and_b32_e32 v3, 0xffff, v3
	v_lshlrev_b32_e32 v6, 16, v6
	v_and_b32_e32 v5, 0xffff, v5
	v_lshlrev_b32_e32 v8, 16, v8
	v_and_b32_e32 v7, 0xffff, v7
	v_lshlrev_b32_e32 v10, 16, v10
	v_and_b32_e32 v9, 0xffff, v9
	v_or_b32_e32 v3, v4, v3
	v_or3_b32 v4, v6, v5, 0
	v_or_b32_e32 v5, v8, v7
	v_or3_b32 v6, v10, v9, 0
	v_or3_b32 v3, 0, 0, v3
	;; [unrolled: 1-line block ×3, first 2 shown]
	s_waitcnt vmcnt(0)
	v_mad_u32_u24 v0, v1, s19, v0
	ds_write2_b64 v0, v[3:4], v[5:6] offset1:28
.LBB33_4:
	s_or_b64 exec, exec, s[12:13]
	v_lshlrev_b32_e32 v0, 3, v1
	v_or_b32_e32 v3, 2, v0
	v_lshrrev_b32_e32 v4, 1, v3
	buffer_store_dword v4, off, s[84:87], 0 offset:308 ; 4-byte Folded Spill
	s_and_saveexec_b64 s[12:13], s[0:1]
	s_cbranch_execz .LBB33_6
; %bb.5:
	v_lshrrev_b32_e32 v4, 1, v3
	v_add_u32_e32 v4, s33, v4
	v_mul_hi_u32 v5, v4, s60
	buffer_load_dword v8, off, s[84:87], 0 offset:168 ; 4-byte Folded Reload
	s_movk_i32 s19, 0xe0
	v_add_u32_e32 v5, v4, v5
	v_lshrrev_b32_e32 v5, s61, v5
	v_mul_lo_u32 v5, v5, s62
	v_sub_u32_e32 v6, v4, v5
	v_mad_u64_u32 v[4:5], s[20:21], s10, v6, 0
	v_mad_u64_u32 v[5:6], s[20:21], s11, v6, v[5:6]
	v_mov_b32_e32 v6, s18
	v_lshlrev_b64 v[4:5], 2, v[4:5]
	v_add_co_u32_e32 v4, vcc, s17, v4
	v_addc_co_u32_e32 v5, vcc, v6, v5, vcc
	v_add_co_u32_e32 v4, vcc, v4, v2
	v_addc_co_u32_e32 v5, vcc, 0, v5, vcc
	global_load_dwordx4 v[4:7], v[4:5], off
	s_waitcnt vmcnt(1)
	v_mad_u32_u24 v8, v3, s19, v8
	s_waitcnt vmcnt(0) lgkmcnt(0)
	v_fma_mixlo_f16 v3, s2, v4, 0
	v_fma_mixlo_f16 v4, s2, v5, 0
	v_fma_mixlo_f16 v5, s2, v6, 0
	v_fma_mixlo_f16 v6, s2, v7, 0
	v_lshlrev_b32_e32 v4, 16, v4
	v_and_b32_e32 v3, 0xffff, v3
	v_lshlrev_b32_e32 v6, 16, v6
	v_and_b32_e32 v5, 0xffff, v5
	v_or_b32_e32 v3, v4, v3
	v_or3_b32 v4, v6, v5, 0
	v_or3_b32 v3, 0, 0, v3
	ds_write_b64 v8, v[3:4]
.LBB33_6:
	s_or_b64 exec, exec, s[12:13]
	v_or_b32_e32 v3, 3, v0
	buffer_store_dword v3, off, s[84:87], 0 offset:320 ; 4-byte Folded Spill
	s_and_saveexec_b64 s[12:13], s[0:1]
	s_cbranch_execz .LBB33_8
; %bb.7:
	v_or_b32_e32 v7, 3, v0
	v_lshrrev_b32_e32 v3, 1, v7
	v_add_u32_e32 v3, s33, v3
	v_mul_hi_u32 v4, v3, s60
	buffer_load_dword v8, off, s[84:87], 0 offset:168 ; 4-byte Folded Reload
	v_add_u32_e32 v4, v3, v4
	v_lshrrev_b32_e32 v4, s61, v4
	v_mul_lo_u32 v4, v4, s62
	v_sub_u32_e32 v5, v3, v4
	v_mad_u64_u32 v[3:4], s[20:21], s10, v5, 0
	s_lshl_b64 s[20:21], s[8:9], 2
	s_add_u32 s19, s17, s20
	v_mad_u64_u32 v[4:5], s[22:23], s11, v5, v[4:5]
	s_addc_u32 s20, s18, s21
	v_mov_b32_e32 v5, s20
	v_lshlrev_b64 v[3:4], 2, v[3:4]
	v_add_co_u32_e32 v3, vcc, s19, v3
	v_addc_co_u32_e32 v4, vcc, v5, v4, vcc
	v_add_co_u32_e32 v3, vcc, v3, v2
	v_addc_co_u32_e32 v4, vcc, 0, v4, vcc
	global_load_dwordx4 v[3:6], v[3:4], off
	s_movk_i32 s19, 0xe0
	s_waitcnt vmcnt(1)
	v_mad_u32_u24 v7, v7, s19, v8
	s_waitcnt vmcnt(0) lgkmcnt(0)
	v_fma_mixlo_f16 v3, s2, v3, 0
	v_fma_mixlo_f16 v4, s2, v4, 0
	;; [unrolled: 1-line block ×4, first 2 shown]
	v_lshlrev_b32_e32 v4, 16, v4
	v_and_b32_e32 v3, 0xffff, v3
	v_lshlrev_b32_e32 v6, 16, v6
	v_and_b32_e32 v5, 0xffff, v5
	v_or_b32_e32 v3, v4, v3
	v_or3_b32 v4, v6, v5, 0
	v_or3_b32 v3, 0, 0, v3
	ds_write_b64 v7, v[3:4]
.LBB33_8:
	s_or_b64 exec, exec, s[12:13]
	v_or_b32_e32 v3, 4, v0
	buffer_store_dword v3, off, s[84:87], 0 offset:324 ; 4-byte Folded Spill
	s_and_saveexec_b64 s[12:13], s[0:1]
	s_cbranch_execz .LBB33_10
; %bb.9:
	v_or_b32_e32 v7, 4, v0
	v_lshrrev_b32_e32 v3, 1, v7
	v_add_u32_e32 v3, s33, v3
	v_mul_hi_u32 v4, v3, s60
	buffer_load_dword v8, off, s[84:87], 0 offset:168 ; 4-byte Folded Reload
	s_movk_i32 s19, 0xe0
	v_add_u32_e32 v4, v3, v4
	v_lshrrev_b32_e32 v4, s61, v4
	v_mul_lo_u32 v4, v4, s62
	v_sub_u32_e32 v5, v3, v4
	v_mad_u64_u32 v[3:4], s[20:21], s10, v5, 0
	v_mad_u64_u32 v[4:5], s[20:21], s11, v5, v[4:5]
	v_mov_b32_e32 v5, s18
	v_lshlrev_b64 v[3:4], 2, v[3:4]
	v_add_co_u32_e32 v3, vcc, s17, v3
	v_addc_co_u32_e32 v4, vcc, v5, v4, vcc
	v_add_co_u32_e32 v3, vcc, v3, v2
	v_addc_co_u32_e32 v4, vcc, 0, v4, vcc
	global_load_dwordx4 v[3:6], v[3:4], off
	s_waitcnt vmcnt(1)
	v_mad_u32_u24 v7, v7, s19, v8
	s_waitcnt vmcnt(0) lgkmcnt(0)
	v_fma_mixlo_f16 v3, s2, v3, 0
	v_fma_mixlo_f16 v4, s2, v4, 0
	v_fma_mixlo_f16 v5, s2, v5, 0
	v_fma_mixlo_f16 v6, s2, v6, 0
	v_lshlrev_b32_e32 v4, 16, v4
	v_and_b32_e32 v3, 0xffff, v3
	v_lshlrev_b32_e32 v6, 16, v6
	v_and_b32_e32 v5, 0xffff, v5
	v_or_b32_e32 v3, v4, v3
	v_or3_b32 v4, v6, v5, 0
	v_or3_b32 v3, 0, 0, v3
	ds_write_b64 v7, v[3:4]
.LBB33_10:
	s_or_b64 exec, exec, s[12:13]
	v_or_b32_e32 v3, 5, v0
	buffer_store_dword v3, off, s[84:87], 0 offset:328 ; 4-byte Folded Spill
	s_and_saveexec_b64 s[12:13], s[0:1]
	s_cbranch_execz .LBB33_12
; %bb.11:
	v_or_b32_e32 v7, 5, v0
	v_lshrrev_b32_e32 v3, 1, v7
	v_add_u32_e32 v3, s33, v3
	v_mul_hi_u32 v4, v3, s60
	buffer_load_dword v8, off, s[84:87], 0 offset:168 ; 4-byte Folded Reload
	v_add_u32_e32 v4, v3, v4
	v_lshrrev_b32_e32 v4, s61, v4
	v_mul_lo_u32 v4, v4, s62
	v_sub_u32_e32 v5, v3, v4
	v_mad_u64_u32 v[3:4], s[20:21], s10, v5, 0
	s_lshl_b64 s[20:21], s[8:9], 2
	s_add_u32 s19, s17, s20
	v_mad_u64_u32 v[4:5], s[22:23], s11, v5, v[4:5]
	s_addc_u32 s20, s18, s21
	v_mov_b32_e32 v5, s20
	v_lshlrev_b64 v[3:4], 2, v[3:4]
	v_add_co_u32_e32 v3, vcc, s19, v3
	v_addc_co_u32_e32 v4, vcc, v5, v4, vcc
	v_add_co_u32_e32 v3, vcc, v3, v2
	v_addc_co_u32_e32 v4, vcc, 0, v4, vcc
	global_load_dwordx4 v[3:6], v[3:4], off
	s_movk_i32 s19, 0xe0
	s_waitcnt vmcnt(1)
	v_mad_u32_u24 v7, v7, s19, v8
	s_waitcnt vmcnt(0) lgkmcnt(0)
	v_fma_mixlo_f16 v3, s2, v3, 0
	v_fma_mixlo_f16 v4, s2, v4, 0
	;; [unrolled: 1-line block ×4, first 2 shown]
	v_lshlrev_b32_e32 v4, 16, v4
	v_and_b32_e32 v3, 0xffff, v3
	v_lshlrev_b32_e32 v6, 16, v6
	v_and_b32_e32 v5, 0xffff, v5
	v_or_b32_e32 v3, v4, v3
	v_or3_b32 v4, v6, v5, 0
	v_or3_b32 v3, 0, 0, v3
	ds_write_b64 v7, v[3:4]
.LBB33_12:
	s_or_b64 exec, exec, s[12:13]
	v_or_b32_e32 v3, 6, v0
	buffer_store_dword v3, off, s[84:87], 0 offset:332 ; 4-byte Folded Spill
	s_and_saveexec_b64 s[12:13], s[0:1]
	s_cbranch_execz .LBB33_14
; %bb.13:
	v_or_b32_e32 v7, 6, v0
	v_lshrrev_b32_e32 v3, 1, v7
	v_add_u32_e32 v3, s33, v3
	v_mul_hi_u32 v4, v3, s60
	buffer_load_dword v8, off, s[84:87], 0 offset:168 ; 4-byte Folded Reload
	s_movk_i32 s19, 0xe0
	v_add_u32_e32 v4, v3, v4
	v_lshrrev_b32_e32 v4, s61, v4
	v_mul_lo_u32 v4, v4, s62
	v_sub_u32_e32 v5, v3, v4
	v_mad_u64_u32 v[3:4], s[20:21], s10, v5, 0
	v_mad_u64_u32 v[4:5], s[20:21], s11, v5, v[4:5]
	v_mov_b32_e32 v5, s18
	v_lshlrev_b64 v[3:4], 2, v[3:4]
	v_add_co_u32_e32 v3, vcc, s17, v3
	v_addc_co_u32_e32 v4, vcc, v5, v4, vcc
	v_add_co_u32_e32 v3, vcc, v3, v2
	v_addc_co_u32_e32 v4, vcc, 0, v4, vcc
	global_load_dwordx4 v[3:6], v[3:4], off
	s_waitcnt vmcnt(1)
	v_mad_u32_u24 v7, v7, s19, v8
	s_waitcnt vmcnt(0) lgkmcnt(0)
	v_fma_mixlo_f16 v3, s2, v3, 0
	v_fma_mixlo_f16 v4, s2, v4, 0
	;; [unrolled: 1-line block ×4, first 2 shown]
	v_lshlrev_b32_e32 v4, 16, v4
	v_and_b32_e32 v3, 0xffff, v3
	v_lshlrev_b32_e32 v6, 16, v6
	v_and_b32_e32 v5, 0xffff, v5
	v_or_b32_e32 v3, v4, v3
	v_or3_b32 v4, v6, v5, 0
	v_or3_b32 v3, 0, 0, v3
	ds_write_b64 v7, v[3:4]
.LBB33_14:
	s_or_b64 exec, exec, s[12:13]
	v_or_b32_e32 v3, 7, v0
	buffer_store_dword v3, off, s[84:87], 0 offset:336 ; 4-byte Folded Spill
	s_and_saveexec_b64 s[12:13], s[0:1]
	s_cbranch_execz .LBB33_16
; %bb.15:
	v_or_b32_e32 v6, 7, v0
	v_lshrrev_b32_e32 v3, 1, v6
	v_add_u32_e32 v3, s33, v3
	v_mul_hi_u32 v4, v3, s60
	s_lshl_b64 s[8:9], s[8:9], 2
	s_add_u32 s8, s17, s8
	s_addc_u32 s9, s18, s9
	v_add_u32_e32 v4, v3, v4
	v_lshrrev_b32_e32 v4, s61, v4
	v_mul_lo_u32 v4, v4, s62
	buffer_load_dword v7, off, s[84:87], 0 offset:168 ; 4-byte Folded Reload
	v_sub_u32_e32 v5, v3, v4
	v_mad_u64_u32 v[3:4], s[20:21], s10, v5, 0
	v_mad_u64_u32 v[4:5], s[10:11], s11, v5, v[4:5]
	v_mov_b32_e32 v5, s9
	v_lshlrev_b64 v[3:4], 2, v[3:4]
	v_add_co_u32_e32 v3, vcc, s8, v3
	v_addc_co_u32_e32 v4, vcc, v5, v4, vcc
	v_add_co_u32_e32 v2, vcc, v3, v2
	v_addc_co_u32_e32 v3, vcc, 0, v4, vcc
	global_load_dwordx4 v[2:5], v[2:3], off
	s_movk_i32 s8, 0xe0
	s_waitcnt vmcnt(1)
	v_mad_u32_u24 v6, v6, s8, v7
	s_waitcnt vmcnt(0) lgkmcnt(0)
	v_fma_mixlo_f16 v2, s2, v2, 0
	v_fma_mixlo_f16 v3, s2, v3, 0
	v_fma_mixlo_f16 v4, s2, v4, 0
	v_fma_mixlo_f16 v5, s2, v5, 0
	v_lshlrev_b32_e32 v3, 16, v3
	v_and_b32_e32 v2, 0xffff, v2
	v_lshlrev_b32_e32 v5, 16, v5
	v_and_b32_e32 v4, 0xffff, v4
	v_or_b32_e32 v2, v3, v2
	v_or3_b32 v3, v5, v4, 0
	v_or3_b32 v2, 0, 0, v2
	ds_write_b64 v6, v[2:3]
.LBB33_16:
	s_or_b64 exec, exec, s[12:13]
	s_cmp_eq_u64 s[54:55], 0
	s_waitcnt vmcnt(0) lgkmcnt(0)
	s_barrier
	s_cbranch_scc1 .LBB33_18
; %bb.17:
	s_load_dword s2, s[4:5], 0xd0
	s_mov_b32 s9, 0
	s_waitcnt lgkmcnt(0)
	s_mul_i32 s2, s2, s70
	s_add_i32 s8, s2, s6
	s_lshl_b64 s[8:9], s[8:9], 2
	s_add_u32 s8, s54, s8
	s_addc_u32 s9, s55, s9
	s_load_dword s66, s[8:9], 0x0
.LBB33_18:
	s_lshl_b32 s6, s7, 5
	s_waitcnt lgkmcnt(0)
	s_cmp_lt_i32 s6, s66
	v_mbcnt_lo_u32_b32 v2, -1, 0
	s_cbranch_scc1 .LBB33_21
; %bb.19:
	v_mbcnt_hi_u32_b32 v4, -1, v2
	v_and_b32_e32 v3, 0x60, v4
	v_add_u32_e32 v3, 32, v3
	buffer_store_dword v3, off, s[84:87], 0 offset:180 ; 4-byte Folded Spill
	v_xor_b32_e32 v3, 16, v4
	buffer_store_dword v3, off, s[84:87], 0 offset:184 ; 4-byte Folded Spill
	v_xor_b32_e32 v3, 8, v4
	;; [unrolled: 2-line block ×4, first 2 shown]
	buffer_store_dword v3, off, s[84:87], 0 offset:200 ; 4-byte Folded Spill
	buffer_store_dword v4, off, s[84:87], 0 offset:176 ; 4-byte Folded Spill
	v_xor_b32_e32 v3, 1, v4
	buffer_store_dword v3, off, s[84:87], 0 offset:196 ; 4-byte Folded Spill
	v_lshlrev_b32_e32 v21, 2, v1
	buffer_store_dword v21, off, s[84:87], 0 offset:304 ; 4-byte Folded Spill
	s_cbranch_execz .LBB33_22
; %bb.20:
	v_mov_b32_e32 v68, 0
	v_mov_b32_e32 v100, 0
	;; [unrolled: 1-line block ×32, first 2 shown]
	s_branch .LBB33_50
.LBB33_21:
                                        ; implicit-def: $vgpr3
                                        ; kill: killed $vgpr3
                                        ; implicit-def: $vgpr3
                                        ; kill: killed $vgpr3
	;; [unrolled: 2-line block ×7, first 2 shown]
	v_lshlrev_b32_e32 v21, 2, v1
	buffer_store_dword v21, off, s[84:87], 0 offset:304 ; 4-byte Folded Spill
.LBB33_22:
	s_load_dwordx2 s[12:13], s[4:5], 0x8c
	s_load_dwordx4 s[8:11], s[4:5], 0x98
	buffer_load_dword v20, off, s[84:87], 0 offset:172 ; 4-byte Folded Reload
	s_sub_i32 s2, 0, s14
	s_mul_i32 s2, s2, s16
	s_waitcnt lgkmcnt(0)
	s_ashr_i32 s67, s12, 2
	s_ashr_i32 s65, s10, 2
	;; [unrolled: 1-line block ×4, first 2 shown]
	s_mul_hi_u32 s12, s8, s70
	s_mul_i32 s20, s8, s3
	s_mul_hi_u32 s2, s16, s2
	s_add_i32 s12, s12, s20
	s_mul_i32 s9, s9, s70
	s_abs_i32 s18, s64
	s_add_i32 s16, s16, s2
	s_ashr_i32 s19, s64, 31
	s_ashr_i32 s15, s15, 31
	s_add_i32 s12, s12, s9
	s_mul_i32 s8, s8, s70
	s_mul_hi_u32 s2, s18, s16
	s_add_u32 s8, s46, s8
	s_addc_u32 s9, s47, s12
	s_xor_b32 s12, s19, s15
	s_mul_i32 s15, s2, s14
	s_sub_i32 s15, s18, s15
	s_add_i32 s18, s2, 1
	s_sub_i32 s19, s15, s14
	s_cmp_ge_u32 s15, s14
	s_cselect_b32 s2, s18, s2
	s_cselect_b32 s15, s19, s15
	s_add_i32 s18, s2, 1
	s_cmp_ge_u32 s15, s14
	s_load_dwordx2 s[16:17], s[4:5], 0xa8
	s_cselect_b32 s2, s18, s2
	s_xor_b32 s2, s2, s12
	s_sub_i32 s2, s2, s12
	s_mul_i32 s12, s2, s13
	s_ashr_i32 s13, s12, 31
	s_add_u32 s71, s8, s12
	s_waitcnt lgkmcnt(0)
	s_mul_hi_u32 s8, s16, s70
	s_mul_i32 s3, s16, s3
	s_addc_u32 s72, s9, s13
	s_add_i32 s3, s8, s3
	s_mul_i32 s8, s17, s70
	s_add_i32 s3, s3, s8
	s_mul_i32 s8, s16, s70
	s_add_u32 s8, s48, s8
	s_mul_i32 s2, s2, s11
	s_addc_u32 s3, s49, s3
	s_ashr_i32 s9, s2, 31
	s_add_u32 s73, s8, s2
	s_addc_u32 s74, s3, s9
	v_mul_u32_u24_e32 v125, 0x700, v1
	s_movk_i32 s15, 0x3880
	s_movk_i32 s14, 0x3800
	v_mbcnt_hi_u32_b32 v2, -1, v2
	s_add_u32 s54, s4, 0xd0
	v_mov_b32_e32 v53, 0
	s_addc_u32 s55, s5, 0
	s_mov_b32 s75, 0x3fb8aa3b
	s_mov_b32 s76, 0xc2ce8ed0
	;; [unrolled: 1-line block ×4, first 2 shown]
	v_mov_b32_e32 v54, 0
	v_mov_b32_e32 v56, 0
	;; [unrolled: 1-line block ×15, first 2 shown]
	s_waitcnt vmcnt(0)
	v_lshrrev_b32_e32 v4, 1, v20
	v_lshl_add_u32 v9, v1, 4, v4
	v_lshrrev_b32_e32 v4, 2, v20
	v_lshlrev_b32_e32 v19, 2, v20
	v_add_u32_e32 v10, v4, v0
	v_lshlrev_b32_e32 v0, 7, v20
	v_and_b32_e32 v13, 4, v19
	v_add_u32_e32 v4, 0x3800, v0
	v_add_u32_e32 v0, 0x3860, v0
	v_lshlrev_b32_e32 v11, 2, v13
	buffer_store_dword v0, off, s[84:87], 0 offset:204 ; 4-byte Folded Spill
	v_lshl_or_b32 v0, v9, 7, v11
	v_add_u32_e32 v0, 0x3840, v0
	buffer_store_dword v0, off, s[84:87], 0 offset:208 ; 4-byte Folded Spill
	v_add_u32_e32 v0, s33, v21
	v_mul_hi_u32 v8, s60, v0
	v_add_u32_e32 v17, 1, v0
	v_mul_hi_u32 v18, s60, v17
	v_and_b32_e32 v14, 12, v19
	v_add_u32_e32 v8, v0, v8
	v_lshrrev_b32_e32 v8, s61, v8
	v_mul_lo_u32 v16, v8, s62
	v_lshlrev_b32_e32 v12, 2, v14
	v_lshl_or_b32 v15, v10, 7, v12
	v_add_u32_e32 v8, 0x3800, v15
	v_sub_u32_e32 v15, v0, v16
	v_add_u32_e32 v16, v17, v18
	v_lshrrev_b32_e32 v16, s61, v16
	v_mul_lo_u32 v15, v15, s10
	v_mul_lo_u32 v16, v16, s62
	v_lshl_add_u32 v3, v1, 5, v20
	v_cmp_gt_u32_e32 vcc, 32, v3
	buffer_store_dword v15, off, s[84:87], 0 offset:216 ; 4-byte Folded Spill
	v_add_u32_e32 v15, 2, v0
	v_add_u32_e32 v0, 3, v0
	v_sub_u32_e32 v16, v17, v16
	v_mul_hi_u32 v17, s60, v0
	v_mul_hi_u32 v18, s60, v15
	v_mul_lo_u32 v3, s67, v3
	v_mul_lo_u32 v5, s67, v9
	v_add_u32_e32 v17, v0, v17
	v_lshrrev_b32_e32 v17, s61, v17
	v_add_u32_e32 v18, v15, v18
	v_mul_lo_u32 v17, v17, s62
	v_lshrrev_b32_e32 v18, s61, v18
	v_mul_lo_u32 v18, v18, s62
	v_mul_lo_u32 v16, v16, s10
	v_sub_u32_e32 v0, v0, v17
	v_mul_lo_u32 v0, v0, s10
	v_sub_u32_e32 v15, v15, v18
	v_mul_lo_u32 v15, v15, s10
	v_cmp_gt_u32_e64 s[2:3], 32, v9
	buffer_store_dword v0, off, s[84:87], 0 offset:228 ; 4-byte Folded Spill
	v_mov_b32_e32 v0, 0x4840
	v_lshl_add_u32 v106, v1, 9, v0
	v_lshrrev_b32_e32 v0, 3, v20
	v_cmp_gt_u32_e64 s[48:49], 32, v10
	buffer_store_dword v4, off, s[84:87], 0 ; 4-byte Folded Spill
	v_ashrrev_i32_e32 v4, 31, v3
	v_mul_lo_u32 v7, s67, v10
	buffer_store_dword v15, off, s[84:87], 0 offset:224 ; 4-byte Folded Spill
	v_cmp_gt_u32_e64 s[8:9], 16, v9
	v_cmp_gt_u32_e64 s[10:11], 16, v10
	v_add_u32_e32 v15, v0, v21
	v_mul_lo_u32 v0, s65, v9
	v_mul_u32_u24_e32 v1, 0xe0, v9
	v_mul_lo_u32 v9, s65, v10
	v_mul_u32_u24_e32 v10, 0xe0, v10
	v_and_b32_e32 v17, 28, v19
	v_cmp_gt_u32_e64 s[12:13], 16, v15
	v_or_b32_e32 v1, v1, v11
	v_add3_u32 v10, v10, v12, s15
	v_mul_lo_u32 v11, s65, v15
	v_mul_u32_u24_e32 v12, 0xe0, v15
	v_lshlrev_b32_e32 v15, 2, v17
	v_lshlrev_b64 v[3:4], 2, v[3:4]
	v_add_u32_e32 v1, 0x38c0, v1
	v_add3_u32 v12, v12, v15, s14
	v_ashrrev_i32_e32 v6, 31, v5
	buffer_store_dword v8, off, s[84:87], 0 offset:212 ; 4-byte Folded Spill
	buffer_store_dword v16, off, s[84:87], 0 offset:220 ; 4-byte Folded Spill
	;; [unrolled: 1-line block ×7, first 2 shown]
	s_nop 0
	buffer_store_dword v4, off, s[84:87], 0 offset:256 ; 4-byte Folded Spill
	v_lshlrev_b64 v[3:4], 2, v[5:6]
	v_ashrrev_i32_e32 v8, 31, v7
	buffer_store_dword v3, off, s[84:87], 0 offset:260 ; 4-byte Folded Spill
	s_nop 0
	buffer_store_dword v4, off, s[84:87], 0 offset:264 ; 4-byte Folded Spill
	v_lshlrev_b64 v[3:4], 2, v[7:8]
	v_lshlrev_b32_e32 v16, 4, v20
	buffer_store_dword v3, off, s[84:87], 0 offset:268 ; 4-byte Folded Spill
	s_nop 0
	buffer_store_dword v4, off, s[84:87], 0 offset:272 ; 4-byte Folded Spill
	v_ashrrev_i32_e32 v1, 31, v0
	v_add_u32_e32 v3, v106, v16
	buffer_store_dword v3, off, s[84:87], 0 offset:276 ; 4-byte Folded Spill
	v_lshlrev_b32_e32 v3, 2, v13
	v_lshlrev_b64 v[0:1], 2, v[0:1]
	buffer_store_dword v3, off, s[84:87], 0 offset:4 ; 4-byte Folded Spill
	v_lshlrev_b32_e32 v3, 2, v14
	v_ashrrev_i32_e32 v10, 31, v9
	buffer_store_dword v3, off, s[84:87], 0 offset:8 ; 4-byte Folded Spill
	buffer_store_dword v2, off, s[84:87], 0 offset:176 ; 4-byte Folded Spill
	;; [unrolled: 1-line block ×3, first 2 shown]
	s_nop 0
	buffer_store_dword v1, off, s[84:87], 0 offset:284 ; 4-byte Folded Spill
	v_lshlrev_b64 v[0:1], 2, v[9:10]
	v_ashrrev_i32_e32 v12, 31, v11
	buffer_store_dword v0, off, s[84:87], 0 offset:288 ; 4-byte Folded Spill
	s_nop 0
	buffer_store_dword v1, off, s[84:87], 0 offset:292 ; 4-byte Folded Spill
	v_lshlrev_b64 v[0:1], 2, v[11:12]
	buffer_store_dword v0, off, s[84:87], 0 offset:296 ; 4-byte Folded Spill
	s_nop 0
	buffer_store_dword v1, off, s[84:87], 0 offset:300 ; 4-byte Folded Spill
	v_mov_b32_e32 v0, 0
	buffer_store_dword v0, off, s[84:87], 0 offset:72 ; 4-byte Folded Spill
	v_mov_b32_e32 v0, 0
	;; [unrolled: 2-line block ×7, first 2 shown]
	v_mov_b32_e32 v15, 0xfeffffff
	v_mov_b32_e32 v16, 0xfeffffff
	;; [unrolled: 1-line block ×8, first 2 shown]
	buffer_store_dword v0, off, s[84:87], 0 offset:96 ; 4-byte Folded Spill
	v_mov_b32_e32 v0, 0
	buffer_store_dword v0, off, s[84:87], 0 offset:100 ; 4-byte Folded Spill
	buffer_store_dword v106, off, s[84:87], 0 offset:232 ; 4-byte Folded Spill
.LBB33_23:                              ; =>This Inner Loop Header: Depth=1
	s_mul_hi_i32 s15, s6, s67
	s_mul_i32 s14, s6, s67
	s_lshl_b64 s[14:15], s[14:15], 2
	s_add_u32 s18, s71, s14
	s_addc_u32 s19, s72, s15
	s_and_saveexec_b64 s[16:17], vcc
	s_cbranch_execnz .LBB33_45
; %bb.24:                               ;   in Loop: Header=BB33_23 Depth=1
	s_or_b64 exec, exec, s[16:17]
	s_and_saveexec_b64 s[16:17], s[2:3]
	s_cbranch_execnz .LBB33_46
.LBB33_25:                              ;   in Loop: Header=BB33_23 Depth=1
	s_or_b64 exec, exec, s[16:17]
	s_and_saveexec_b64 s[16:17], s[48:49]
	s_cbranch_execz .LBB33_27
.LBB33_26:                              ;   in Loop: Header=BB33_23 Depth=1
	buffer_load_dword v1, off, s[84:87], 0 offset:268 ; 4-byte Folded Reload
	buffer_load_dword v2, off, s[84:87], 0 offset:272 ; 4-byte Folded Reload
	v_mov_b32_e32 v0, s19
	buffer_load_dword v4, off, s[84:87], 0 offset:212 ; 4-byte Folded Reload
	s_waitcnt vmcnt(2)
	v_add_co_u32_e64 v1, s[14:15], s18, v1
	s_waitcnt vmcnt(1)
	v_addc_co_u32_e64 v2, s[14:15], v0, v2, s[14:15]
	buffer_load_dword v0, off, s[84:87], 0 offset:8 ; 4-byte Folded Reload
	s_waitcnt vmcnt(0)
	v_add_co_u32_e64 v0, s[14:15], v1, v0
	v_addc_co_u32_e64 v1, s[14:15], 0, v2, s[14:15]
	global_load_dwordx4 v[0:3], v[0:1], off
	s_waitcnt vmcnt(0)
	ds_write_b128 v4, v[0:3]
.LBB33_27:                              ;   in Loop: Header=BB33_23 Depth=1
	s_or_b64 exec, exec, s[16:17]
	s_waitcnt vmcnt(0) lgkmcnt(0)
	s_barrier
	buffer_load_dword v61, off, s[84:87], 0 ; 4-byte Folded Reload
	v_mov_b32_e32 v8, 0
	v_mov_b32_e32 v5, 0
	;; [unrolled: 1-line block ×5, first 2 shown]
	s_waitcnt vmcnt(0)
	ds_read_b128 v[17:20], v61
	ds_read_b128 v[0:3], v125
	ds_read_b128 v[21:24], v125 offset:224
	ds_read_b128 v[25:28], v125 offset:448
	;; [unrolled: 1-line block ×7, first 2 shown]
	s_waitcnt lgkmcnt(7)
	;;#ASMSTART
	v_dot2_f32_f16 v8, v17, v0, v8
	;;#ASMEND
	;;#ASMSTART
	v_dot2_f32_f16 v8, v18, v1, v8
	;;#ASMEND
	;; [unrolled: 3-line block ×4, first 2 shown]
	s_waitcnt lgkmcnt(6)
	;;#ASMSTART
	v_dot2_f32_f16 v5, v17, v21, v5
	;;#ASMEND
	;;#ASMSTART
	v_dot2_f32_f16 v5, v18, v22, v5
	;;#ASMEND
	;;#ASMSTART
	v_dot2_f32_f16 v5, v19, v23, v5
	;;#ASMEND
	v_mov_b32_e32 v1, 0
	;;#ASMSTART
	v_dot2_f32_f16 v5, v20, v24, v5
	;;#ASMEND
	s_waitcnt lgkmcnt(5)
	;;#ASMSTART
	v_dot2_f32_f16 v1, v17, v25, v1
	;;#ASMEND
	;;#ASMSTART
	v_dot2_f32_f16 v1, v18, v26, v1
	;;#ASMEND
	;;#ASMSTART
	v_dot2_f32_f16 v1, v19, v27, v1
	;;#ASMEND
	v_mov_b32_e32 v2, 0
	;;#ASMSTART
	v_dot2_f32_f16 v1, v20, v28, v1
	;;#ASMEND
	s_waitcnt lgkmcnt(4)
	;;#ASMSTART
	v_dot2_f32_f16 v2, v17, v29, v2
	;;#ASMEND
	;;#ASMSTART
	v_dot2_f32_f16 v2, v18, v30, v2
	;;#ASMEND
	;;#ASMSTART
	v_dot2_f32_f16 v2, v19, v31, v2
	;;#ASMEND
	v_mov_b32_e32 v3, 0
	;;#ASMSTART
	v_dot2_f32_f16 v2, v20, v32, v2
	;;#ASMEND
	s_waitcnt lgkmcnt(3)
	;;#ASMSTART
	v_dot2_f32_f16 v3, v17, v33, v3
	;;#ASMEND
	;;#ASMSTART
	v_dot2_f32_f16 v3, v18, v34, v3
	;;#ASMEND
	;;#ASMSTART
	v_dot2_f32_f16 v3, v19, v35, v3
	;;#ASMEND
	;;#ASMSTART
	v_dot2_f32_f16 v3, v20, v36, v3
	;;#ASMEND
	s_waitcnt lgkmcnt(2)
	;;#ASMSTART
	v_dot2_f32_f16 v4, v17, v37, v4
	;;#ASMEND
	;;#ASMSTART
	v_dot2_f32_f16 v4, v18, v38, v4
	;;#ASMEND
	;;#ASMSTART
	v_dot2_f32_f16 v4, v19, v39, v4
	;;#ASMEND
	;;#ASMSTART
	v_dot2_f32_f16 v4, v20, v40, v4
	;;#ASMEND
	;; [unrolled: 13-line block ×4, first 2 shown]
	ds_read_b128 v[17:20], v61 offset:16
	ds_read_b128 v[21:24], v125 offset:16
	;; [unrolled: 1-line block ×9, first 2 shown]
	s_waitcnt lgkmcnt(7)
	;;#ASMSTART
	v_dot2_f32_f16 v8, v17, v21, v8
	;;#ASMEND
	;;#ASMSTART
	v_dot2_f32_f16 v8, v18, v22, v8
	;;#ASMEND
	;;#ASMSTART
	v_dot2_f32_f16 v8, v19, v23, v8
	;;#ASMEND
	;;#ASMSTART
	v_dot2_f32_f16 v8, v20, v24, v8
	;;#ASMEND
	s_waitcnt lgkmcnt(6)
	;;#ASMSTART
	v_dot2_f32_f16 v5, v17, v25, v5
	;;#ASMEND
	;;#ASMSTART
	v_dot2_f32_f16 v5, v18, v26, v5
	;;#ASMEND
	;;#ASMSTART
	v_dot2_f32_f16 v5, v19, v27, v5
	;;#ASMEND
	;;#ASMSTART
	v_dot2_f32_f16 v5, v20, v28, v5
	;;#ASMEND
	;; [unrolled: 13-line block ×8, first 2 shown]
	ds_read_b128 v[17:20], v61 offset:32
	ds_read_b128 v[21:24], v125 offset:32
	;; [unrolled: 1-line block ×9, first 2 shown]
	s_waitcnt lgkmcnt(7)
	;;#ASMSTART
	v_dot2_f32_f16 v8, v17, v21, v8
	;;#ASMEND
	;;#ASMSTART
	v_dot2_f32_f16 v8, v18, v22, v8
	;;#ASMEND
	;;#ASMSTART
	v_dot2_f32_f16 v8, v19, v23, v8
	;;#ASMEND
	;;#ASMSTART
	v_dot2_f32_f16 v8, v20, v24, v8
	;;#ASMEND
	s_waitcnt lgkmcnt(6)
	;;#ASMSTART
	v_dot2_f32_f16 v5, v17, v25, v5
	;;#ASMEND
	;;#ASMSTART
	v_dot2_f32_f16 v5, v18, v26, v5
	;;#ASMEND
	;;#ASMSTART
	v_dot2_f32_f16 v5, v19, v27, v5
	;;#ASMEND
	;;#ASMSTART
	v_dot2_f32_f16 v5, v20, v28, v5
	;;#ASMEND
	;; [unrolled: 13-line block ×8, first 2 shown]
	ds_read_b128 v[17:20], v61 offset:48
	ds_read_b128 v[21:24], v125 offset:48
	;; [unrolled: 1-line block ×9, first 2 shown]
	s_waitcnt lgkmcnt(7)
	;;#ASMSTART
	v_dot2_f32_f16 v8, v17, v21, v8
	;;#ASMEND
	;;#ASMSTART
	v_dot2_f32_f16 v8, v18, v22, v8
	;;#ASMEND
	;;#ASMSTART
	v_dot2_f32_f16 v8, v19, v23, v8
	;;#ASMEND
	;;#ASMSTART
	v_dot2_f32_f16 v8, v20, v24, v8
	;;#ASMEND
	s_waitcnt lgkmcnt(6)
	;;#ASMSTART
	v_dot2_f32_f16 v5, v17, v25, v5
	;;#ASMEND
	;;#ASMSTART
	v_dot2_f32_f16 v5, v18, v26, v5
	;;#ASMEND
	;;#ASMSTART
	v_dot2_f32_f16 v5, v19, v27, v5
	;;#ASMEND
	;;#ASMSTART
	v_dot2_f32_f16 v5, v20, v28, v5
	;;#ASMEND
	;; [unrolled: 13-line block ×8, first 2 shown]
	ds_read_b128 v[17:20], v61 offset:64
	ds_read_b128 v[21:24], v125 offset:64
	;; [unrolled: 1-line block ×9, first 2 shown]
	s_waitcnt lgkmcnt(7)
	;;#ASMSTART
	v_dot2_f32_f16 v8, v17, v21, v8
	;;#ASMEND
	;;#ASMSTART
	v_dot2_f32_f16 v8, v18, v22, v8
	;;#ASMEND
	;;#ASMSTART
	v_dot2_f32_f16 v8, v19, v23, v8
	;;#ASMEND
	;;#ASMSTART
	v_dot2_f32_f16 v8, v20, v24, v8
	;;#ASMEND
	s_waitcnt lgkmcnt(6)
	;;#ASMSTART
	v_dot2_f32_f16 v5, v17, v25, v5
	;;#ASMEND
	;;#ASMSTART
	v_dot2_f32_f16 v5, v18, v26, v5
	;;#ASMEND
	;;#ASMSTART
	v_dot2_f32_f16 v5, v19, v27, v5
	;;#ASMEND
	;;#ASMSTART
	v_dot2_f32_f16 v5, v20, v28, v5
	;;#ASMEND
	s_waitcnt lgkmcnt(5)
	;;#ASMSTART
	v_dot2_f32_f16 v1, v17, v29, v1
	;;#ASMEND
	;;#ASMSTART
	v_dot2_f32_f16 v1, v18, v30, v1
	;;#ASMEND
	;;#ASMSTART
	v_dot2_f32_f16 v1, v19, v31, v1
	;;#ASMEND
	;;#ASMSTART
	v_dot2_f32_f16 v1, v20, v32, v1
	;;#ASMEND
	s_waitcnt lgkmcnt(4)
	;;#ASMSTART
	v_dot2_f32_f16 v2, v17, v33, v2
	;;#ASMEND
	;;#ASMSTART
	v_dot2_f32_f16 v2, v18, v34, v2
	;;#ASMEND
	;;#ASMSTART
	v_dot2_f32_f16 v2, v19, v35, v2
	;;#ASMEND
	;;#ASMSTART
	v_dot2_f32_f16 v2, v20, v36, v2
	;;#ASMEND
	s_waitcnt lgkmcnt(3)
	;;#ASMSTART
	v_dot2_f32_f16 v3, v17, v37, v3
	;;#ASMEND
	;;#ASMSTART
	v_dot2_f32_f16 v3, v18, v38, v3
	;;#ASMEND
	;;#ASMSTART
	v_dot2_f32_f16 v3, v19, v39, v3
	;;#ASMEND
	;;#ASMSTART
	v_dot2_f32_f16 v3, v20, v40, v3
	;;#ASMEND
	s_waitcnt lgkmcnt(2)
	;;#ASMSTART
	v_dot2_f32_f16 v4, v17, v41, v4
	;;#ASMEND
	;;#ASMSTART
	v_dot2_f32_f16 v4, v18, v42, v4
	;;#ASMEND
	;;#ASMSTART
	v_dot2_f32_f16 v4, v19, v43, v4
	;;#ASMEND
	;;#ASMSTART
	v_dot2_f32_f16 v4, v20, v44, v4
	;;#ASMEND
	s_waitcnt lgkmcnt(1)
	;;#ASMSTART
	v_dot2_f32_f16 v7, v17, v45, v7
	;;#ASMEND
	;;#ASMSTART
	v_dot2_f32_f16 v7, v18, v46, v7
	;;#ASMEND
	;;#ASMSTART
	v_dot2_f32_f16 v7, v19, v47, v7
	;;#ASMEND
	;;#ASMSTART
	v_dot2_f32_f16 v7, v20, v48, v7
	;;#ASMEND
	s_waitcnt lgkmcnt(0)
	;;#ASMSTART
	v_dot2_f32_f16 v6, v17, v49, v6
	;;#ASMEND
	;;#ASMSTART
	v_dot2_f32_f16 v6, v18, v50, v6
	;;#ASMEND
	;;#ASMSTART
	v_dot2_f32_f16 v6, v19, v51, v6
	;;#ASMEND
	;;#ASMSTART
	v_dot2_f32_f16 v6, v20, v52, v6
	;;#ASMEND
	ds_read_b128 v[17:20], v61 offset:80
	ds_read_b128 v[21:24], v125 offset:80
	;; [unrolled: 1-line block ×9, first 2 shown]
	s_waitcnt lgkmcnt(7)
	;;#ASMSTART
	v_dot2_f32_f16 v8, v17, v21, v8
	;;#ASMEND
	;;#ASMSTART
	v_dot2_f32_f16 v8, v18, v22, v8
	;;#ASMEND
	;;#ASMSTART
	v_dot2_f32_f16 v8, v19, v23, v8
	;;#ASMEND
	;;#ASMSTART
	v_dot2_f32_f16 v8, v20, v24, v8
	;;#ASMEND
	s_waitcnt lgkmcnt(6)
	;;#ASMSTART
	v_dot2_f32_f16 v5, v17, v25, v5
	;;#ASMEND
	;;#ASMSTART
	v_dot2_f32_f16 v5, v18, v26, v5
	;;#ASMEND
	;;#ASMSTART
	v_dot2_f32_f16 v5, v19, v27, v5
	;;#ASMEND
	;;#ASMSTART
	v_dot2_f32_f16 v5, v20, v28, v5
	;;#ASMEND
	;; [unrolled: 13-line block ×8, first 2 shown]
	ds_read_b128 v[17:20], v61 offset:96
	ds_read_b128 v[21:24], v125 offset:96
	;; [unrolled: 1-line block ×9, first 2 shown]
	s_waitcnt lgkmcnt(7)
	;;#ASMSTART
	v_dot2_f32_f16 v8, v17, v21, v8
	;;#ASMEND
	;;#ASMSTART
	v_dot2_f32_f16 v8, v18, v22, v8
	;;#ASMEND
	;;#ASMSTART
	v_dot2_f32_f16 v8, v19, v23, v8
	;;#ASMEND
	;;#ASMSTART
	v_dot2_f32_f16 v8, v20, v24, v8
	;;#ASMEND
	s_waitcnt lgkmcnt(6)
	;;#ASMSTART
	v_dot2_f32_f16 v5, v17, v25, v5
	;;#ASMEND
	;;#ASMSTART
	v_dot2_f32_f16 v5, v18, v26, v5
	;;#ASMEND
	;;#ASMSTART
	v_dot2_f32_f16 v5, v19, v27, v5
	;;#ASMEND
	;;#ASMSTART
	v_dot2_f32_f16 v5, v20, v28, v5
	;;#ASMEND
	s_waitcnt lgkmcnt(5)
	;;#ASMSTART
	v_dot2_f32_f16 v1, v17, v29, v1
	;;#ASMEND
	;;#ASMSTART
	v_dot2_f32_f16 v1, v18, v30, v1
	;;#ASMEND
	;;#ASMSTART
	v_dot2_f32_f16 v1, v19, v31, v1
	;;#ASMEND
	;;#ASMSTART
	v_dot2_f32_f16 v1, v20, v32, v1
	;;#ASMEND
	s_waitcnt lgkmcnt(4)
	;;#ASMSTART
	v_dot2_f32_f16 v2, v17, v33, v2
	;;#ASMEND
	;;#ASMSTART
	v_dot2_f32_f16 v2, v18, v34, v2
	;;#ASMEND
	;;#ASMSTART
	v_dot2_f32_f16 v2, v19, v35, v2
	;;#ASMEND
	;;#ASMSTART
	v_dot2_f32_f16 v2, v20, v36, v2
	;;#ASMEND
	s_waitcnt lgkmcnt(3)
	;;#ASMSTART
	v_dot2_f32_f16 v3, v17, v37, v3
	;;#ASMEND
	;;#ASMSTART
	v_dot2_f32_f16 v3, v18, v38, v3
	;;#ASMEND
	;;#ASMSTART
	v_dot2_f32_f16 v3, v19, v39, v3
	;;#ASMEND
	;;#ASMSTART
	v_dot2_f32_f16 v3, v20, v40, v3
	;;#ASMEND
	s_waitcnt lgkmcnt(2)
	;;#ASMSTART
	v_dot2_f32_f16 v4, v17, v41, v4
	;;#ASMEND
	;;#ASMSTART
	v_dot2_f32_f16 v4, v18, v42, v4
	;;#ASMEND
	;;#ASMSTART
	v_dot2_f32_f16 v4, v19, v43, v4
	;;#ASMEND
	;;#ASMSTART
	v_dot2_f32_f16 v4, v20, v44, v4
	;;#ASMEND
	s_waitcnt lgkmcnt(1)
	;;#ASMSTART
	v_dot2_f32_f16 v7, v17, v45, v7
	;;#ASMEND
	;;#ASMSTART
	v_dot2_f32_f16 v7, v18, v46, v7
	;;#ASMEND
	;;#ASMSTART
	v_dot2_f32_f16 v7, v19, v47, v7
	;;#ASMEND
	;;#ASMSTART
	v_dot2_f32_f16 v7, v20, v48, v7
	;;#ASMEND
	s_waitcnt lgkmcnt(0)
	;;#ASMSTART
	v_dot2_f32_f16 v6, v17, v49, v6
	;;#ASMEND
	;;#ASMSTART
	v_dot2_f32_f16 v6, v18, v50, v6
	;;#ASMEND
	;;#ASMSTART
	v_dot2_f32_f16 v6, v19, v51, v6
	;;#ASMEND
	;;#ASMSTART
	v_dot2_f32_f16 v6, v20, v52, v6
	;;#ASMEND
	s_barrier
	s_and_saveexec_b64 s[16:17], vcc
	s_cbranch_execnz .LBB33_47
; %bb.28:                               ;   in Loop: Header=BB33_23 Depth=1
	s_or_b64 exec, exec, s[16:17]
	s_and_saveexec_b64 s[16:17], s[2:3]
	s_cbranch_execnz .LBB33_48
.LBB33_29:                              ;   in Loop: Header=BB33_23 Depth=1
	s_or_b64 exec, exec, s[16:17]
	s_and_saveexec_b64 s[16:17], s[48:49]
	s_cbranch_execz .LBB33_31
.LBB33_30:                              ;   in Loop: Header=BB33_23 Depth=1
	buffer_load_dword v17, off, s[84:87], 0 offset:268 ; 4-byte Folded Reload
	buffer_load_dword v18, off, s[84:87], 0 offset:272 ; 4-byte Folded Reload
	v_mov_b32_e32 v0, s19
	s_waitcnt vmcnt(1)
	v_add_co_u32_e64 v17, s[14:15], s18, v17
	s_waitcnt vmcnt(0)
	v_addc_co_u32_e64 v0, s[14:15], v0, v18, s[14:15]
	buffer_load_dword v18, off, s[84:87], 0 offset:8 ; 4-byte Folded Reload
	s_waitcnt vmcnt(0)
	v_add_co_u32_e64 v17, s[14:15], v17, v18
	v_addc_co_u32_e64 v18, s[14:15], 0, v0, s[14:15]
	global_load_dwordx4 v[17:20], v[17:18], off offset:112
	s_nop 0
	buffer_load_dword v0, off, s[84:87], 0 offset:212 ; 4-byte Folded Reload
	s_waitcnt vmcnt(0)
	ds_write_b128 v0, v[17:20]
.LBB33_31:                              ;   in Loop: Header=BB33_23 Depth=1
	s_or_b64 exec, exec, s[16:17]
	s_waitcnt lgkmcnt(0)
	s_barrier
	buffer_load_dword v0, off, s[84:87], 0  ; 4-byte Folded Reload
	s_mul_hi_i32 s51, s6, s65
	s_mul_i32 s50, s6, s65
	s_lshl_b64 s[50:51], s[50:51], 2
	s_add_u32 s79, s73, s50
	s_addc_u32 s80, s74, s51
	s_waitcnt vmcnt(0)
	ds_read_b128 v[17:20], v0
	ds_read_b128 v[21:24], v125 offset:112
	ds_read_b128 v[25:28], v125 offset:336
	;; [unrolled: 1-line block ×8, first 2 shown]
	s_waitcnt lgkmcnt(7)
	;;#ASMSTART
	v_dot2_f32_f16 v8, v17, v21, v8
	;;#ASMEND
	;;#ASMSTART
	v_dot2_f32_f16 v8, v18, v22, v8
	;;#ASMEND
	;;#ASMSTART
	v_dot2_f32_f16 v8, v19, v23, v8
	;;#ASMEND
	;;#ASMSTART
	v_dot2_f32_f16 v8, v20, v24, v8
	;;#ASMEND
	s_waitcnt lgkmcnt(6)
	;;#ASMSTART
	v_dot2_f32_f16 v5, v17, v25, v5
	;;#ASMEND
	;;#ASMSTART
	v_dot2_f32_f16 v5, v18, v26, v5
	;;#ASMEND
	;;#ASMSTART
	v_dot2_f32_f16 v5, v19, v27, v5
	;;#ASMEND
	;;#ASMSTART
	v_dot2_f32_f16 v5, v20, v28, v5
	;;#ASMEND
	;; [unrolled: 13-line block ×8, first 2 shown]
	ds_read_b128 v[17:20], v0 offset:16
	ds_read_b128 v[21:24], v125 offset:128
	ds_read_b128 v[25:28], v125 offset:352
	ds_read_b128 v[29:32], v125 offset:576
	ds_read_b128 v[33:36], v125 offset:800
	ds_read_b128 v[37:40], v125 offset:1024
	ds_read_b128 v[41:44], v125 offset:1248
	ds_read_b128 v[45:48], v125 offset:1472
	ds_read_b128 v[49:52], v125 offset:1696
	s_waitcnt lgkmcnt(7)
	;;#ASMSTART
	v_dot2_f32_f16 v8, v17, v21, v8
	;;#ASMEND
	;;#ASMSTART
	v_dot2_f32_f16 v8, v18, v22, v8
	;;#ASMEND
	;;#ASMSTART
	v_dot2_f32_f16 v8, v19, v23, v8
	;;#ASMEND
	;;#ASMSTART
	v_dot2_f32_f16 v8, v20, v24, v8
	;;#ASMEND
	s_waitcnt lgkmcnt(6)
	;;#ASMSTART
	v_dot2_f32_f16 v5, v17, v25, v5
	;;#ASMEND
	;;#ASMSTART
	v_dot2_f32_f16 v5, v18, v26, v5
	;;#ASMEND
	;;#ASMSTART
	v_dot2_f32_f16 v5, v19, v27, v5
	;;#ASMEND
	;;#ASMSTART
	v_dot2_f32_f16 v5, v20, v28, v5
	;;#ASMEND
	;; [unrolled: 13-line block ×8, first 2 shown]
	ds_read_b128 v[17:20], v0 offset:32
	ds_read_b128 v[21:24], v125 offset:144
	;; [unrolled: 1-line block ×9, first 2 shown]
	s_waitcnt lgkmcnt(7)
	;;#ASMSTART
	v_dot2_f32_f16 v8, v17, v21, v8
	;;#ASMEND
	;;#ASMSTART
	v_dot2_f32_f16 v8, v18, v22, v8
	;;#ASMEND
	;;#ASMSTART
	v_dot2_f32_f16 v8, v19, v23, v8
	;;#ASMEND
	;;#ASMSTART
	v_dot2_f32_f16 v8, v20, v24, v8
	;;#ASMEND
	s_waitcnt lgkmcnt(6)
	;;#ASMSTART
	v_dot2_f32_f16 v5, v17, v25, v5
	;;#ASMEND
	;;#ASMSTART
	v_dot2_f32_f16 v5, v18, v26, v5
	;;#ASMEND
	;;#ASMSTART
	v_dot2_f32_f16 v5, v19, v27, v5
	;;#ASMEND
	;;#ASMSTART
	v_dot2_f32_f16 v5, v20, v28, v5
	;;#ASMEND
	;; [unrolled: 13-line block ×8, first 2 shown]
	ds_read_b128 v[17:20], v0 offset:48
	ds_read_b128 v[21:24], v125 offset:160
	;; [unrolled: 1-line block ×9, first 2 shown]
	s_waitcnt lgkmcnt(7)
	;;#ASMSTART
	v_dot2_f32_f16 v8, v17, v21, v8
	;;#ASMEND
	;;#ASMSTART
	v_dot2_f32_f16 v8, v18, v22, v8
	;;#ASMEND
	;;#ASMSTART
	v_dot2_f32_f16 v8, v19, v23, v8
	;;#ASMEND
	;;#ASMSTART
	v_dot2_f32_f16 v8, v20, v24, v8
	;;#ASMEND
	s_waitcnt lgkmcnt(6)
	;;#ASMSTART
	v_dot2_f32_f16 v5, v17, v25, v5
	;;#ASMEND
	;;#ASMSTART
	v_dot2_f32_f16 v5, v18, v26, v5
	;;#ASMEND
	;;#ASMSTART
	v_dot2_f32_f16 v5, v19, v27, v5
	;;#ASMEND
	;;#ASMSTART
	v_dot2_f32_f16 v5, v20, v28, v5
	;;#ASMEND
	;; [unrolled: 13-line block ×8, first 2 shown]
	ds_read_b128 v[17:20], v0 offset:64
	ds_read_b128 v[21:24], v125 offset:176
	;; [unrolled: 1-line block ×9, first 2 shown]
	s_waitcnt lgkmcnt(7)
	;;#ASMSTART
	v_dot2_f32_f16 v8, v17, v21, v8
	;;#ASMEND
	;;#ASMSTART
	v_dot2_f32_f16 v8, v18, v22, v8
	;;#ASMEND
	;;#ASMSTART
	v_dot2_f32_f16 v8, v19, v23, v8
	;;#ASMEND
	;;#ASMSTART
	v_dot2_f32_f16 v8, v20, v24, v8
	;;#ASMEND
	s_waitcnt lgkmcnt(6)
	;;#ASMSTART
	v_dot2_f32_f16 v5, v17, v25, v5
	;;#ASMEND
	;;#ASMSTART
	v_dot2_f32_f16 v5, v18, v26, v5
	;;#ASMEND
	;;#ASMSTART
	v_dot2_f32_f16 v5, v19, v27, v5
	;;#ASMEND
	;;#ASMSTART
	v_dot2_f32_f16 v5, v20, v28, v5
	;;#ASMEND
	;; [unrolled: 13-line block ×8, first 2 shown]
	ds_read_b128 v[17:20], v0 offset:80
	ds_read_b128 v[21:24], v125 offset:192
	;; [unrolled: 1-line block ×9, first 2 shown]
	s_waitcnt lgkmcnt(7)
	;;#ASMSTART
	v_dot2_f32_f16 v8, v17, v21, v8
	;;#ASMEND
	;;#ASMSTART
	v_dot2_f32_f16 v8, v18, v22, v8
	;;#ASMEND
	;;#ASMSTART
	v_dot2_f32_f16 v8, v19, v23, v8
	;;#ASMEND
	;;#ASMSTART
	v_dot2_f32_f16 v8, v20, v24, v8
	;;#ASMEND
	s_waitcnt lgkmcnt(6)
	;;#ASMSTART
	v_dot2_f32_f16 v5, v17, v25, v5
	;;#ASMEND
	;;#ASMSTART
	v_dot2_f32_f16 v5, v18, v26, v5
	;;#ASMEND
	;;#ASMSTART
	v_dot2_f32_f16 v5, v19, v27, v5
	;;#ASMEND
	;;#ASMSTART
	v_dot2_f32_f16 v5, v20, v28, v5
	;;#ASMEND
	;; [unrolled: 13-line block ×8, first 2 shown]
	ds_read_b128 v[17:20], v0 offset:96
	ds_read_b128 v[21:24], v125 offset:208
	;; [unrolled: 1-line block ×9, first 2 shown]
	s_waitcnt lgkmcnt(7)
	;;#ASMSTART
	v_dot2_f32_f16 v8, v17, v21, v8
	;;#ASMEND
	;;#ASMSTART
	v_dot2_f32_f16 v8, v18, v22, v8
	;;#ASMEND
	;;#ASMSTART
	v_dot2_f32_f16 v8, v19, v23, v8
	;;#ASMEND
	;;#ASMSTART
	v_dot2_f32_f16 v8, v20, v24, v8
	;;#ASMEND
	s_waitcnt lgkmcnt(6)
	;;#ASMSTART
	v_dot2_f32_f16 v5, v17, v25, v5
	;;#ASMEND
	;;#ASMSTART
	v_dot2_f32_f16 v5, v18, v26, v5
	;;#ASMEND
	;;#ASMSTART
	v_dot2_f32_f16 v5, v19, v27, v5
	;;#ASMEND
	;;#ASMSTART
	v_dot2_f32_f16 v5, v20, v28, v5
	;;#ASMEND
	;; [unrolled: 13-line block ×8, first 2 shown]
	buffer_load_dword v0, off, s[84:87], 0 offset:172 ; 4-byte Folded Reload
	buffer_load_dword v17, off, s[84:87], 0 offset:216 ; 4-byte Folded Reload
	;; [unrolled: 1-line block ×3, first 2 shown]
	v_mov_b32_e32 v19, s69
	v_max_f32_e32 v29, v14, v14
	s_waitcnt vmcnt(2)
	v_add_u32_e32 v0, s6, v0
	s_waitcnt vmcnt(1)
	v_add_u32_e32 v17, v0, v17
	v_ashrrev_i32_e32 v18, 31, v17
	v_lshlrev_b64 v[17:18], 1, v[17:18]
	s_waitcnt vmcnt(0)
	v_xor_b32_e32 v25, 2, v26
	v_add_co_u32_e64 v17, s[14:15], s68, v17
	v_addc_co_u32_e64 v18, s[14:15], v19, v18, s[14:15]
	global_load_ushort v20, v[17:18], off
	v_xor_b32_e32 v28, 1, v26
	buffer_load_dword v17, off, s[84:87], 0 offset:220 ; 4-byte Folded Reload
	s_waitcnt vmcnt(0)
	v_add_u32_e32 v17, v0, v17
	v_ashrrev_i32_e32 v18, 31, v17
	v_lshlrev_b64 v[17:18], 1, v[17:18]
	buffer_store_dword v25, off, s[84:87], 0 offset:200 ; 4-byte Folded Spill
	v_add_co_u32_e64 v17, s[14:15], s68, v17
	v_addc_co_u32_e64 v18, s[14:15], v19, v18, s[14:15]
	global_load_ushort v21, v[17:18], off
	v_and_b32_e32 v17, 0x60, v26
	v_add_u32_e32 v27, 32, v17
	v_xor_b32_e32 v17, 16, v26
	v_cmp_lt_i32_e64 s[14:15], v17, v27
	buffer_store_dword v17, off, s[84:87], 0 offset:184 ; 4-byte Folded Spill
	v_cndmask_b32_e64 v17, v26, v17, s[14:15]
	v_lshlrev_b32_e32 v22, 2, v17
	v_xor_b32_e32 v17, 8, v26
	v_cmp_lt_i32_e64 s[14:15], v17, v27
	buffer_store_dword v17, off, s[84:87], 0 offset:188 ; 4-byte Folded Spill
	v_cndmask_b32_e64 v17, v26, v17, s[14:15]
	v_lshlrev_b32_e32 v23, 2, v17
	buffer_load_dword v17, off, s[84:87], 0 offset:224 ; 4-byte Folded Reload
	s_waitcnt vmcnt(3)
	v_cvt_f32_f16_e32 v21, v21
	buffer_store_dword v27, off, s[84:87], 0 offset:180 ; 4-byte Folded Spill
	buffer_store_dword v28, off, s[84:87], 0 offset:196 ; 4-byte Folded Spill
	s_waitcnt vmcnt(2)
	v_add_u32_e32 v17, v0, v17
	v_ashrrev_i32_e32 v18, 31, v17
	v_lshlrev_b64 v[17:18], 1, v[17:18]
	v_add_co_u32_e64 v17, s[14:15], s68, v17
	v_addc_co_u32_e64 v18, s[14:15], v19, v18, s[14:15]
	global_load_ushort v24, v[17:18], off
	s_nop 0
	buffer_load_dword v17, off, s[84:87], 0 offset:228 ; 4-byte Folded Reload
	s_waitcnt vmcnt(0)
	v_add_u32_e32 v17, v0, v17
	v_ashrrev_i32_e32 v18, 31, v17
	v_lshlrev_b64 v[17:18], 1, v[17:18]
	v_add_co_u32_e64 v17, s[14:15], s68, v17
	v_addc_co_u32_e64 v18, s[14:15], v19, v18, s[14:15]
	global_load_ushort v0, v[17:18], off
	v_cvt_f32_f16_e32 v17, v20
	v_max_f32_e32 v20, v15, v15
	v_xor_b32_e32 v18, 4, v26
	v_cmp_lt_i32_e64 s[14:15], v18, v27
	v_add_f32_e32 v19, v8, v17
	v_add_f32_e32 v8, 0x40051340, v19
	v_max_f32_e32 v8, v20, v8
	ds_bpermute_b32 v20, v22, v8
	buffer_store_dword v18, off, s[84:87], 0 offset:192 ; 4-byte Folded Spill
	v_cndmask_b32_e64 v18, v26, v18, s[14:15]
	v_cmp_lt_i32_e64 s[14:15], v25, v27
	v_add_f32_e32 v17, v5, v17
	s_waitcnt lgkmcnt(0)
	v_max_f32_e32 v20, v20, v20
	v_max_f32_e32 v8, v8, v20
	ds_bpermute_b32 v20, v23, v8
	v_cndmask_b32_e64 v25, v26, v25, s[14:15]
	v_cmp_lt_i32_e64 s[14:15], v28, v27
	v_add_f32_e32 v5, 0x40051340, v17
	v_max_f32_e32 v27, v16, v16
	v_max_f32_e32 v5, v27, v5
	ds_bpermute_b32 v27, v22, v5
	s_waitcnt lgkmcnt(1)
	v_max_f32_e32 v20, v20, v20
	v_lshlrev_b32_e32 v18, 2, v18
	v_max_f32_e32 v8, v8, v20
	ds_bpermute_b32 v20, v18, v8
	s_waitcnt lgkmcnt(1)
	v_max_f32_e32 v27, v27, v27
	v_max_f32_e32 v5, v5, v27
	ds_bpermute_b32 v27, v23, v5
	v_cndmask_b32_e64 v26, v26, v28, s[14:15]
	s_waitcnt lgkmcnt(1)
	v_max_f32_e32 v20, v20, v20
	v_add_f32_e32 v28, v1, v21
	v_lshlrev_b32_e32 v25, 2, v25
	v_max_f32_e32 v8, v8, v20
	v_add_f32_e32 v1, 0x40051340, v28
	ds_bpermute_b32 v20, v25, v8
	v_max_f32_e32 v1, v29, v1
	s_waitcnt lgkmcnt(1)
	v_max_f32_e32 v27, v27, v27
	ds_bpermute_b32 v29, v22, v1
	v_max_f32_e32 v5, v5, v27
	ds_bpermute_b32 v27, v18, v5
	s_waitcnt lgkmcnt(2)
	v_max_f32_e32 v20, v20, v20
	v_lshlrev_b32_e32 v26, 2, v26
	v_max_f32_e32 v8, v8, v20
	s_waitcnt lgkmcnt(1)
	v_max_f32_e32 v29, v29, v29
	ds_bpermute_b32 v20, v26, v8
	v_max_f32_e32 v29, v1, v29
	s_waitcnt lgkmcnt(1)
	v_max_f32_e32 v27, v27, v27
	ds_bpermute_b32 v30, v23, v29
	v_max_f32_e32 v5, v5, v27
	ds_bpermute_b32 v27, v25, v5
	s_waitcnt lgkmcnt(2)
	v_max_f32_e32 v20, v20, v20
	v_max_f32_e32 v32, v8, v20
	s_waitcnt lgkmcnt(1)
	v_max_f32_e32 v20, v30, v30
	v_add_f32_e32 v21, v2, v21
	v_max_f32_e32 v20, v29, v20
	v_add_f32_e32 v2, 0x40051340, v21
	v_max_f32_e32 v29, v13, v13
	s_waitcnt lgkmcnt(0)
	v_max_f32_e32 v8, v27, v27
	ds_bpermute_b32 v27, v18, v20
	v_max_f32_e32 v2, v29, v2
	ds_bpermute_b32 v29, v22, v2
	;; [unrolled: 2-line block ×3, first 2 shown]
	s_waitcnt lgkmcnt(2)
	v_max_f32_e32 v27, v27, v27
	v_max_f32_e32 v20, v20, v27
	s_waitcnt lgkmcnt(1)
	v_max_f32_e32 v29, v29, v29
	ds_bpermute_b32 v27, v25, v20
	v_max_f32_e32 v29, v2, v29
	s_waitcnt lgkmcnt(1)
	v_max_f32_e32 v8, v8, v8
	ds_bpermute_b32 v30, v23, v29
	v_max_f32_e32 v33, v5, v8
	v_cvt_f32_f16_e32 v8, v24
	s_waitcnt lgkmcnt(1)
	v_max_f32_e32 v5, v27, v27
	v_max_f32_e32 v5, v20, v5
	s_waitcnt lgkmcnt(0)
	v_max_f32_e32 v20, v30, v30
	v_add_f32_e32 v27, v3, v8
	v_max_f32_e32 v20, v29, v20
	v_add_f32_e32 v3, 0x40051340, v27
	v_max_f32_e32 v29, v12, v12
	ds_bpermute_b32 v24, v18, v20
	v_max_f32_e32 v3, v29, v3
	ds_bpermute_b32 v29, v22, v3
	ds_bpermute_b32 v30, v26, v5
	s_waitcnt vmcnt(1)
	v_cvt_f32_f16_e32 v0, v0
	s_waitcnt lgkmcnt(2)
	v_max_f32_e32 v24, v24, v24
	v_max_f32_e32 v20, v20, v24
	s_waitcnt lgkmcnt(1)
	v_max_f32_e32 v29, v29, v29
	ds_bpermute_b32 v24, v25, v20
	v_max_f32_e32 v29, v3, v29
	ds_bpermute_b32 v31, v23, v29
	s_waitcnt lgkmcnt(2)
	v_max_f32_e32 v3, v30, v30
	v_max_f32_e32 v34, v5, v3
	s_waitcnt lgkmcnt(1)
	v_max_f32_e32 v5, v24, v24
	v_max_f32_e32 v5, v20, v5
	;; [unrolled: 3-line block ×3, first 2 shown]
	v_add_f32_e32 v29, v4, v8
	v_add_f32_e32 v4, 0x40051340, v29
	v_max_f32_e32 v8, v11, v11
	ds_bpermute_b32 v24, v18, v20
	v_max_f32_e32 v4, v8, v4
	ds_bpermute_b32 v8, v22, v4
	ds_bpermute_b32 v30, v26, v5
	v_sub_f32_e32 v113, v15, v32
	s_waitcnt lgkmcnt(2)
	v_max_f32_e32 v24, v24, v24
	v_max_f32_e32 v20, v20, v24
	s_waitcnt lgkmcnt(1)
	v_max_f32_e32 v8, v8, v8
	ds_bpermute_b32 v24, v25, v20
	v_max_f32_e32 v4, v4, v8
	ds_bpermute_b32 v8, v23, v4
	s_waitcnt lgkmcnt(2)
	v_max_f32_e32 v30, v30, v30
	v_max_f32_e32 v35, v5, v30
	s_waitcnt lgkmcnt(1)
	v_max_f32_e32 v24, v24, v24
	v_max_f32_e32 v20, v20, v24
	s_waitcnt lgkmcnt(0)
	v_max_f32_e32 v8, v8, v8
	ds_bpermute_b32 v24, v26, v20
	v_max_f32_e32 v8, v4, v8
	ds_bpermute_b32 v31, v18, v8
	v_add_f32_e32 v30, v6, v0
	v_max_f32_e32 v6, v9, v9
	s_waitcnt lgkmcnt(1)
	v_max_f32_e32 v5, v24, v24
	v_max_f32_e32 v36, v20, v5
	s_waitcnt lgkmcnt(0)
	v_max_f32_e32 v20, v31, v31
	v_max_f32_e32 v8, v8, v20
	v_add_f32_e32 v20, v7, v0
	v_add_f32_e32 v7, 0x40051340, v20
	v_max_f32_e32 v24, v10, v10
	v_max_f32_e32 v7, v24, v7
	v_add_f32_e32 v0, 0x40051340, v30
	ds_bpermute_b32 v24, v22, v7
	v_max_f32_e32 v0, v6, v0
	ds_bpermute_b32 v6, v22, v0
	ds_bpermute_b32 v22, v25, v8
	v_sub_f32_e32 v17, v17, v33
	s_waitcnt lgkmcnt(2)
	v_max_f32_e32 v24, v24, v24
	v_max_f32_e32 v7, v7, v24
	s_waitcnt lgkmcnt(1)
	v_max_f32_e32 v6, v6, v6
	ds_bpermute_b32 v24, v23, v7
	v_max_f32_e32 v0, v0, v6
	ds_bpermute_b32 v6, v23, v0
	s_waitcnt lgkmcnt(2)
	v_max_f32_e32 v22, v22, v22
	v_max_f32_e32 v8, v8, v22
	s_waitcnt lgkmcnt(1)
	v_max_f32_e32 v23, v24, v24
	v_max_f32_e32 v7, v7, v23
	s_waitcnt lgkmcnt(0)
	v_max_f32_e32 v6, v6, v6
	ds_bpermute_b32 v23, v18, v7
	v_max_f32_e32 v0, v0, v6
	ds_bpermute_b32 v6, v18, v0
	ds_bpermute_b32 v22, v26, v8
	v_cmp_ngt_f32_e64 s[18:19], s76, v17
	s_waitcnt lgkmcnt(2)
	v_max_f32_e32 v18, v23, v23
	v_max_f32_e32 v7, v7, v18
	s_waitcnt lgkmcnt(1)
	v_max_f32_e32 v6, v6, v6
	ds_bpermute_b32 v18, v25, v7
	v_max_f32_e32 v0, v0, v6
	ds_bpermute_b32 v6, v25, v0
	v_sub_f32_e32 v114, v14, v34
	v_sub_f32_e32 v115, v13, v35
	s_waitcnt lgkmcnt(1)
	v_max_f32_e32 v18, v18, v18
	v_max_f32_e32 v7, v7, v18
	s_waitcnt lgkmcnt(0)
	v_max_f32_e32 v6, v6, v6
	ds_bpermute_b32 v18, v26, v7
	v_max_f32_e32 v0, v0, v6
	ds_bpermute_b32 v23, v26, v0
	v_max_f32_e32 v6, v22, v22
	v_max_f32_e32 v37, v8, v6
	s_waitcnt lgkmcnt(1)
	v_max_f32_e32 v8, v18, v18
	v_max_f32_e32 v38, v7, v8
	s_waitcnt lgkmcnt(0)
	v_max_f32_e32 v8, v23, v23
	v_max_f32_e32 v39, v0, v8
	v_sub_f32_e32 v0, v19, v32
	v_mul_f32_e32 v18, 0x3fb8aa3b, v0
	v_fma_f32 v19, v0, s75, -v18
	v_rndne_f32_e32 v22, v18
	v_fmac_f32_e32 v19, 0x32a5705f, v0
	v_sub_f32_e32 v18, v18, v22
	v_add_f32_e32 v18, v18, v19
	v_exp_f32_e32 v18, v18
	v_cvt_i32_f32_e32 v19, v22
	v_cmp_ngt_f32_e64 s[14:15], s76, v0
	v_mov_b32_e32 v1, 0x7f800000
	v_sub_f32_e32 v116, v12, v36
	v_ldexp_f32 v15, v18, v19
	v_cndmask_b32_e64 v15, 0, v15, s[14:15]
	v_cmp_nlt_f32_e64 s[14:15], s77, v0
	v_mul_f32_e32 v0, 0x3fb8aa3b, v17
	v_fma_f32 v18, v17, s75, -v0
	v_rndne_f32_e32 v19, v0
	v_fmac_f32_e32 v18, 0x32a5705f, v17
	v_sub_f32_e32 v0, v0, v19
	v_add_f32_e32 v0, v0, v18
	v_exp_f32_e32 v18, v0
	v_cvt_i32_f32_e32 v19, v19
	v_sub_f32_e32 v0, v16, v33
	s_waitcnt vmcnt(0)
	s_barrier
	v_ldexp_f32 v16, v18, v19
	v_cndmask_b32_e64 v16, 0, v16, s[18:19]
	v_cmp_nlt_f32_e64 s[18:19], s77, v17
	v_sub_f32_e32 v17, v28, v34
	v_mul_f32_e32 v18, 0x3fb8aa3b, v17
	v_fma_f32 v19, v17, s75, -v18
	v_rndne_f32_e32 v22, v18
	v_fmac_f32_e32 v19, 0x32a5705f, v17
	v_sub_f32_e32 v18, v18, v22
	v_add_f32_e32 v18, v18, v19
	v_exp_f32_e32 v18, v18
	v_cvt_i32_f32_e32 v19, v22
	v_cmp_ngt_f32_e64 s[22:23], s76, v17
	v_cndmask_b32_e64 v2, v1, v16, s[18:19]
	v_ldexp_f32 v14, v18, v19
	v_cndmask_b32_e64 v14, 0, v14, s[22:23]
	v_cmp_nlt_f32_e64 s[22:23], s77, v17
	v_sub_f32_e32 v17, v21, v35
	v_mul_f32_e32 v18, 0x3fb8aa3b, v17
	v_fma_f32 v19, v17, s75, -v18
	v_rndne_f32_e32 v21, v18
	v_fmac_f32_e32 v19, 0x32a5705f, v17
	v_sub_f32_e32 v18, v18, v21
	v_add_f32_e32 v18, v18, v19
	v_exp_f32_e32 v18, v18
	v_cvt_i32_f32_e32 v19, v21
	v_cmp_ngt_f32_e64 s[26:27], s76, v17
	buffer_store_dword v2, off, s[84:87], 0 offset:116 ; 4-byte Folded Spill
	v_cvt_f16_f32_e32 v16, v2
	v_ldexp_f32 v13, v18, v19
	v_cndmask_b32_e64 v13, 0, v13, s[26:27]
	v_cmp_nlt_f32_e64 s[26:27], s77, v17
	v_sub_f32_e32 v17, v27, v36
	v_mul_f32_e32 v18, 0x3fb8aa3b, v17
	v_fma_f32 v19, v17, s75, -v18
	v_rndne_f32_e32 v21, v18
	v_fmac_f32_e32 v19, 0x32a5705f, v17
	v_sub_f32_e32 v18, v18, v21
	v_add_f32_e32 v18, v18, v19
	v_exp_f32_e32 v18, v18
	v_cvt_i32_f32_e32 v19, v21
	v_cmp_ngt_f32_e64 s[30:31], s76, v17
	v_cndmask_b32_e64 v2, v1, v14, s[22:23]
	buffer_store_dword v2, off, s[84:87], 0 offset:120 ; 4-byte Folded Spill
	v_ldexp_f32 v12, v18, v19
	v_cndmask_b32_e64 v12, 0, v12, s[30:31]
	v_cmp_nlt_f32_e64 s[30:31], s77, v17
	v_cvt_f16_f32_e32 v14, v2
	v_cndmask_b32_e64 v2, v1, v12, s[30:31]
	v_sub_f32_e32 v12, v29, v37
	v_mul_f32_e32 v18, 0x3fb8aa3b, v12
	v_fma_f32 v19, v12, s75, -v18
	v_rndne_f32_e32 v21, v18
	v_fmac_f32_e32 v19, 0x32a5705f, v12
	v_sub_f32_e32 v18, v18, v21
	v_add_f32_e32 v18, v18, v19
	v_exp_f32_e32 v18, v18
	v_cvt_i32_f32_e32 v19, v21
	v_sub_f32_e32 v126, v11, v37
	v_cmp_ngt_f32_e64 s[36:37], s76, v12
	v_sub_f32_e32 v127, v10, v38
	v_ldexp_f32 v11, v18, v19
	v_cndmask_b32_e64 v11, 0, v11, s[36:37]
	v_cmp_nlt_f32_e64 s[36:37], s77, v12
	v_sub_f32_e32 v12, v20, v38
	v_mul_f32_e32 v18, 0x3fb8aa3b, v12
	v_fma_f32 v19, v12, s75, -v18
	v_rndne_f32_e32 v20, v18
	v_fmac_f32_e32 v19, 0x32a5705f, v12
	v_sub_f32_e32 v18, v18, v20
	v_add_f32_e32 v18, v18, v19
	v_exp_f32_e32 v18, v18
	v_cvt_i32_f32_e32 v19, v20
	v_cmp_ngt_f32_e64 s[44:45], s76, v12
	buffer_store_dword v2, off, s[84:87], 0 offset:124 ; 4-byte Folded Spill
	v_cndmask_b32_e64 v117, v1, v15, s[14:15]
	v_ldexp_f32 v10, v18, v19
	v_sub_f32_e32 v18, v30, v39
	v_mul_f32_e32 v19, 0x3fb8aa3b, v18
	v_fma_f32 v20, v18, s75, -v19
	v_rndne_f32_e32 v21, v19
	v_fmac_f32_e32 v20, 0x32a5705f, v18
	v_sub_f32_e32 v19, v19, v21
	v_add_f32_e32 v19, v19, v20
	v_exp_f32_e32 v19, v19
	v_cvt_i32_f32_e32 v20, v21
	v_cndmask_b32_e64 v10, 0, v10, s[44:45]
	v_cmp_nlt_f32_e64 s[44:45], s77, v12
	v_cndmask_b32_e64 v4, v1, v10, s[44:45]
	v_ldexp_f32 v12, v19, v20
	v_cmp_ngt_f32_e64 s[44:45], s76, v18
	v_cndmask_b32_e64 v12, 0, v12, s[44:45]
	v_cmp_nlt_f32_e64 s[44:45], s77, v18
	buffer_store_dword v32, off, s[84:87], 0 offset:40 ; 4-byte Folded Spill
	s_nop 0
	buffer_store_dword v33, off, s[84:87], 0 offset:44 ; 4-byte Folded Spill
	buffer_store_dword v34, off, s[84:87], 0 offset:48 ; 4-byte Folded Spill
	buffer_store_dword v35, off, s[84:87], 0 offset:52 ; 4-byte Folded Spill
	buffer_store_dword v36, off, s[84:87], 0 offset:56 ; 4-byte Folded Spill
	buffer_store_dword v37, off, s[84:87], 0 offset:60 ; 4-byte Folded Spill
	buffer_store_dword v38, off, s[84:87], 0 offset:64 ; 4-byte Folded Spill
	buffer_store_dword v39, off, s[84:87], 0 offset:68 ; 4-byte Folded Spill
	v_cndmask_b32_e64 v119, v1, v13, s[26:27]
	v_cndmask_b32_e64 v108, v1, v11, s[36:37]
	;; [unrolled: 1-line block ×3, first 2 shown]
	buffer_load_dword v1, off, s[84:87], 0 offset:276 ; 4-byte Folded Reload
	v_cvt_f16_f32_e32 v15, v117
	v_cvt_f16_f32_e32 v13, v119
	v_cvt_f16_f32_e32 v17, v2
	v_cvt_f16_f32_e32 v11, v108
	v_cvt_f16_f32_e32 v10, v4
	v_cvt_f16_f32_e32 v12, v3
	v_cmp_ngt_f32_e64 s[40:41], s76, v113
	v_cmp_nlt_f32_e64 s[42:43], s77, v113
	v_cmp_ngt_f32_e64 s[14:15], s76, v0
	v_cmp_nlt_f32_e64 s[16:17], s77, v0
	;; [unrolled: 2-line block ×7, first 2 shown]
	v_pack_b32_f16 v12, v10, v12
	v_pack_b32_f16 v11, v17, v11
	v_pack_b32_f16 v10, v14, v13
	v_sub_f32_e32 v118, v9, v39
	v_cmp_ngt_f32_e64 s[44:45], s76, v118
	v_cmp_nlt_f32_e64 s[46:47], s77, v118
	v_pack_b32_f16 v9, v15, v16
	s_waitcnt vmcnt(0)
	ds_write_b128 v1, v[9:12]
	s_and_saveexec_b64 s[60:61], s[8:9]
	s_cbranch_execz .LBB33_33
; %bb.32:                               ;   in Loop: Header=BB33_23 Depth=1
	buffer_load_dword v1, off, s[84:87], 0 offset:280 ; 4-byte Folded Reload
	buffer_load_dword v2, off, s[84:87], 0 offset:284 ; 4-byte Folded Reload
	v_mov_b32_e32 v9, s80
	s_waitcnt vmcnt(1)
	v_add_co_u32_e64 v10, s[50:51], s79, v1
	buffer_load_dword v1, off, s[84:87], 0 offset:4 ; 4-byte Folded Reload
	s_waitcnt vmcnt(1)
	v_addc_co_u32_e64 v11, s[50:51], v9, v2, s[50:51]
	s_waitcnt vmcnt(0)
	v_add_co_u32_e64 v9, s[50:51], v10, v1
	v_addc_co_u32_e64 v10, s[50:51], 0, v11, s[50:51]
	global_load_dwordx4 v[9:12], v[9:10], off offset:192
	s_nop 0
	buffer_load_dword v1, off, s[84:87], 0 offset:236 ; 4-byte Folded Reload
	s_waitcnt vmcnt(0)
	ds_write_b128 v1, v[9:12]
.LBB33_33:                              ;   in Loop: Header=BB33_23 Depth=1
	s_or_b64 exec, exec, s[60:61]
	s_and_saveexec_b64 s[60:61], s[10:11]
	s_cbranch_execz .LBB33_35
; %bb.34:                               ;   in Loop: Header=BB33_23 Depth=1
	buffer_load_dword v1, off, s[84:87], 0 offset:288 ; 4-byte Folded Reload
	buffer_load_dword v2, off, s[84:87], 0 offset:292 ; 4-byte Folded Reload
	v_mov_b32_e32 v9, s80
	s_waitcnt vmcnt(1)
	v_add_co_u32_e64 v10, s[50:51], s79, v1
	buffer_load_dword v1, off, s[84:87], 0 offset:8 ; 4-byte Folded Reload
	s_waitcnt vmcnt(1)
	v_addc_co_u32_e64 v11, s[50:51], v9, v2, s[50:51]
	s_waitcnt vmcnt(0)
	v_add_co_u32_e64 v9, s[50:51], v10, v1
	v_addc_co_u32_e64 v10, s[50:51], 0, v11, s[50:51]
	global_load_dwordx4 v[9:12], v[9:10], off offset:128
	s_nop 0
	buffer_load_dword v1, off, s[84:87], 0 offset:240 ; 4-byte Folded Reload
	s_waitcnt vmcnt(0)
	ds_write_b128 v1, v[9:12]
.LBB33_35:                              ;   in Loop: Header=BB33_23 Depth=1
	s_or_b64 exec, exec, s[60:61]
	buffer_load_dword v1, off, s[84:87], 0 offset:244 ; 4-byte Folded Reload
	s_waitcnt vmcnt(0)
	v_lshlrev_b32_e32 v105, 2, v1
	s_and_saveexec_b64 s[60:61], s[12:13]
	s_cbranch_execz .LBB33_37
; %bb.36:                               ;   in Loop: Header=BB33_23 Depth=1
	buffer_load_dword v1, off, s[84:87], 0 offset:296 ; 4-byte Folded Reload
	buffer_load_dword v2, off, s[84:87], 0 offset:300 ; 4-byte Folded Reload
	v_mov_b32_e32 v9, s80
	s_waitcnt vmcnt(1)
	v_add_co_u32_e64 v10, s[50:51], s79, v1
	s_waitcnt vmcnt(0)
	v_addc_co_u32_e64 v11, s[50:51], v9, v2, s[50:51]
	v_add_co_u32_e64 v9, s[50:51], v10, v105
	v_addc_co_u32_e64 v10, s[50:51], 0, v11, s[50:51]
	global_load_dwordx4 v[9:12], v[9:10], off
	s_nop 0
	buffer_load_dword v1, off, s[84:87], 0 offset:248 ; 4-byte Folded Reload
	s_waitcnt vmcnt(0)
	ds_write_b128 v1, v[9:12]
.LBB33_37:                              ;   in Loop: Header=BB33_23 Depth=1
	s_or_b64 exec, exec, s[60:61]
	buffer_store_dword v4, off, s[84:87], 0 offset:132 ; 4-byte Folded Spill
	buffer_store_dword v3, off, s[84:87], 0 offset:128 ; 4-byte Folded Spill
	;; [unrolled: 1-line block ×9, first 2 shown]
	s_waitcnt vmcnt(0) lgkmcnt(0)
	s_barrier
	buffer_load_dword v1, off, s[84:87], 0 offset:168 ; 4-byte Folded Reload
	v_mov_b32_e32 v4, v69
	v_mov_b32_e32 v5, v68
	;; [unrolled: 1-line block ×9, first 2 shown]
	s_or_b32 s50, s6, 16
	s_mul_hi_i32 s51, s50, s65
	s_mul_i32 s50, s50, s65
	s_lshl_b64 s[50:51], s[50:51], 2
	s_add_u32 s79, s73, s50
	s_addc_u32 s80, s74, s51
	s_waitcnt vmcnt(0)
	v_add_u32_e32 v9, 0x3800, v1
	ds_read2_b64 v[93:96], v9 offset1:28
	ds_read_b128 v[101:104], v106
	ds_read_b128 v[97:100], v106 offset:16
	ds_read_b128 v[89:92], v106 offset:32
	;; [unrolled: 1-line block ×3, first 2 shown]
	ds_read2_b64 v[81:84], v9 offset0:56 offset1:84
	ds_read2_b64 v[57:60], v9 offset0:112 offset1:140
	ds_read_b128 v[77:80], v106 offset:64
	ds_read_b128 v[73:76], v106 offset:80
	ds_read2_b64 v[25:28], v9 offset0:168 offset1:196
	ds_read_b128 v[69:72], v106 offset:96
	ds_read_b128 v[65:68], v106 offset:112
	buffer_store_dword v9, off, s[84:87], 0 offset:140 ; 4-byte Folded Spill
	v_add_u32_e32 v1, 0x4000, v1
	ds_read2_b64 v[21:24], v9 offset0:224 offset1:252
	ds_read_b128 v[61:64], v106 offset:128
	ds_read_b128 v[53:56], v106 offset:144
	ds_read2_b64 v[17:20], v1 offset0:24 offset1:52
	ds_read_b128 v[49:52], v106 offset:160
	ds_read_b128 v[45:48], v106 offset:176
	;; [unrolled: 3-line block ×3, first 2 shown]
	buffer_store_dword v1, off, s[84:87], 0 offset:136 ; 4-byte Folded Spill
	ds_read2_b64 v[9:12], v1 offset0:136 offset1:164
	ds_read_b128 v[33:36], v106 offset:224
	ds_read_b128 v[109:112], v106 offset:240
	s_waitcnt lgkmcnt(0)
	buffer_store_dword v109, off, s[84:87], 0 offset:144 ; 4-byte Folded Spill
	s_nop 0
	buffer_store_dword v110, off, s[84:87], 0 offset:148 ; 4-byte Folded Spill
	buffer_store_dword v111, off, s[84:87], 0 offset:152 ; 4-byte Folded Spill
	;; [unrolled: 1-line block ×3, first 2 shown]
	s_waitcnt vmcnt(0)
	s_barrier
	s_and_saveexec_b64 s[60:61], s[8:9]
	s_cbranch_execz .LBB33_39
; %bb.38:                               ;   in Loop: Header=BB33_23 Depth=1
	buffer_load_dword v29, off, s[84:87], 0 offset:280 ; 4-byte Folded Reload
	buffer_load_dword v30, off, s[84:87], 0 offset:284 ; 4-byte Folded Reload
	;; [unrolled: 1-line block ×3, first 2 shown]
	v_mov_b32_e32 v106, s80
	s_waitcnt vmcnt(2)
	v_add_co_u32_e64 v107, s[50:51], s79, v29
	s_waitcnt vmcnt(1)
	v_addc_co_u32_e64 v109, s[50:51], v106, v30, s[50:51]
	s_waitcnt vmcnt(0)
	v_add_co_u32_e64 v106, s[50:51], v107, v1
	v_addc_co_u32_e64 v107, s[50:51], 0, v109, s[50:51]
	global_load_dwordx4 v[109:112], v[106:107], off offset:192
	buffer_load_dword v1, off, s[84:87], 0 offset:236 ; 4-byte Folded Reload
	s_waitcnt vmcnt(0)
	ds_write_b128 v1, v[109:112]
.LBB33_39:                              ;   in Loop: Header=BB33_23 Depth=1
	s_or_b64 exec, exec, s[60:61]
	s_and_saveexec_b64 s[60:61], s[10:11]
	s_cbranch_execz .LBB33_41
; %bb.40:                               ;   in Loop: Header=BB33_23 Depth=1
	buffer_load_dword v29, off, s[84:87], 0 offset:288 ; 4-byte Folded Reload
	buffer_load_dword v30, off, s[84:87], 0 offset:292 ; 4-byte Folded Reload
	;; [unrolled: 1-line block ×3, first 2 shown]
	v_mov_b32_e32 v106, s80
	s_waitcnt vmcnt(2)
	v_add_co_u32_e64 v107, s[50:51], s79, v29
	s_waitcnt vmcnt(1)
	v_addc_co_u32_e64 v109, s[50:51], v106, v30, s[50:51]
	s_waitcnt vmcnt(0)
	v_add_co_u32_e64 v106, s[50:51], v107, v1
	v_addc_co_u32_e64 v107, s[50:51], 0, v109, s[50:51]
	global_load_dwordx4 v[109:112], v[106:107], off offset:128
	buffer_load_dword v1, off, s[84:87], 0 offset:240 ; 4-byte Folded Reload
	s_waitcnt vmcnt(0)
	ds_write_b128 v1, v[109:112]
.LBB33_41:                              ;   in Loop: Header=BB33_23 Depth=1
	s_or_b64 exec, exec, s[60:61]
	buffer_store_dword v119, off, s[84:87], 0 offset:112 ; 4-byte Folded Spill
	buffer_store_dword v117, off, s[84:87], 0 offset:108 ; 4-byte Folded Spill
	;; [unrolled: 1-line block ×3, first 2 shown]
	s_and_saveexec_b64 s[60:61], s[12:13]
	s_cbranch_execz .LBB33_43
; %bb.42:                               ;   in Loop: Header=BB33_23 Depth=1
	buffer_load_dword v29, off, s[84:87], 0 offset:296 ; 4-byte Folded Reload
	buffer_load_dword v30, off, s[84:87], 0 offset:300 ; 4-byte Folded Reload
	v_mov_b32_e32 v106, s80
	buffer_load_dword v1, off, s[84:87], 0 offset:248 ; 4-byte Folded Reload
	s_waitcnt vmcnt(2)
	v_add_co_u32_e64 v107, s[50:51], s79, v29
	s_waitcnt vmcnt(1)
	v_addc_co_u32_e64 v106, s[50:51], v106, v30, s[50:51]
	v_add_co_u32_e64 v105, s[50:51], v107, v105
	v_addc_co_u32_e64 v106, s[50:51], 0, v106, s[50:51]
	global_load_dwordx4 v[109:112], v[105:106], off
	s_waitcnt vmcnt(0)
	ds_write_b128 v1, v[109:112]
.LBB33_43:                              ;   in Loop: Header=BB33_23 Depth=1
	s_or_b64 exec, exec, s[60:61]
	v_mul_u32_u24_sdwa v119, v97, s78 dst_sel:DWORD dst_unused:UNUSED_PAD src0_sel:WORD_0 src1_sel:DWORD
	v_mul_u32_u24_sdwa v112, v97, s78 dst_sel:DWORD dst_unused:UNUSED_PAD src0_sel:WORD_1 src1_sel:DWORD
	v_mul_f32_e32 v97, 0x3fb8aa3b, v113
	v_mul_u32_u24_sdwa v124, v98, s78 dst_sel:DWORD dst_unused:UNUSED_PAD src0_sel:WORD_0 src1_sel:DWORD
	v_mul_u32_u24_sdwa v117, v98, s78 dst_sel:DWORD dst_unused:UNUSED_PAD src0_sel:WORD_1 src1_sel:DWORD
	v_mul_u32_u24_sdwa v123, v99, s78 dst_sel:DWORD dst_unused:UNUSED_PAD src0_sel:WORD_0 src1_sel:DWORD
	v_mul_u32_u24_sdwa v111, v99, s78 dst_sel:DWORD dst_unused:UNUSED_PAD src0_sel:WORD_1 src1_sel:DWORD
	v_fma_f32 v98, v113, s75, -v97
	v_rndne_f32_e32 v99, v97
	v_fmac_f32_e32 v98, 0x32a5705f, v113
	v_sub_f32_e32 v97, v97, v99
	v_add_f32_e32 v97, v97, v98
	v_exp_f32_e32 v97, v97
	v_cvt_i32_f32_e32 v98, v99
	v_mul_u32_u24_sdwa v121, v104, s78 dst_sel:DWORD dst_unused:UNUSED_PAD src0_sel:WORD_0 src1_sel:DWORD
	v_mul_u32_u24_sdwa v120, v104, s78 dst_sel:DWORD dst_unused:UNUSED_PAD src0_sel:WORD_1 src1_sel:DWORD
	v_mul_u32_u24_sdwa v110, v100, s78 dst_sel:DWORD dst_unused:UNUSED_PAD src0_sel:WORD_0 src1_sel:DWORD
	v_ldexp_f32 v97, v97, v98
	v_mul_f32_e32 v98, 0x3fb8aa3b, v0
	v_fma_f32 v99, v0, s75, -v98
	v_fmac_f32_e32 v99, 0x32a5705f, v0
	v_rndne_f32_e32 v0, v98
	v_sub_f32_e32 v98, v98, v0
	v_add_f32_e32 v98, v98, v99
	v_exp_f32_e32 v98, v98
	v_cvt_i32_f32_e32 v0, v0
	v_mul_u32_u24_sdwa v104, v100, s78 dst_sel:DWORD dst_unused:UNUSED_PAD src0_sel:WORD_1 src1_sel:DWORD
	v_mul_u32_u24_sdwa v108, v101, s78 dst_sel:DWORD dst_unused:UNUSED_PAD src0_sel:WORD_0 src1_sel:DWORD
	v_mul_u32_u24_sdwa v109, v101, s78 dst_sel:DWORD dst_unused:UNUSED_PAD src0_sel:WORD_1 src1_sel:DWORD
	v_ldexp_f32 v98, v98, v0
	v_mul_f32_e32 v0, 0x3fb8aa3b, v114
	v_fma_f32 v99, v114, s75, -v0
	v_rndne_f32_e32 v100, v0
	v_fmac_f32_e32 v99, 0x32a5705f, v114
	v_sub_f32_e32 v0, v0, v100
	v_add_f32_e32 v0, v0, v99
	v_exp_f32_e32 v0, v0
	v_cvt_i32_f32_e32 v99, v100
	v_mul_u32_u24_sdwa v107, v102, s78 dst_sel:DWORD dst_unused:UNUSED_PAD src0_sel:WORD_0 src1_sel:DWORD
	v_mul_u32_u24_sdwa v106, v102, s78 dst_sel:DWORD dst_unused:UNUSED_PAD src0_sel:WORD_1 src1_sel:DWORD
	v_mul_u32_u24_sdwa v105, v103, s78 dst_sel:DWORD dst_unused:UNUSED_PAD src0_sel:WORD_0 src1_sel:DWORD
	v_ldexp_f32 v99, v0, v99
	v_mul_f32_e32 v0, 0x3fb8aa3b, v115
	v_fma_f32 v100, v115, s75, -v0
	v_rndne_f32_e32 v101, v0
	v_fmac_f32_e32 v100, 0x32a5705f, v115
	v_sub_f32_e32 v0, v0, v101
	v_add_f32_e32 v0, v0, v100
	v_exp_f32_e32 v0, v0
	v_cvt_i32_f32_e32 v100, v101
	v_mul_u32_u24_sdwa v122, v103, s78 dst_sel:DWORD dst_unused:UNUSED_PAD src0_sel:WORD_1 src1_sel:DWORD
	v_mov_b32_e32 v29, 0x7f800000
	v_ldexp_f32 v100, v0, v100
	v_mul_f32_e32 v0, 0x3fb8aa3b, v116
	v_fma_f32 v101, v116, s75, -v0
	v_rndne_f32_e32 v102, v0
	v_fmac_f32_e32 v101, 0x32a5705f, v116
	v_sub_f32_e32 v0, v0, v102
	v_add_f32_e32 v0, v0, v101
	v_exp_f32_e32 v0, v0
	v_cvt_i32_f32_e32 v101, v102
	v_ldexp_f32 v101, v0, v101
	v_mul_f32_e32 v0, 0x3fb8aa3b, v126
	v_fma_f32 v102, v126, s75, -v0
	v_rndne_f32_e32 v103, v0
	v_fmac_f32_e32 v102, 0x32a5705f, v126
	v_sub_f32_e32 v0, v0, v103
	v_add_f32_e32 v0, v0, v102
	v_exp_f32_e32 v0, v0
	v_cvt_i32_f32_e32 v102, v103
	;; [unrolled: 9-line block ×4, first 2 shown]
	v_ldexp_f32 v113, v0, v113
	v_cndmask_b32_e64 v0, 0, v97, s[40:41]
	v_cndmask_b32_e64 v0, v29, v0, s[42:43]
	v_cvt_f16_f32_e32 v97, v0
	buffer_store_dword v0, off, s[84:87], 0 offset:160 ; 4-byte Folded Spill
	v_mul_u32_u24_e32 v97, 0x10001, v97
	v_pk_mul_f16 v114, v5, v97
	v_pk_mul_f16 v115, v4, v97
	v_cndmask_b32_e64 v97, 0, v98, s[14:15]
	v_cndmask_b32_e64 v0, v29, v97, s[16:17]
	v_cvt_f16_f32_e32 v98, v0
	buffer_load_dword v4, off, s[84:87], 0 offset:36 ; 4-byte Folded Reload
	buffer_load_dword v5, off, s[84:87], 0 offset:32 ; 4-byte Folded Reload
	;; [unrolled: 1-line block ×3, first 2 shown]
	v_mul_u32_u24_e32 v98, 0x10001, v98
	v_pk_mul_f16 v116, v32, v98
	v_pk_mul_f16 v118, v6, v98
	v_cndmask_b32_e64 v98, 0, v99, s[18:19]
	v_cndmask_b32_e64 v98, v29, v98, s[20:21]
	v_cvt_f16_f32_e32 v99, v98
	buffer_load_dword v6, off, s[84:87], 0 offset:28 ; 4-byte Folded Reload
	v_pk_fma_f16 v114, v93, v108, v114
	buffer_store_dword v0, off, s[84:87], 0 offset:164 ; 4-byte Folded Spill
	v_mul_u32_u24_e32 v99, 0x10001, v99
	v_pk_mul_f16 v126, v7, v99
	v_pk_mul_f16 v127, v31, v99
	v_cndmask_b32_e64 v99, 0, v100, s[22:23]
	v_cndmask_b32_e64 v99, v29, v99, s[24:25]
	v_cvt_f16_f32_e32 v100, v99
	buffer_load_dword v7, off, s[84:87], 0 offset:24 ; 4-byte Folded Reload
	v_pk_fma_f16 v108, v94, v108, v115
	v_pk_fma_f16 v115, v93, v109, v116
	v_mul_u32_u24_e32 v100, 0x10001, v100
	v_pk_mul_f16 v1, v8, v100
	buffer_load_dword v8, off, s[84:87], 0 offset:20 ; 4-byte Folded Reload
	v_pk_mul_f16 v0, v2, v100
	v_cndmask_b32_e64 v2, 0, v101, s[26:27]
	v_cndmask_b32_e64 v100, v29, v2, s[28:29]
	v_cvt_f16_f32_e32 v2, v100
	v_pk_fma_f16 v109, v94, v109, v118
	v_pk_fma_f16 v116, v93, v107, v126
	;; [unrolled: 1-line block ×3, first 2 shown]
	v_mul_u32_u24_e32 v2, 0x10001, v2
	v_pk_mul_f16 v3, v3, v2
	v_pk_fma_f16 v3, v93, v105, v3
	v_pk_fma_f16 v107, v96, v124, v107
	;; [unrolled: 1-line block ×8, first 2 shown]
	v_mul_u32_u24_sdwa v115, v33, s78 dst_sel:DWORD dst_unused:UNUSED_PAD src0_sel:WORD_0 src1_sel:DWORD
	v_mul_u32_u24_sdwa v33, v33, s78 dst_sel:DWORD dst_unused:UNUSED_PAD src0_sel:WORD_1 src1_sel:DWORD
	v_mul_u32_u24_sdwa v117, v35, s78 dst_sel:DWORD dst_unused:UNUSED_PAD src0_sel:WORD_0 src1_sel:DWORD
	v_mul_u32_u24_sdwa v35, v35, s78 dst_sel:DWORD dst_unused:UNUSED_PAD src0_sel:WORD_1 src1_sel:DWORD
	;; [unrolled: 2-line block ×3, first 2 shown]
	s_waitcnt vmcnt(6)
	v_pk_mul_f16 v2, v4, v2
	v_cndmask_b32_e64 v4, 0, v102, s[30:31]
	v_cndmask_b32_e64 v101, v29, v4, s[34:35]
	v_cvt_f16_f32_e32 v4, v101
	v_pk_fma_f16 v2, v94, v105, v2
	v_pk_fma_f16 v105, v96, v119, v108
	;; [unrolled: 1-line block ×3, first 2 shown]
	v_mul_u32_u24_e32 v4, 0x10001, v4
	s_waitcnt vmcnt(5)
	v_pk_mul_f16 v5, v5, v4
	s_waitcnt vmcnt(3)
	v_pk_mul_f16 v4, v6, v4
	v_cndmask_b32_e64 v6, 0, v103, s[36:37]
	v_cndmask_b32_e64 v102, v29, v6, s[38:39]
	v_cvt_f16_f32_e32 v6, v102
	v_pk_fma_f16 v109, v95, v124, v116
	v_pk_fma_f16 v2, v96, v123, v2
	;; [unrolled: 1-line block ×3, first 2 shown]
	v_mul_u32_u24_e32 v6, 0x10001, v6
	v_pk_fma_f16 v4, v94, v122, v4
	s_waitcnt vmcnt(1)
	v_pk_mul_f16 v7, v7, v6
	v_pk_fma_f16 v7, v93, v121, v7
	v_pk_fma_f16 v5, v95, v111, v5
	;; [unrolled: 1-line block ×4, first 2 shown]
	s_waitcnt vmcnt(0)
	v_pk_mul_f16 v6, v8, v6
	v_cndmask_b32_e64 v8, 0, v113, s[44:45]
	v_cndmask_b32_e64 v103, v29, v8, s[46:47]
	v_cvt_f16_f32_e32 v8, v103
	v_pk_fma_f16 v6, v94, v121, v6
	v_pk_fma_f16 v6, v96, v110, v6
	v_mul_u32_u24_sdwa v110, v92, s78 dst_sel:DWORD dst_unused:UNUSED_PAD src0_sel:WORD_0 src1_sel:DWORD
	v_mul_u32_u24_e32 v8, 0x10001, v8
	v_pk_mul_f16 v113, v97, v8
	buffer_load_dword v97, off, s[84:87], 0 offset:12 ; 4-byte Folded Reload
	buffer_load_dword v29, off, s[84:87], 0 offset:144 ; 4-byte Folded Reload
	;; [unrolled: 1-line block ×5, first 2 shown]
	v_pk_fma_f16 v93, v93, v120, v113
	v_pk_fma_f16 v93, v95, v104, v93
	v_mul_u32_u24_sdwa v92, v92, s78 dst_sel:DWORD dst_unused:UNUSED_PAD src0_sel:WORD_1 src1_sel:DWORD
	v_mul_u32_u24_sdwa v111, v85, s78 dst_sel:DWORD dst_unused:UNUSED_PAD src0_sel:WORD_0 src1_sel:DWORD
	v_mul_u32_u24_sdwa v85, v85, s78 dst_sel:DWORD dst_unused:UNUSED_PAD src0_sel:WORD_1 src1_sel:DWORD
	v_mul_u32_u24_sdwa v112, v86, s78 dst_sel:DWORD dst_unused:UNUSED_PAD src0_sel:WORD_0 src1_sel:DWORD
	;; [unrolled: 2-line block ×3, first 2 shown]
	v_mul_u32_u24_sdwa v87, v87, s78 dst_sel:DWORD dst_unused:UNUSED_PAD src0_sel:WORD_1 src1_sel:DWORD
	v_pk_fma_f16 v7, v81, v110, v7
	v_pk_fma_f16 v6, v82, v110, v6
	v_mul_u32_u24_sdwa v110, v68, s78 dst_sel:DWORD dst_unused:UNUSED_PAD src0_sel:WORD_0 src1_sel:DWORD
	v_mul_u32_u24_sdwa v68, v68, s78 dst_sel:DWORD dst_unused:UNUSED_PAD src0_sel:WORD_1 src1_sel:DWORD
	v_mul_u32_u24_sdwa v116, v34, s78 dst_sel:DWORD dst_unused:UNUSED_PAD src0_sel:WORD_0 src1_sel:DWORD
	v_mul_u32_u24_sdwa v34, v34, s78 dst_sel:DWORD dst_unused:UNUSED_PAD src0_sel:WORD_1 src1_sel:DWORD
	s_waitcnt vmcnt(1)
	v_mul_u32_u24_sdwa v121, v31, s78 dst_sel:DWORD dst_unused:UNUSED_PAD src0_sel:WORD_0 src1_sel:DWORD
	v_pk_mul_f16 v8, v97, v8
	buffer_load_dword v97, off, s[84:87], 0 offset:72 ; 4-byte Folded Reload
	buffer_load_dword v123, off, s[84:87], 0 offset:108 ; 4-byte Folded Reload
	;; [unrolled: 1-line block ×3, first 2 shown]
	v_pk_fma_f16 v8, v94, v120, v8
	v_pk_fma_f16 v94, v95, v119, v114
	;; [unrolled: 1-line block ×3, first 2 shown]
	v_mul_u32_u24_sdwa v95, v89, s78 dst_sel:DWORD dst_unused:UNUSED_PAD src0_sel:WORD_0 src1_sel:DWORD
	v_mul_u32_u24_sdwa v89, v89, s78 dst_sel:DWORD dst_unused:UNUSED_PAD src0_sel:WORD_1 src1_sel:DWORD
	v_mul_u32_u24_sdwa v96, v90, s78 dst_sel:DWORD dst_unused:UNUSED_PAD src0_sel:WORD_0 src1_sel:DWORD
	v_mul_u32_u24_sdwa v90, v90, s78 dst_sel:DWORD dst_unused:UNUSED_PAD src0_sel:WORD_1 src1_sel:DWORD
	;; [unrolled: 2-line block ×4, first 2 shown]
	v_pk_fma_f16 v94, v81, v95, v94
	v_pk_fma_f16 v95, v82, v95, v105
	;; [unrolled: 1-line block ×24, first 2 shown]
	v_mul_u32_u24_sdwa v86, v77, s78 dst_sel:DWORD dst_unused:UNUSED_PAD src0_sel:WORD_0 src1_sel:DWORD
	v_pk_fma_f16 v5, v83, v87, v5
	v_pk_fma_f16 v4, v84, v87, v4
	v_mul_u32_u24_sdwa v77, v77, s78 dst_sel:DWORD dst_unused:UNUSED_PAD src0_sel:WORD_1 src1_sel:DWORD
	v_pk_fma_f16 v7, v83, v114, v7
	v_pk_fma_f16 v6, v84, v114, v6
	v_mul_u32_u24_sdwa v87, v78, s78 dst_sel:DWORD dst_unused:UNUSED_PAD src0_sel:WORD_0 src1_sel:DWORD
	v_pk_fma_f16 v81, v83, v88, v81
	v_pk_fma_f16 v8, v84, v88, v8
	v_mul_u32_u24_sdwa v78, v78, s78 dst_sel:DWORD dst_unused:UNUSED_PAD src0_sel:WORD_1 src1_sel:DWORD
	v_mul_u32_u24_sdwa v83, v79, s78 dst_sel:DWORD dst_unused:UNUSED_PAD src0_sel:WORD_0 src1_sel:DWORD
	v_mul_u32_u24_sdwa v79, v79, s78 dst_sel:DWORD dst_unused:UNUSED_PAD src0_sel:WORD_1 src1_sel:DWORD
	v_mul_u32_u24_sdwa v84, v80, s78 dst_sel:DWORD dst_unused:UNUSED_PAD src0_sel:WORD_0 src1_sel:DWORD
	;; [unrolled: 2-line block ×6, first 2 shown]
	v_mul_u32_u24_sdwa v76, v76, s78 dst_sel:DWORD dst_unused:UNUSED_PAD src0_sel:WORD_1 src1_sel:DWORD
	v_pk_fma_f16 v82, v57, v86, v82
	v_pk_fma_f16 v86, v58, v86, v90
	;; [unrolled: 1-line block ×11, first 2 shown]
	v_mul_u32_u24_sdwa v96, v69, s78 dst_sel:DWORD dst_unused:UNUSED_PAD src0_sel:WORD_0 src1_sel:DWORD
	v_mul_u32_u24_sdwa v69, v69, s78 dst_sel:DWORD dst_unused:UNUSED_PAD src0_sel:WORD_1 src1_sel:DWORD
	v_mul_u32_u24_sdwa v104, v70, s78 dst_sel:DWORD dst_unused:UNUSED_PAD src0_sel:WORD_0 src1_sel:DWORD
	v_mul_u32_u24_sdwa v70, v70, s78 dst_sel:DWORD dst_unused:UNUSED_PAD src0_sel:WORD_1 src1_sel:DWORD
	;; [unrolled: 2-line block ×4, first 2 shown]
	v_pk_fma_f16 v87, v58, v87, v92
	v_pk_fma_f16 v1, v58, v78, v1
	;; [unrolled: 1-line block ×3, first 2 shown]
	s_waitcnt vmcnt(0)
	v_fmac_f32_e32 v123, v97, v124
	buffer_load_dword v97, off, s[84:87], 0 offset:76 ; 4-byte Folded Reload
	buffer_load_dword v126, off, s[84:87], 0 offset:116 ; 4-byte Folded Reload
	;; [unrolled: 1-line block ×3, first 2 shown]
	v_pk_fma_f16 v4, v58, v79, v4
	v_pk_fma_f16 v6, v58, v84, v6
	;; [unrolled: 1-line block ×12, first 2 shown]
	v_mul_u32_u24_sdwa v107, v65, s78 dst_sel:DWORD dst_unused:UNUSED_PAD src0_sel:WORD_0 src1_sel:DWORD
	v_mul_u32_u24_sdwa v65, v65, s78 dst_sel:DWORD dst_unused:UNUSED_PAD src0_sel:WORD_1 src1_sel:DWORD
	v_mul_u32_u24_sdwa v108, v66, s78 dst_sel:DWORD dst_unused:UNUSED_PAD src0_sel:WORD_0 src1_sel:DWORD
	v_mul_u32_u24_sdwa v66, v66, s78 dst_sel:DWORD dst_unused:UNUSED_PAD src0_sel:WORD_1 src1_sel:DWORD
	;; [unrolled: 2-line block ×3, first 2 shown]
	v_pk_fma_f16 v78, v60, v88, v86
	v_pk_fma_f16 v80, v60, v93, v87
	;; [unrolled: 1-line block ×16, first 2 shown]
	v_mul_u32_u24_sdwa v111, v61, s78 dst_sel:DWORD dst_unused:UNUSED_PAD src0_sel:WORD_0 src1_sel:DWORD
	v_mul_u32_u24_sdwa v61, v61, s78 dst_sel:DWORD dst_unused:UNUSED_PAD src0_sel:WORD_1 src1_sel:DWORD
	v_mul_u32_u24_sdwa v112, v62, s78 dst_sel:DWORD dst_unused:UNUSED_PAD src0_sel:WORD_0 src1_sel:DWORD
	v_mul_u32_u24_sdwa v62, v62, s78 dst_sel:DWORD dst_unused:UNUSED_PAD src0_sel:WORD_1 src1_sel:DWORD
	;; [unrolled: 2-line block ×4, first 2 shown]
	v_pk_fma_f16 v78, v26, v96, v78
	v_pk_fma_f16 v77, v26, v104, v80
	;; [unrolled: 1-line block ×15, first 2 shown]
	v_mul_u32_u24_sdwa v74, v53, s78 dst_sel:DWORD dst_unused:UNUSED_PAD src0_sel:WORD_0 src1_sel:DWORD
	v_mul_u32_u24_sdwa v53, v53, s78 dst_sel:DWORD dst_unused:UNUSED_PAD src0_sel:WORD_1 src1_sel:DWORD
	v_mul_u32_u24_sdwa v75, v54, s78 dst_sel:DWORD dst_unused:UNUSED_PAD src0_sel:WORD_0 src1_sel:DWORD
	v_mul_u32_u24_sdwa v54, v54, s78 dst_sel:DWORD dst_unused:UNUSED_PAD src0_sel:WORD_1 src1_sel:DWORD
	;; [unrolled: 2-line block ×4, first 2 shown]
	v_pk_fma_f16 v27, v28, v107, v78
	v_pk_fma_f16 v65, v28, v65, v69
	;; [unrolled: 1-line block ×14, first 2 shown]
	s_waitcnt vmcnt(0)
	v_fmac_f32_e32 v126, v97, v124
	buffer_load_dword v97, off, s[84:87], 0 offset:80 ; 4-byte Folded Reload
	buffer_load_dword v127, off, s[84:87], 0 offset:120 ; 4-byte Folded Reload
	v_pk_fma_f16 v21, v21, v64, v25
	v_pk_fma_f16 v8, v22, v64, v8
	v_mul_u32_u24_sdwa v76, v49, s78 dst_sel:DWORD dst_unused:UNUSED_PAD src0_sel:WORD_0 src1_sel:DWORD
	v_mul_u32_u24_sdwa v49, v49, s78 dst_sel:DWORD dst_unused:UNUSED_PAD src0_sel:WORD_1 src1_sel:DWORD
	v_mul_u32_u24_sdwa v81, v50, s78 dst_sel:DWORD dst_unused:UNUSED_PAD src0_sel:WORD_0 src1_sel:DWORD
	v_mul_u32_u24_sdwa v50, v50, s78 dst_sel:DWORD dst_unused:UNUSED_PAD src0_sel:WORD_1 src1_sel:DWORD
	v_mul_u32_u24_sdwa v82, v51, s78 dst_sel:DWORD dst_unused:UNUSED_PAD src0_sel:WORD_0 src1_sel:DWORD
	v_mul_u32_u24_sdwa v51, v51, s78 dst_sel:DWORD dst_unused:UNUSED_PAD src0_sel:WORD_1 src1_sel:DWORD
	v_mul_u32_u24_sdwa v83, v52, s78 dst_sel:DWORD dst_unused:UNUSED_PAD src0_sel:WORD_0 src1_sel:DWORD
	v_mul_u32_u24_sdwa v52, v52, s78 dst_sel:DWORD dst_unused:UNUSED_PAD src0_sel:WORD_1 src1_sel:DWORD
	v_pk_fma_f16 v25, v22, v111, v27
	v_pk_fma_f16 v27, v22, v61, v65
	v_pk_fma_f16 v58, v22, v112, v69
	v_pk_fma_f16 v1, v22, v62, v1
	v_pk_fma_f16 v2, v22, v113, v2
	v_pk_fma_f16 v4, v22, v63, v4
	v_pk_fma_f16 v6, v22, v114, v6
	v_pk_fma_f16 v22, v23, v74, v26
	v_pk_fma_f16 v26, v23, v53, v28
	v_pk_fma_f16 v28, v23, v75, v57
	v_pk_fma_f16 v0, v23, v54, v0
	v_pk_fma_f16 v3, v23, v59, v3
	v_pk_fma_f16 v5, v23, v55, v5
	v_pk_fma_f16 v7, v23, v60, v7
	v_pk_fma_f16 v21, v23, v56, v21
	v_pk_fma_f16 v8, v24, v56, v8
	v_mul_u32_u24_sdwa v84, v45, s78 dst_sel:DWORD dst_unused:UNUSED_PAD src0_sel:WORD_0 src1_sel:DWORD
	v_mul_u32_u24_sdwa v45, v45, s78 dst_sel:DWORD dst_unused:UNUSED_PAD src0_sel:WORD_1 src1_sel:DWORD
	v_mul_u32_u24_sdwa v85, v46, s78 dst_sel:DWORD dst_unused:UNUSED_PAD src0_sel:WORD_0 src1_sel:DWORD
	v_mul_u32_u24_sdwa v46, v46, s78 dst_sel:DWORD dst_unused:UNUSED_PAD src0_sel:WORD_1 src1_sel:DWORD
	v_mul_u32_u24_sdwa v86, v47, s78 dst_sel:DWORD dst_unused:UNUSED_PAD src0_sel:WORD_0 src1_sel:DWORD
	v_mul_u32_u24_sdwa v47, v47, s78 dst_sel:DWORD dst_unused:UNUSED_PAD src0_sel:WORD_1 src1_sel:DWORD
	v_mul_u32_u24_sdwa v87, v48, s78 dst_sel:DWORD dst_unused:UNUSED_PAD src0_sel:WORD_0 src1_sel:DWORD
	v_mul_u32_u24_sdwa v48, v48, s78 dst_sel:DWORD dst_unused:UNUSED_PAD src0_sel:WORD_1 src1_sel:DWORD
	v_pk_fma_f16 v23, v24, v74, v25
	v_pk_fma_f16 v25, v24, v53, v27
	v_pk_fma_f16 v27, v24, v75, v58
	v_pk_fma_f16 v1, v24, v54, v1
	v_pk_fma_f16 v2, v24, v59, v2
	v_pk_fma_f16 v4, v24, v55, v4
	v_pk_fma_f16 v6, v24, v60, v6
	v_pk_fma_f16 v22, v17, v76, v22
	v_pk_fma_f16 v24, v17, v49, v26
	v_pk_fma_f16 v26, v17, v81, v28
	v_pk_fma_f16 v0, v17, v50, v0
	v_pk_fma_f16 v3, v17, v82, v3
	v_pk_fma_f16 v5, v17, v51, v5
	v_pk_fma_f16 v7, v17, v83, v7
	;; [unrolled: 24-line block ×3, first 2 shown]
	v_pk_fma_f16 v17, v19, v48, v17
	v_pk_fma_f16 v8, v20, v48, v8
	v_mul_u32_u24_sdwa v95, v40, s78 dst_sel:DWORD dst_unused:UNUSED_PAD src0_sel:WORD_0 src1_sel:DWORD
	v_mul_u32_u24_sdwa v40, v40, s78 dst_sel:DWORD dst_unused:UNUSED_PAD src0_sel:WORD_1 src1_sel:DWORD
	v_pk_fma_f16 v19, v20, v84, v21
	v_pk_fma_f16 v21, v20, v45, v23
	v_pk_fma_f16 v23, v20, v85, v25
	s_waitcnt vmcnt(0)
	v_fmac_f32_e32 v127, v97, v98
	buffer_load_dword v97, off, s[84:87], 0 offset:84 ; 4-byte Folded Reload
	buffer_load_dword v124, off, s[84:87], 0 offset:112 ; 4-byte Folded Reload
	v_pk_fma_f16 v1, v20, v46, v1
	v_pk_fma_f16 v2, v20, v86, v2
	;; [unrolled: 1-line block ×15, first 2 shown]
	v_mul_u32_u24_sdwa v92, v37, s78 dst_sel:DWORD dst_unused:UNUSED_PAD src0_sel:WORD_0 src1_sel:DWORD
	v_mul_u32_u24_sdwa v37, v37, s78 dst_sel:DWORD dst_unused:UNUSED_PAD src0_sel:WORD_1 src1_sel:DWORD
	v_mul_u32_u24_sdwa v93, v38, s78 dst_sel:DWORD dst_unused:UNUSED_PAD src0_sel:WORD_0 src1_sel:DWORD
	v_mul_u32_u24_sdwa v38, v38, s78 dst_sel:DWORD dst_unused:UNUSED_PAD src0_sel:WORD_1 src1_sel:DWORD
	;; [unrolled: 2-line block ×3, first 2 shown]
	v_pk_fma_f16 v17, v14, v88, v19
	v_pk_fma_f16 v19, v14, v41, v21
	v_pk_fma_f16 v21, v14, v89, v23
	v_pk_fma_f16 v1, v14, v42, v1
	v_pk_fma_f16 v2, v14, v90, v2
	v_pk_fma_f16 v4, v14, v43, v4
	v_pk_fma_f16 v6, v14, v91, v6
	v_pk_fma_f16 v14, v15, v92, v18
	v_pk_fma_f16 v18, v15, v37, v20
	v_pk_fma_f16 v20, v15, v93, v22
	v_pk_fma_f16 v0, v15, v38, v0
	v_pk_fma_f16 v3, v15, v94, v3
	v_pk_fma_f16 v5, v15, v39, v5
	v_pk_fma_f16 v7, v15, v95, v7
	v_pk_fma_f16 v15, v16, v92, v17
	v_pk_fma_f16 v17, v16, v37, v19
	v_pk_fma_f16 v19, v16, v93, v21
	v_pk_fma_f16 v1, v16, v38, v1
	v_pk_fma_f16 v2, v16, v94, v2
	v_pk_fma_f16 v4, v16, v39, v4
	v_pk_fma_f16 v6, v16, v95, v6
	v_mul_u32_u24_sdwa v119, v29, s78 dst_sel:DWORD dst_unused:UNUSED_PAD src0_sel:WORD_0 src1_sel:DWORD
	v_mul_u32_u24_sdwa v29, v29, s78 dst_sel:DWORD dst_unused:UNUSED_PAD src0_sel:WORD_1 src1_sel:DWORD
	v_mul_u32_u24_sdwa v120, v30, s78 dst_sel:DWORD dst_unused:UNUSED_PAD src0_sel:WORD_0 src1_sel:DWORD
	v_mul_u32_u24_sdwa v30, v30, s78 dst_sel:DWORD dst_unused:UNUSED_PAD src0_sel:WORD_1 src1_sel:DWORD
	v_mul_u32_u24_sdwa v31, v31, s78 dst_sel:DWORD dst_unused:UNUSED_PAD src0_sel:WORD_1 src1_sel:DWORD
	v_mul_u32_u24_sdwa v122, v32, s78 dst_sel:DWORD dst_unused:UNUSED_PAD src0_sel:WORD_0 src1_sel:DWORD
	v_mul_u32_u24_sdwa v32, v32, s78 dst_sel:DWORD dst_unused:UNUSED_PAD src0_sel:WORD_1 src1_sel:DWORD
	v_pk_fma_f16 v14, v9, v115, v14
	v_pk_fma_f16 v16, v9, v33, v18
	;; [unrolled: 1-line block ×30, first 2 shown]
	s_waitcnt vmcnt(0)
	v_fmac_f32_e32 v124, v97, v99
	buffer_load_dword v97, off, s[84:87], 0 offset:88 ; 4-byte Folded Reload
	buffer_load_dword v99, off, s[84:87], 0 offset:124 ; 4-byte Folded Reload
	v_pk_fma_f16 v6, v12, v122, v6
	v_pk_fma_f16 v8, v12, v32, v8
	s_waitcnt vmcnt(0)
	v_fmac_f32_e32 v99, v97, v100
	buffer_load_dword v97, off, s[84:87], 0 offset:92 ; 4-byte Folded Reload
	buffer_load_dword v98, off, s[84:87], 0 offset:104 ; 4-byte Folded Reload
	s_waitcnt vmcnt(0)
	v_fmac_f32_e32 v98, v97, v101
	buffer_load_dword v97, off, s[84:87], 0 offset:96 ; 4-byte Folded Reload
	buffer_load_dword v101, off, s[84:87], 0 offset:132 ; 4-byte Folded Reload
	;; [unrolled: 4-line block ×3, first 2 shown]
	s_waitcnt vmcnt(0) lgkmcnt(0)
	s_barrier
	buffer_load_dword v106, off, s[84:87], 0 offset:232 ; 4-byte Folded Reload
	buffer_load_dword v40, off, s[84:87], 0 offset:140 ; 4-byte Folded Reload
	v_fmac_f32_e32 v100, v97, v103
	s_waitcnt vmcnt(1)
	ds_read_b128 v[9:12], v106 offset:256
	s_waitcnt vmcnt(0)
	ds_read2_b64 v[13:16], v40 offset1:28
	ds_read_b128 v[17:20], v106 offset:272
	ds_read_b128 v[21:24], v106 offset:288
	;; [unrolled: 1-line block ×3, first 2 shown]
	s_waitcnt lgkmcnt(4)
	v_mul_u32_u24_sdwa v30, v9, s78 dst_sel:DWORD dst_unused:UNUSED_PAD src0_sel:WORD_0 src1_sel:DWORD
	v_mul_u32_u24_sdwa v9, v9, s78 dst_sel:DWORD dst_unused:UNUSED_PAD src0_sel:WORD_1 src1_sel:DWORD
	v_mul_u32_u24_sdwa v31, v10, s78 dst_sel:DWORD dst_unused:UNUSED_PAD src0_sel:WORD_0 src1_sel:DWORD
	v_mul_u32_u24_sdwa v10, v10, s78 dst_sel:DWORD dst_unused:UNUSED_PAD src0_sel:WORD_1 src1_sel:DWORD
	;; [unrolled: 2-line block ×4, first 2 shown]
	s_waitcnt lgkmcnt(3)
	v_pk_fma_f16 v33, v13, v30, v33
	v_pk_fma_f16 v34, v13, v9, v34
	;; [unrolled: 1-line block ×16, first 2 shown]
	s_waitcnt lgkmcnt(2)
	v_mul_u32_u24_sdwa v10, v17, s78 dst_sel:DWORD dst_unused:UNUSED_PAD src0_sel:WORD_0 src1_sel:DWORD
	v_mul_u32_u24_sdwa v11, v17, s78 dst_sel:DWORD dst_unused:UNUSED_PAD src0_sel:WORD_1 src1_sel:DWORD
	v_mul_u32_u24_sdwa v12, v18, s78 dst_sel:DWORD dst_unused:UNUSED_PAD src0_sel:WORD_0 src1_sel:DWORD
	v_mul_u32_u24_sdwa v14, v18, s78 dst_sel:DWORD dst_unused:UNUSED_PAD src0_sel:WORD_1 src1_sel:DWORD
	;; [unrolled: 2-line block ×4, first 2 shown]
	v_pk_fma_f16 v31, v15, v10, v33
	v_pk_fma_f16 v32, v15, v11, v34
	;; [unrolled: 1-line block ×11, first 2 shown]
	ds_read2_b64 v[9:12], v40 offset0:56 offset1:84
	v_pk_fma_f16 v1, v16, v14, v1
	v_pk_fma_f16 v2, v16, v17, v2
	;; [unrolled: 1-line block ×5, first 2 shown]
	s_waitcnt lgkmcnt(2)
	v_mul_u32_u24_sdwa v14, v21, s78 dst_sel:DWORD dst_unused:UNUSED_PAD src0_sel:WORD_0 src1_sel:DWORD
	v_mul_u32_u24_sdwa v16, v21, s78 dst_sel:DWORD dst_unused:UNUSED_PAD src0_sel:WORD_1 src1_sel:DWORD
	v_mul_u32_u24_sdwa v17, v22, s78 dst_sel:DWORD dst_unused:UNUSED_PAD src0_sel:WORD_0 src1_sel:DWORD
	v_mul_u32_u24_sdwa v18, v22, s78 dst_sel:DWORD dst_unused:UNUSED_PAD src0_sel:WORD_1 src1_sel:DWORD
	;; [unrolled: 2-line block ×4, first 2 shown]
	s_waitcnt lgkmcnt(0)
	v_pk_fma_f16 v23, v9, v14, v31
	v_pk_fma_f16 v24, v9, v16, v32
	;; [unrolled: 1-line block ×16, first 2 shown]
	v_mul_u32_u24_sdwa v10, v25, s78 dst_sel:DWORD dst_unused:UNUSED_PAD src0_sel:WORD_0 src1_sel:DWORD
	v_mul_u32_u24_sdwa v16, v25, s78 dst_sel:DWORD dst_unused:UNUSED_PAD src0_sel:WORD_1 src1_sel:DWORD
	v_mul_u32_u24_sdwa v17, v26, s78 dst_sel:DWORD dst_unused:UNUSED_PAD src0_sel:WORD_0 src1_sel:DWORD
	v_mul_u32_u24_sdwa v18, v26, s78 dst_sel:DWORD dst_unused:UNUSED_PAD src0_sel:WORD_1 src1_sel:DWORD
	;; [unrolled: 2-line block ×4, first 2 shown]
	v_pk_fma_f16 v24, v11, v16, v24
	v_pk_fma_f16 v27, v12, v10, v13
	;; [unrolled: 1-line block ×4, first 2 shown]
	ds_read_b128 v[13:16], v106 offset:320
	v_pk_fma_f16 v23, v11, v10, v23
	v_pk_fma_f16 v25, v11, v17, v31
	v_pk_fma_f16 v0, v11, v18, v0
	v_pk_fma_f16 v3, v11, v19, v3
	v_pk_fma_f16 v5, v11, v20, v5
	v_pk_fma_f16 v7, v11, v21, v7
	v_pk_fma_f16 v26, v11, v22, v9
	v_pk_fma_f16 v1, v12, v18, v1
	v_pk_fma_f16 v2, v12, v19, v2
	v_pk_fma_f16 v4, v12, v20, v4
	v_pk_fma_f16 v6, v12, v21, v6
	v_pk_fma_f16 v8, v12, v22, v8
	ds_read2_b64 v[9:12], v40 offset0:112 offset1:140
	ds_read_b128 v[17:20], v106 offset:336
	s_waitcnt lgkmcnt(2)
	v_mul_u32_u24_sdwa v21, v13, s78 dst_sel:DWORD dst_unused:UNUSED_PAD src0_sel:WORD_0 src1_sel:DWORD
	v_mul_u32_u24_sdwa v13, v13, s78 dst_sel:DWORD dst_unused:UNUSED_PAD src0_sel:WORD_1 src1_sel:DWORD
	v_mul_u32_u24_sdwa v22, v14, s78 dst_sel:DWORD dst_unused:UNUSED_PAD src0_sel:WORD_0 src1_sel:DWORD
	v_mul_u32_u24_sdwa v14, v14, s78 dst_sel:DWORD dst_unused:UNUSED_PAD src0_sel:WORD_1 src1_sel:DWORD
	;; [unrolled: 2-line block ×4, first 2 shown]
	s_waitcnt lgkmcnt(1)
	v_pk_fma_f16 v23, v9, v21, v23
	v_pk_fma_f16 v24, v9, v13, v24
	;; [unrolled: 1-line block ×13, first 2 shown]
	s_waitcnt lgkmcnt(0)
	v_mul_u32_u24_sdwa v14, v17, s78 dst_sel:DWORD dst_unused:UNUSED_PAD src0_sel:WORD_1 src1_sel:DWORD
	v_mul_u32_u24_sdwa v15, v18, s78 dst_sel:DWORD dst_unused:UNUSED_PAD src0_sel:WORD_0 src1_sel:DWORD
	v_mul_u32_u24_sdwa v16, v18, s78 dst_sel:DWORD dst_unused:UNUSED_PAD src0_sel:WORD_1 src1_sel:DWORD
	v_pk_fma_f16 v21, v10, v21, v27
	v_pk_fma_f16 v2, v10, v30, v2
	;; [unrolled: 1-line block ×3, first 2 shown]
	v_mul_u32_u24_sdwa v10, v17, s78 dst_sel:DWORD dst_unused:UNUSED_PAD src0_sel:WORD_0 src1_sel:DWORD
	v_mul_u32_u24_sdwa v17, v19, s78 dst_sel:DWORD dst_unused:UNUSED_PAD src0_sel:WORD_0 src1_sel:DWORD
	v_mul_u32_u24_sdwa v18, v19, s78 dst_sel:DWORD dst_unused:UNUSED_PAD src0_sel:WORD_1 src1_sel:DWORD
	v_mul_u32_u24_sdwa v19, v20, s78 dst_sel:DWORD dst_unused:UNUSED_PAD src0_sel:WORD_0 src1_sel:DWORD
	v_mul_u32_u24_sdwa v20, v20, s78 dst_sel:DWORD dst_unused:UNUSED_PAD src0_sel:WORD_1 src1_sel:DWORD
	v_pk_fma_f16 v24, v11, v14, v24
	v_pk_fma_f16 v25, v11, v15, v25
	;; [unrolled: 1-line block ×6, first 2 shown]
	ds_read_b128 v[13:16], v106 offset:352
	v_pk_fma_f16 v23, v11, v10, v23
	v_pk_fma_f16 v3, v11, v17, v3
	;; [unrolled: 1-line block ×10, first 2 shown]
	ds_read2_b64 v[9:12], v40 offset0:168 offset1:196
	ds_read_b128 v[17:20], v106 offset:368
	s_waitcnt lgkmcnt(2)
	v_mul_u32_u24_sdwa v28, v13, s78 dst_sel:DWORD dst_unused:UNUSED_PAD src0_sel:WORD_0 src1_sel:DWORD
	v_mul_u32_u24_sdwa v13, v13, s78 dst_sel:DWORD dst_unused:UNUSED_PAD src0_sel:WORD_1 src1_sel:DWORD
	v_mul_u32_u24_sdwa v29, v14, s78 dst_sel:DWORD dst_unused:UNUSED_PAD src0_sel:WORD_0 src1_sel:DWORD
	v_mul_u32_u24_sdwa v14, v14, s78 dst_sel:DWORD dst_unused:UNUSED_PAD src0_sel:WORD_1 src1_sel:DWORD
	;; [unrolled: 2-line block ×4, first 2 shown]
	s_waitcnt lgkmcnt(1)
	v_pk_fma_f16 v23, v9, v28, v23
	v_pk_fma_f16 v24, v9, v13, v24
	;; [unrolled: 1-line block ×16, first 2 shown]
	s_waitcnt lgkmcnt(0)
	v_mul_u32_u24_sdwa v10, v17, s78 dst_sel:DWORD dst_unused:UNUSED_PAD src0_sel:WORD_0 src1_sel:DWORD
	v_mul_u32_u24_sdwa v14, v17, s78 dst_sel:DWORD dst_unused:UNUSED_PAD src0_sel:WORD_1 src1_sel:DWORD
	v_mul_u32_u24_sdwa v15, v18, s78 dst_sel:DWORD dst_unused:UNUSED_PAD src0_sel:WORD_0 src1_sel:DWORD
	v_mul_u32_u24_sdwa v16, v18, s78 dst_sel:DWORD dst_unused:UNUSED_PAD src0_sel:WORD_1 src1_sel:DWORD
	;; [unrolled: 2-line block ×4, first 2 shown]
	v_pk_fma_f16 v23, v11, v10, v23
	v_pk_fma_f16 v24, v11, v14, v24
	;; [unrolled: 1-line block ×14, first 2 shown]
	ds_read_b128 v[13:16], v106 offset:384
	v_pk_fma_f16 v6, v12, v19, v6
	v_pk_fma_f16 v8, v12, v20, v8
	ds_read2_b64 v[9:12], v40 offset0:224 offset1:252
	ds_read_b128 v[17:20], v106 offset:400
	buffer_load_dword v32, off, s[84:87], 0 offset:136 ; 4-byte Folded Reload
	s_waitcnt lgkmcnt(2)
	v_mul_u32_u24_sdwa v28, v13, s78 dst_sel:DWORD dst_unused:UNUSED_PAD src0_sel:WORD_0 src1_sel:DWORD
	v_mul_u32_u24_sdwa v13, v13, s78 dst_sel:DWORD dst_unused:UNUSED_PAD src0_sel:WORD_1 src1_sel:DWORD
	v_mul_u32_u24_sdwa v29, v14, s78 dst_sel:DWORD dst_unused:UNUSED_PAD src0_sel:WORD_0 src1_sel:DWORD
	v_mul_u32_u24_sdwa v14, v14, s78 dst_sel:DWORD dst_unused:UNUSED_PAD src0_sel:WORD_1 src1_sel:DWORD
	;; [unrolled: 2-line block ×4, first 2 shown]
	s_waitcnt lgkmcnt(1)
	v_pk_fma_f16 v23, v9, v28, v23
	v_pk_fma_f16 v24, v9, v13, v24
	;; [unrolled: 1-line block ×13, first 2 shown]
	s_waitcnt lgkmcnt(0)
	v_mul_u32_u24_sdwa v14, v17, s78 dst_sel:DWORD dst_unused:UNUSED_PAD src0_sel:WORD_1 src1_sel:DWORD
	v_mul_u32_u24_sdwa v15, v18, s78 dst_sel:DWORD dst_unused:UNUSED_PAD src0_sel:WORD_0 src1_sel:DWORD
	v_mul_u32_u24_sdwa v16, v18, s78 dst_sel:DWORD dst_unused:UNUSED_PAD src0_sel:WORD_1 src1_sel:DWORD
	v_pk_fma_f16 v21, v10, v28, v21
	v_pk_fma_f16 v2, v10, v30, v2
	;; [unrolled: 1-line block ×3, first 2 shown]
	v_mul_u32_u24_sdwa v10, v17, s78 dst_sel:DWORD dst_unused:UNUSED_PAD src0_sel:WORD_0 src1_sel:DWORD
	v_mul_u32_u24_sdwa v17, v19, s78 dst_sel:DWORD dst_unused:UNUSED_PAD src0_sel:WORD_0 src1_sel:DWORD
	v_mul_u32_u24_sdwa v18, v19, s78 dst_sel:DWORD dst_unused:UNUSED_PAD src0_sel:WORD_1 src1_sel:DWORD
	v_mul_u32_u24_sdwa v19, v20, s78 dst_sel:DWORD dst_unused:UNUSED_PAD src0_sel:WORD_0 src1_sel:DWORD
	v_mul_u32_u24_sdwa v20, v20, s78 dst_sel:DWORD dst_unused:UNUSED_PAD src0_sel:WORD_1 src1_sel:DWORD
	v_pk_fma_f16 v24, v11, v14, v24
	v_pk_fma_f16 v25, v11, v15, v25
	;; [unrolled: 1-line block ×6, first 2 shown]
	ds_read_b128 v[13:16], v106 offset:416
	v_pk_fma_f16 v23, v11, v10, v23
	v_pk_fma_f16 v3, v11, v17, v3
	;; [unrolled: 1-line block ×10, first 2 shown]
	s_waitcnt vmcnt(0)
	ds_read2_b64 v[9:12], v32 offset0:24 offset1:52
	ds_read_b128 v[17:20], v106 offset:432
	s_waitcnt lgkmcnt(2)
	v_mul_u32_u24_sdwa v28, v13, s78 dst_sel:DWORD dst_unused:UNUSED_PAD src0_sel:WORD_0 src1_sel:DWORD
	v_mul_u32_u24_sdwa v13, v13, s78 dst_sel:DWORD dst_unused:UNUSED_PAD src0_sel:WORD_1 src1_sel:DWORD
	v_mul_u32_u24_sdwa v29, v14, s78 dst_sel:DWORD dst_unused:UNUSED_PAD src0_sel:WORD_0 src1_sel:DWORD
	v_mul_u32_u24_sdwa v14, v14, s78 dst_sel:DWORD dst_unused:UNUSED_PAD src0_sel:WORD_1 src1_sel:DWORD
	;; [unrolled: 2-line block ×4, first 2 shown]
	s_waitcnt lgkmcnt(1)
	v_pk_fma_f16 v23, v9, v28, v23
	v_pk_fma_f16 v24, v9, v13, v24
	;; [unrolled: 1-line block ×13, first 2 shown]
	s_waitcnt lgkmcnt(0)
	v_mul_u32_u24_sdwa v14, v17, s78 dst_sel:DWORD dst_unused:UNUSED_PAD src0_sel:WORD_1 src1_sel:DWORD
	v_mul_u32_u24_sdwa v15, v18, s78 dst_sel:DWORD dst_unused:UNUSED_PAD src0_sel:WORD_0 src1_sel:DWORD
	v_mul_u32_u24_sdwa v16, v18, s78 dst_sel:DWORD dst_unused:UNUSED_PAD src0_sel:WORD_1 src1_sel:DWORD
	v_pk_fma_f16 v21, v10, v28, v21
	v_pk_fma_f16 v2, v10, v30, v2
	;; [unrolled: 1-line block ×3, first 2 shown]
	v_mul_u32_u24_sdwa v10, v17, s78 dst_sel:DWORD dst_unused:UNUSED_PAD src0_sel:WORD_0 src1_sel:DWORD
	v_mul_u32_u24_sdwa v17, v19, s78 dst_sel:DWORD dst_unused:UNUSED_PAD src0_sel:WORD_0 src1_sel:DWORD
	v_mul_u32_u24_sdwa v18, v19, s78 dst_sel:DWORD dst_unused:UNUSED_PAD src0_sel:WORD_1 src1_sel:DWORD
	v_mul_u32_u24_sdwa v19, v20, s78 dst_sel:DWORD dst_unused:UNUSED_PAD src0_sel:WORD_0 src1_sel:DWORD
	v_mul_u32_u24_sdwa v20, v20, s78 dst_sel:DWORD dst_unused:UNUSED_PAD src0_sel:WORD_1 src1_sel:DWORD
	v_pk_fma_f16 v24, v11, v14, v24
	v_pk_fma_f16 v25, v11, v15, v25
	;; [unrolled: 1-line block ×6, first 2 shown]
	ds_read_b128 v[13:16], v106 offset:448
	v_pk_fma_f16 v23, v11, v10, v23
	v_pk_fma_f16 v3, v11, v17, v3
	;; [unrolled: 1-line block ×10, first 2 shown]
	ds_read2_b64 v[9:12], v32 offset0:80 offset1:108
	ds_read_b128 v[17:20], v106 offset:464
	s_waitcnt lgkmcnt(2)
	v_mul_u32_u24_sdwa v28, v13, s78 dst_sel:DWORD dst_unused:UNUSED_PAD src0_sel:WORD_0 src1_sel:DWORD
	v_mul_u32_u24_sdwa v13, v13, s78 dst_sel:DWORD dst_unused:UNUSED_PAD src0_sel:WORD_1 src1_sel:DWORD
	v_mul_u32_u24_sdwa v29, v14, s78 dst_sel:DWORD dst_unused:UNUSED_PAD src0_sel:WORD_0 src1_sel:DWORD
	v_mul_u32_u24_sdwa v14, v14, s78 dst_sel:DWORD dst_unused:UNUSED_PAD src0_sel:WORD_1 src1_sel:DWORD
	;; [unrolled: 2-line block ×4, first 2 shown]
	s_waitcnt lgkmcnt(1)
	v_pk_fma_f16 v23, v9, v28, v23
	v_pk_fma_f16 v24, v9, v13, v24
	;; [unrolled: 1-line block ×16, first 2 shown]
	s_waitcnt lgkmcnt(0)
	v_mul_u32_u24_sdwa v10, v17, s78 dst_sel:DWORD dst_unused:UNUSED_PAD src0_sel:WORD_0 src1_sel:DWORD
	v_mul_u32_u24_sdwa v14, v17, s78 dst_sel:DWORD dst_unused:UNUSED_PAD src0_sel:WORD_1 src1_sel:DWORD
	v_mul_u32_u24_sdwa v15, v18, s78 dst_sel:DWORD dst_unused:UNUSED_PAD src0_sel:WORD_0 src1_sel:DWORD
	v_mul_u32_u24_sdwa v16, v18, s78 dst_sel:DWORD dst_unused:UNUSED_PAD src0_sel:WORD_1 src1_sel:DWORD
	;; [unrolled: 2-line block ×4, first 2 shown]
	v_pk_fma_f16 v23, v11, v10, v23
	v_pk_fma_f16 v24, v11, v14, v24
	;; [unrolled: 1-line block ×14, first 2 shown]
	ds_read_b128 v[13:16], v106 offset:480
	v_pk_fma_f16 v6, v12, v19, v6
	v_pk_fma_f16 v8, v12, v20, v8
	ds_read2_b64 v[9:12], v32 offset0:136 offset1:164
	ds_read_b128 v[17:20], v106 offset:496
	s_waitcnt lgkmcnt(0)
	s_barrier
	s_load_dword s14, s[54:55], 0x4
	v_mul_u32_u24_sdwa v28, v13, s78 dst_sel:DWORD dst_unused:UNUSED_PAD src0_sel:WORD_0 src1_sel:DWORD
	v_mul_u32_u24_sdwa v13, v13, s78 dst_sel:DWORD dst_unused:UNUSED_PAD src0_sel:WORD_1 src1_sel:DWORD
	v_mul_u32_u24_sdwa v29, v14, s78 dst_sel:DWORD dst_unused:UNUSED_PAD src0_sel:WORD_0 src1_sel:DWORD
	v_mul_u32_u24_sdwa v14, v14, s78 dst_sel:DWORD dst_unused:UNUSED_PAD src0_sel:WORD_1 src1_sel:DWORD
	;; [unrolled: 2-line block ×4, first 2 shown]
	s_waitcnt lgkmcnt(0)
	s_lshl_b32 s14, s14, 5
	v_pk_fma_f16 v23, v9, v28, v23
	v_pk_fma_f16 v24, v9, v13, v24
	;; [unrolled: 1-line block ×16, first 2 shown]
	v_mul_u32_u24_sdwa v10, v17, s78 dst_sel:DWORD dst_unused:UNUSED_PAD src0_sel:WORD_0 src1_sel:DWORD
	v_mul_u32_u24_sdwa v14, v17, s78 dst_sel:DWORD dst_unused:UNUSED_PAD src0_sel:WORD_1 src1_sel:DWORD
	v_mul_u32_u24_sdwa v15, v18, s78 dst_sel:DWORD dst_unused:UNUSED_PAD src0_sel:WORD_0 src1_sel:DWORD
	v_mul_u32_u24_sdwa v16, v18, s78 dst_sel:DWORD dst_unused:UNUSED_PAD src0_sel:WORD_1 src1_sel:DWORD
	;; [unrolled: 2-line block ×4, first 2 shown]
	s_add_i32 s6, s14, s6
	v_pk_fma_f16 v68, v11, v10, v23
	v_pk_fma_f16 v66, v11, v14, v24
	;; [unrolled: 1-line block ×15, first 2 shown]
	s_cmp_ge_i32 s6, s66
	v_pk_fma_f16 v53, v12, v20, v8
	s_cbranch_scc1 .LBB33_49
; %bb.44:                               ;   in Loop: Header=BB33_23 Depth=1
	buffer_load_dword v0, off, s[84:87], 0 offset:40 ; 4-byte Folded Reload
	buffer_load_dword v1, off, s[84:87], 0 offset:44 ; 4-byte Folded Reload
	;; [unrolled: 1-line block ×8, first 2 shown]
	s_nop 0
	buffer_store_dword v123, off, s[84:87], 0 offset:72 ; 4-byte Folded Spill
	buffer_store_dword v126, off, s[84:87], 0 offset:76 ; 4-byte Folded Spill
	;; [unrolled: 1-line block ×8, first 2 shown]
	s_waitcnt vmcnt(15)
	v_mov_b32_e32 v15, v0
	s_waitcnt vmcnt(14)
	v_mov_b32_e32 v16, v1
	;; [unrolled: 2-line block ×8, first 2 shown]
	s_branch .LBB33_23
.LBB33_45:                              ;   in Loop: Header=BB33_23 Depth=1
	buffer_load_dword v2, off, s[84:87], 0 offset:252 ; 4-byte Folded Reload
	buffer_load_dword v3, off, s[84:87], 0 offset:256 ; 4-byte Folded Reload
	v_mov_b32_e32 v1, s19
	buffer_load_dword v4, off, s[84:87], 0 offset:204 ; 4-byte Folded Reload
	s_waitcnt vmcnt(2)
	v_add_co_u32_e64 v0, s[14:15], s18, v2
	s_waitcnt vmcnt(1)
	v_addc_co_u32_e64 v1, s[14:15], v1, v3, s[14:15]
	global_load_dwordx4 v[0:3], v[0:1], off offset:96
	s_waitcnt vmcnt(0)
	ds_write_b128 v4, v[0:3]
	s_or_b64 exec, exec, s[16:17]
	s_and_saveexec_b64 s[16:17], s[2:3]
	s_cbranch_execz .LBB33_25
.LBB33_46:                              ;   in Loop: Header=BB33_23 Depth=1
	buffer_load_dword v1, off, s[84:87], 0 offset:260 ; 4-byte Folded Reload
	buffer_load_dword v2, off, s[84:87], 0 offset:264 ; 4-byte Folded Reload
	v_mov_b32_e32 v0, s19
	buffer_load_dword v4, off, s[84:87], 0 offset:208 ; 4-byte Folded Reload
	s_waitcnt vmcnt(2)
	v_add_co_u32_e64 v1, s[14:15], s18, v1
	s_waitcnt vmcnt(1)
	v_addc_co_u32_e64 v2, s[14:15], v0, v2, s[14:15]
	buffer_load_dword v0, off, s[84:87], 0 offset:4 ; 4-byte Folded Reload
	s_waitcnt vmcnt(0)
	v_add_co_u32_e64 v0, s[14:15], v1, v0
	v_addc_co_u32_e64 v1, s[14:15], 0, v2, s[14:15]
	global_load_dwordx4 v[0:3], v[0:1], off offset:64
	s_waitcnt vmcnt(0)
	ds_write_b128 v4, v[0:3]
	s_or_b64 exec, exec, s[16:17]
	s_and_saveexec_b64 s[16:17], s[48:49]
	s_cbranch_execnz .LBB33_26
	s_branch .LBB33_27
.LBB33_47:                              ;   in Loop: Header=BB33_23 Depth=1
	buffer_load_dword v17, off, s[84:87], 0 offset:252 ; 4-byte Folded Reload
	buffer_load_dword v18, off, s[84:87], 0 offset:256 ; 4-byte Folded Reload
	v_mov_b32_e32 v0, s19
	s_waitcnt vmcnt(1)
	v_add_co_u32_e64 v17, s[14:15], s18, v17
	s_waitcnt vmcnt(0)
	v_addc_co_u32_e64 v18, s[14:15], v0, v18, s[14:15]
	global_load_dwordx4 v[17:20], v[17:18], off offset:208
	s_nop 0
	buffer_load_dword v0, off, s[84:87], 0 offset:204 ; 4-byte Folded Reload
	s_waitcnt vmcnt(0)
	ds_write_b128 v0, v[17:20]
	s_or_b64 exec, exec, s[16:17]
	s_and_saveexec_b64 s[16:17], s[2:3]
	s_cbranch_execz .LBB33_29
.LBB33_48:                              ;   in Loop: Header=BB33_23 Depth=1
	buffer_load_dword v17, off, s[84:87], 0 offset:260 ; 4-byte Folded Reload
	buffer_load_dword v18, off, s[84:87], 0 offset:264 ; 4-byte Folded Reload
	v_mov_b32_e32 v0, s19
	s_waitcnt vmcnt(1)
	v_add_co_u32_e64 v17, s[14:15], s18, v17
	s_waitcnt vmcnt(0)
	v_addc_co_u32_e64 v0, s[14:15], v0, v18, s[14:15]
	buffer_load_dword v18, off, s[84:87], 0 offset:4 ; 4-byte Folded Reload
	s_waitcnt vmcnt(0)
	v_add_co_u32_e64 v17, s[14:15], v17, v18
	v_addc_co_u32_e64 v18, s[14:15], 0, v0, s[14:15]
	global_load_dwordx4 v[17:20], v[17:18], off offset:176
	s_nop 0
	buffer_load_dword v0, off, s[84:87], 0 offset:208 ; 4-byte Folded Reload
	s_waitcnt vmcnt(0)
	ds_write_b128 v0, v[17:20]
	s_or_b64 exec, exec, s[16:17]
	s_and_saveexec_b64 s[16:17], s[48:49]
	s_cbranch_execnz .LBB33_30
	s_branch .LBB33_31
.LBB33_49:
	buffer_load_dword v37, off, s[84:87], 0 offset:40 ; 4-byte Folded Reload
	buffer_load_dword v38, off, s[84:87], 0 offset:44 ; 4-byte Folded Reload
	;; [unrolled: 1-line block ×8, first 2 shown]
.LBB33_50:
	buffer_load_dword v2, off, s[84:87], 0 offset:180 ; 4-byte Folded Reload
	buffer_load_dword v0, off, s[84:87], 0 offset:184 ; 4-byte Folded Reload
	;; [unrolled: 1-line block ×4, first 2 shown]
	s_cmp_lg_u64 s[52:53], 0
	s_cselect_b64 s[2:3], -1, 0
	s_cmp_eq_u32 s7, 0
	s_cselect_b64 s[8:9], -1, 0
	s_and_b64 s[2:3], s[8:9], s[2:3]
	s_waitcnt vmcnt(2)
	v_cmp_lt_i32_e32 vcc, v0, v2
	s_waitcnt vmcnt(1)
	v_cndmask_b32_e32 v0, v1, v0, vcc
	s_waitcnt vmcnt(0)
	v_cmp_lt_i32_e32 vcc, v3, v2
	v_cndmask_b32_e32 v9, v1, v3, vcc
	buffer_load_dword v3, off, s[84:87], 0 offset:192 ; 4-byte Folded Reload
	v_lshlrev_b32_e32 v0, 2, v0
	v_lshlrev_b32_e32 v12, 2, v9
	ds_bpermute_b32 v9, v0, v123
	ds_bpermute_b32 v17, v0, v127
	;; [unrolled: 1-line block ×3, first 2 shown]
	s_waitcnt lgkmcnt(2)
	v_add_f32_e32 v9, v123, v9
	ds_bpermute_b32 v11, v12, v9
	s_waitcnt lgkmcnt(2)
	v_add_f32_e32 v17, v127, v17
	ds_bpermute_b32 v18, v12, v17
	s_waitcnt lgkmcnt(1)
	v_add_f32_e32 v9, v9, v11
	s_waitcnt lgkmcnt(0)
	v_add_f32_e32 v17, v17, v18
	s_waitcnt vmcnt(0)
	v_cmp_lt_i32_e32 vcc, v3, v2
	v_cndmask_b32_e32 v10, v1, v3, vcc
	buffer_load_dword v3, off, s[84:87], 0 offset:200 ; 4-byte Folded Reload
	v_lshlrev_b32_e32 v13, 2, v10
	ds_bpermute_b32 v11, v13, v9
	ds_bpermute_b32 v18, v13, v17
	s_waitcnt lgkmcnt(1)
	v_add_f32_e32 v9, v9, v11
	s_waitcnt vmcnt(0)
	v_cmp_lt_i32_e32 vcc, v3, v2
	v_cndmask_b32_e32 v10, v1, v3, vcc
	buffer_load_dword v3, off, s[84:87], 0 offset:196 ; 4-byte Folded Reload
	v_lshlrev_b32_e32 v14, 2, v10
	ds_bpermute_b32 v10, v0, v126
	ds_bpermute_b32 v11, v14, v9
	s_waitcnt lgkmcnt(1)
	v_add_f32_e32 v10, v126, v10
	ds_bpermute_b32 v16, v12, v10
	s_waitcnt lgkmcnt(1)
	v_add_f32_e32 v9, v9, v11
	s_waitcnt lgkmcnt(0)
	v_add_f32_e32 v10, v10, v16
	ds_bpermute_b32 v16, v13, v10
	s_waitcnt lgkmcnt(0)
	v_add_f32_e32 v10, v10, v16
	ds_bpermute_b32 v16, v14, v10
	s_waitcnt lgkmcnt(0)
	v_add_f32_e32 v10, v10, v16
	v_add_f32_e32 v16, v17, v18
	v_add_f32_e32 v17, v124, v19
	ds_bpermute_b32 v18, v12, v17
	ds_bpermute_b32 v19, v14, v16
	s_waitcnt lgkmcnt(1)
	v_add_f32_e32 v17, v17, v18
	ds_bpermute_b32 v18, v13, v17
	s_waitcnt lgkmcnt(1)
	v_add_f32_e32 v16, v16, v19
	s_waitcnt lgkmcnt(0)
	v_add_f32_e32 v17, v17, v18
	ds_bpermute_b32 v18, v14, v17
	s_waitcnt vmcnt(0)
	v_cmp_lt_i32_e32 vcc, v3, v2
	v_cndmask_b32_e32 v15, v1, v3, vcc
	v_lshlrev_b32_e32 v15, 2, v15
	ds_bpermute_b32 v11, v15, v9
	ds_bpermute_b32 v21, v15, v10
	s_and_b64 vcc, exec, s[2:3]
	s_waitcnt lgkmcnt(1)
	v_add_f32_e32 v9, v9, v11
	ds_bpermute_b32 v11, v0, v99
	s_waitcnt lgkmcnt(1)
	v_add_f32_e32 v10, v10, v21
	s_waitcnt lgkmcnt(0)
	v_add_f32_e32 v11, v99, v11
	ds_bpermute_b32 v20, v12, v11
	s_waitcnt lgkmcnt(0)
	v_add_f32_e32 v11, v11, v20
	ds_bpermute_b32 v19, v13, v11
	ds_bpermute_b32 v20, v15, v16
	s_waitcnt lgkmcnt(1)
	v_add_f32_e32 v19, v11, v19
	s_waitcnt lgkmcnt(0)
	v_add_f32_e32 v11, v16, v20
	v_add_f32_e32 v16, v17, v18
	ds_bpermute_b32 v18, v0, v98
	ds_bpermute_b32 v20, v0, v101
	ds_bpermute_b32 v0, v0, v100
	ds_bpermute_b32 v21, v14, v19
	ds_bpermute_b32 v17, v15, v16
	s_waitcnt lgkmcnt(4)
	v_add_f32_e32 v18, v98, v18
	s_waitcnt lgkmcnt(3)
	v_add_f32_e32 v20, v101, v20
	;; [unrolled: 2-line block ×3, first 2 shown]
	ds_bpermute_b32 v22, v12, v18
	ds_bpermute_b32 v23, v12, v20
	;; [unrolled: 1-line block ×3, first 2 shown]
	s_waitcnt lgkmcnt(4)
	v_add_f32_e32 v19, v19, v21
	ds_bpermute_b32 v21, v15, v19
	s_waitcnt lgkmcnt(3)
	v_add_f32_e32 v18, v18, v22
	s_waitcnt lgkmcnt(2)
	v_add_f32_e32 v20, v20, v23
	s_waitcnt lgkmcnt(1)
	v_add_f32_e32 v0, v0, v12
	ds_bpermute_b32 v22, v13, v18
	ds_bpermute_b32 v23, v13, v20
	ds_bpermute_b32 v12, v13, v0
	s_waitcnt lgkmcnt(2)
	v_add_f32_e32 v13, v18, v22
	s_waitcnt lgkmcnt(1)
	v_add_f32_e32 v20, v20, v23
	s_waitcnt lgkmcnt(0)
	v_add_f32_e32 v0, v0, v12
	ds_bpermute_b32 v18, v14, v13
	ds_bpermute_b32 v22, v14, v20
	;; [unrolled: 9-line block ×3, first 2 shown]
	ds_bpermute_b32 v23, v15, v0
	v_add_f32_e32 v12, v16, v17
	v_add_f32_e32 v13, v19, v21
	s_waitcnt lgkmcnt(2)
	v_add_f32_e32 v14, v14, v18
	s_waitcnt lgkmcnt(1)
	;; [unrolled: 2-line block ×3, first 2 shown]
	v_add_f32_e32 v16, v0, v23
	s_cbranch_vccz .LBB33_52
; %bb.51:
	s_ashr_i32 s65, s64, 31
	s_lshl_b64 s[2:3], s[64:65], 2
	s_add_u32 s2, s52, s2
	s_addc_u32 s3, s53, s3
	v_mov_b32_e32 v0, 0
	global_load_dwordx2 v[23:24], v0, s[2:3]
	v_max_f32_e32 v1, v37, v37
	v_max_f32_e32 v2, v38, v38
	s_mov_b32 s6, 0x3fb8aa3b
	v_max_f32_e32 v3, v39, v39
	s_mov_b32 s3, 0xc2ce8ed0
	s_mov_b32 s2, 0x42b17218
	v_mov_b32_e32 v0, 0x7f800000
	s_waitcnt vmcnt(0)
	v_max_f32_e32 v31, v23, v23
	v_max_f32_e32 v25, v1, v31
	;; [unrolled: 1-line block ×3, first 2 shown]
	v_sub_f32_e32 v1, v37, v25
	v_max_f32_e32 v26, v2, v32
	v_sub_f32_e32 v2, v23, v25
	v_mul_f32_e32 v7, 0x3fb8aa3b, v1
	v_max_f32_e32 v27, v3, v31
	v_sub_f32_e32 v3, v38, v26
	v_mul_f32_e32 v8, 0x3fb8aa3b, v2
	v_fma_f32 v21, v1, s6, -v7
	v_rndne_f32_e32 v22, v7
	v_sub_f32_e32 v4, v24, v26
	v_mul_f32_e32 v17, 0x3fb8aa3b, v3
	v_fma_f32 v28, v2, s6, -v8
	v_rndne_f32_e32 v29, v8
	v_fmac_f32_e32 v21, 0x32a5705f, v1
	v_sub_f32_e32 v7, v7, v22
	v_mul_f32_e32 v18, 0x3fb8aa3b, v4
	v_fma_f32 v30, v3, s6, -v17
	v_rndne_f32_e32 v33, v17
	v_fmac_f32_e32 v28, 0x32a5705f, v2
	v_sub_f32_e32 v8, v8, v29
	v_add_f32_e32 v7, v7, v21
	v_fma_f32 v34, v4, s6, -v18
	v_rndne_f32_e32 v35, v18
	v_cvt_i32_f32_e32 v22, v22
	v_fmac_f32_e32 v30, 0x32a5705f, v3
	v_sub_f32_e32 v17, v17, v33
	v_add_f32_e32 v8, v8, v28
	v_exp_f32_e32 v7, v7
	v_cvt_i32_f32_e32 v29, v29
	v_fmac_f32_e32 v34, 0x32a5705f, v4
	v_sub_f32_e32 v18, v18, v35
	v_add_f32_e32 v17, v17, v30
	v_exp_f32_e32 v8, v8
	v_cvt_i32_f32_e32 v33, v33
	v_add_f32_e32 v18, v18, v34
	v_exp_f32_e32 v17, v17
	v_cvt_i32_f32_e32 v35, v35
	v_exp_f32_e32 v18, v18
	v_ldexp_f32 v7, v7, v22
	v_cmp_ngt_f32_e32 vcc, s3, v1
	v_ldexp_f32 v8, v8, v29
	v_cndmask_b32_e32 v7, 0, v7, vcc
	v_cmp_ngt_f32_e32 vcc, s3, v2
	v_sub_f32_e32 v5, v39, v27
	v_ldexp_f32 v17, v17, v33
	v_cndmask_b32_e32 v8, 0, v8, vcc
	v_cmp_ngt_f32_e32 vcc, s3, v3
	v_mul_f32_e32 v19, 0x3fb8aa3b, v5
	v_ldexp_f32 v18, v18, v35
	v_cndmask_b32_e32 v21, 0, v17, vcc
	v_cmp_ngt_f32_e32 vcc, s3, v4
	v_sub_f32_e32 v6, v23, v27
	v_fma_f32 v36, v5, s6, -v19
	v_rndne_f32_e32 v37, v19
	v_cndmask_b32_e32 v18, 0, v18, vcc
	v_cmp_nlt_f32_e32 vcc, s2, v1
	v_mul_f32_e32 v20, 0x3fb8aa3b, v6
	v_fmac_f32_e32 v36, 0x32a5705f, v5
	v_sub_f32_e32 v19, v19, v37
	v_cndmask_b32_e32 v1, v0, v7, vcc
	v_cmp_nlt_f32_e32 vcc, s2, v2
	v_fma_f32 v38, v6, s6, -v20
	v_rndne_f32_e32 v39, v20
	v_add_f32_e32 v19, v19, v36
	v_cndmask_b32_e32 v17, v0, v8, vcc
	v_cmp_nlt_f32_e32 vcc, s2, v3
	v_cvt_i32_f32_e32 v37, v37
	v_fmac_f32_e32 v38, 0x32a5705f, v6
	v_sub_f32_e32 v20, v20, v39
	v_exp_f32_e32 v19, v19
	v_cndmask_b32_e32 v2, v0, v21, vcc
	v_cvt_f16_f32_e32 v3, v1
	v_add_f32_e32 v20, v20, v38
	v_cmp_nlt_f32_e32 vcc, s2, v4
	v_cvt_f16_f32_e32 v4, v2
	v_cvt_i32_f32_e32 v39, v39
	v_exp_f32_e32 v20, v20
	v_ldexp_f32 v19, v19, v37
	v_cndmask_b32_e32 v18, v0, v18, vcc
	v_fmac_f32_e32 v17, v9, v1
	v_mul_u32_u24_e32 v1, 0x10001, v3
	v_cmp_ngt_f32_e32 vcc, s3, v5
	v_fmac_f32_e32 v18, v10, v2
	v_mul_u32_u24_e32 v2, 0x10001, v4
	v_pk_mul_f16 v68, v68, v1
	v_pk_mul_f16 v69, v69, v1
	v_cndmask_b32_e32 v1, 0, v19, vcc
	v_cmp_nlt_f32_e32 vcc, s2, v5
	v_pk_mul_f16 v66, v66, v2
	v_pk_mul_f16 v67, v67, v2
	v_cndmask_b32_e32 v1, v0, v1, vcc
	v_ldexp_f32 v2, v20, v39
	v_cmp_ngt_f32_e32 vcc, s3, v6
	v_cndmask_b32_e32 v2, 0, v2, vcc
	v_cmp_nlt_f32_e32 vcc, s2, v6
	v_cndmask_b32_e32 v19, v0, v2, vcc
	v_max_f32_e32 v2, v40, v40
	v_max_f32_e32 v28, v2, v32
	v_sub_f32_e32 v2, v40, v28
	v_mul_f32_e32 v3, 0x3fb8aa3b, v2
	v_fma_f32 v4, v2, s6, -v3
	v_rndne_f32_e32 v5, v3
	v_fmac_f32_e32 v4, 0x32a5705f, v2
	v_sub_f32_e32 v3, v3, v5
	v_fmac_f32_e32 v19, v11, v1
	v_cvt_f16_f32_e32 v1, v1
	v_add_f32_e32 v3, v3, v4
	v_exp_f32_e32 v3, v3
	v_cvt_i32_f32_e32 v4, v5
	v_mul_u32_u24_e32 v1, 0x10001, v1
	v_pk_mul_f16 v64, v64, v1
	v_pk_mul_f16 v65, v65, v1
	v_ldexp_f32 v1, v3, v4
	v_sub_f32_e32 v3, v24, v28
	v_mul_f32_e32 v4, 0x3fb8aa3b, v3
	v_fma_f32 v5, v3, s6, -v4
	v_rndne_f32_e32 v6, v4
	v_fmac_f32_e32 v5, 0x32a5705f, v3
	v_sub_f32_e32 v4, v4, v6
	v_add_f32_e32 v4, v4, v5
	v_exp_f32_e32 v4, v4
	v_cvt_i32_f32_e32 v5, v6
	v_cmp_ngt_f32_e32 vcc, s3, v2
	v_cndmask_b32_e32 v1, 0, v1, vcc
	v_cmp_nlt_f32_e32 vcc, s2, v2
	v_cndmask_b32_e32 v1, v0, v1, vcc
	v_ldexp_f32 v2, v4, v5
	v_cmp_ngt_f32_e32 vcc, s3, v3
	v_cndmask_b32_e32 v2, 0, v2, vcc
	v_cmp_nlt_f32_e32 vcc, s2, v3
	v_cndmask_b32_e32 v20, v0, v2, vcc
	v_max_f32_e32 v2, v41, v41
	v_max_f32_e32 v29, v2, v31
	v_sub_f32_e32 v2, v41, v29
	v_mul_f32_e32 v3, 0x3fb8aa3b, v2
	v_fma_f32 v4, v2, s6, -v3
	v_rndne_f32_e32 v5, v3
	v_fmac_f32_e32 v4, 0x32a5705f, v2
	v_sub_f32_e32 v3, v3, v5
	v_fmac_f32_e32 v20, v12, v1
	v_cvt_f16_f32_e32 v1, v1
	v_add_f32_e32 v3, v3, v4
	v_exp_f32_e32 v3, v3
	v_cvt_i32_f32_e32 v4, v5
	v_mul_u32_u24_e32 v1, 0x10001, v1
	v_pk_mul_f16 v62, v62, v1
	v_pk_mul_f16 v63, v63, v1
	v_ldexp_f32 v1, v3, v4
	v_sub_f32_e32 v3, v23, v29
	v_mul_f32_e32 v4, 0x3fb8aa3b, v3
	v_fma_f32 v5, v3, s6, -v4
	v_rndne_f32_e32 v6, v4
	v_fmac_f32_e32 v5, 0x32a5705f, v3
	v_sub_f32_e32 v4, v4, v6
	v_add_f32_e32 v4, v4, v5
	v_exp_f32_e32 v4, v4
	v_cvt_i32_f32_e32 v5, v6
	v_cmp_ngt_f32_e32 vcc, s3, v2
	v_cndmask_b32_e32 v1, 0, v1, vcc
	v_cmp_nlt_f32_e32 vcc, s2, v2
	;; [unrolled: 35-line block ×5, first 2 shown]
	v_cndmask_b32_e32 v1, v0, v1, vcc
	v_ldexp_f32 v2, v4, v5
	v_cvt_f16_f32_e32 v4, v1
	v_cmp_ngt_f32_e32 vcc, s3, v3
	v_cndmask_b32_e32 v2, 0, v2, vcc
	v_cmp_nlt_f32_e32 vcc, s2, v3
	v_cndmask_b32_e32 v24, v0, v2, vcc
	v_fmac_f32_e32 v24, v16, v1
	v_mul_u32_u24_e32 v0, 0x10001, v4
	v_mov_b32_e32 v44, v32
	v_pk_mul_f16 v54, v54, v0
	v_pk_mul_f16 v53, v53, v0
	v_mov_b32_e32 v43, v31
	v_mov_b32_e32 v42, v30
	;; [unrolled: 1-line block ×15, first 2 shown]
	s_branch .LBB33_53
.LBB33_52:
	v_mov_b32_e32 v24, v16
	v_mov_b32_e32 v23, v15
	;; [unrolled: 1-line block ×8, first 2 shown]
.LBB33_53:
	buffer_load_dword v1, off, s[84:87], 0 offset:304 ; 4-byte Folded Reload
	s_waitcnt vmcnt(0)
	v_add_u32_e32 v0, s33, v1
	v_cmp_gt_i32_e32 vcc, s62, v0
	s_and_saveexec_b64 s[2:3], vcc
	s_cbranch_execz .LBB33_108
; %bb.54:
	s_load_dword s6, s[4:5], 0xd4
	v_mov_b32_e32 v26, 1.0
	s_waitcnt lgkmcnt(0)
	s_cmp_lg_u32 s6, 1
	s_cselect_b64 s[2:3], -1, 0
	s_cmp_eq_u32 s6, 1
	s_cselect_b64 s[8:9], -1, 0
	s_and_b64 vcc, exec, s[2:3]
	s_cbranch_vccnz .LBB33_56
; %bb.55:
	v_div_scale_f32 v0, s[4:5], v9, v9, 1.0
	v_mov_b32_e32 v5, v1
	v_div_scale_f32 v1, vcc, 1.0, v9, 1.0
	v_rcp_f32_e32 v2, v0
	v_fma_f32 v3, -v0, v2, 1.0
	v_fmac_f32_e32 v2, v3, v2
	v_mul_f32_e32 v3, v1, v2
	v_fma_f32 v4, -v0, v3, v1
	v_fmac_f32_e32 v3, v4, v2
	v_fma_f32 v0, -v0, v3, v1
	v_div_fmas_f32 v0, v0, v2, v3
	v_mov_b32_e32 v1, v5
	v_div_fixup_f32 v26, v0, v9, 1.0
.LBB33_56:
	s_mul_i32 s10, s70, s62
	s_add_i32 s10, s10, s33
	v_add_u32_e32 v0, s10, v1
	v_mul_lo_u32 v0, v0, s63
	v_add_u32_e32 v1, s64, v0
	v_mul_lo_u32 v1, s6, v1
	v_add_u32_e32 v25, s7, v1
	s_and_saveexec_b64 s[4:5], s[0:1]
	s_cbranch_execz .LBB33_58
; %bb.57:
	buffer_load_dword v1, off, s[84:87], 0 offset:172 ; 4-byte Folded Reload
	s_movk_i32 s11, 0x70
	v_cvt_f32_f16_sdwa v3, v68 dst_sel:DWORD dst_unused:UNUSED_PAD src0_sel:WORD_1
	v_cvt_f32_f16_e32 v4, v68
	s_waitcnt vmcnt(0)
	v_lshlrev_b32_e32 v1, 2, v1
	v_mad_u64_u32 v[27:28], s[12:13], v25, s11, v[1:2]
	v_mov_b32_e32 v28, 0
	v_mov_b32_e32 v1, s57
	v_lshlrev_b64 v[27:28], 2, v[27:28]
	v_cvt_f32_f16_e32 v2, v69
	v_add_co_u32_e32 v30, vcc, s56, v27
	v_addc_co_u32_e32 v31, vcc, v1, v28, vcc
	v_cvt_f32_f16_sdwa v1, v69 dst_sel:DWORD dst_unused:UNUSED_PAD src0_sel:WORD_1
	v_mul_f32_e32 v28, v26, v2
	v_mul_f32_e32 v27, v26, v3
	v_mul_f32_e32 v29, v26, v1
	v_mul_f32_e32 v26, v26, v4
	global_store_dwordx4 v[30:31], v[26:29], off
.LBB33_58:
	s_or_b64 exec, exec, s[4:5]
	buffer_load_dword v1, off, s[84:87], 0 offset:172 ; 4-byte Folded Reload
	s_waitcnt vmcnt(0)
	v_cmp_eq_u32_e32 vcc, 0, v1
	s_and_b64 s[4:5], vcc, s[2:3]
	s_and_saveexec_b64 s[2:3], s[4:5]
	s_cbranch_execz .LBB33_60
; %bb.59:
	v_ashrrev_i32_e32 v26, 31, v25
	v_lshlrev_b64 v[25:26], 3, v[25:26]
	v_mov_b32_e32 v1, s59
	v_add_co_u32_e32 v25, vcc, s58, v25
	v_addc_co_u32_e32 v26, vcc, v1, v26, vcc
	v_mov_b32_e32 v27, v37
	v_mov_b32_e32 v28, v17
	global_store_dwordx2 v[25:26], v[27:28], off
.LBB33_60:
	s_or_b64 exec, exec, s[2:3]
	v_cndmask_b32_e64 v1, 0, 1, s[8:9]
	v_cmp_ne_u32_e64 s[2:3], 1, v1
	s_andn2_b64 vcc, exec, s[8:9]
	v_mov_b32_e32 v1, 1.0
	s_cbranch_vccnz .LBB33_62
; %bb.61:
	v_div_scale_f32 v1, s[8:9], v10, v10, 1.0
	v_div_scale_f32 v2, vcc, 1.0, v10, 1.0
	v_rcp_f32_e32 v3, v1
	v_fma_f32 v4, -v1, v3, 1.0
	v_fmac_f32_e32 v3, v4, v3
	v_mul_f32_e32 v4, v2, v3
	v_fma_f32 v5, -v1, v4, v2
	v_fmac_f32_e32 v4, v5, v3
	v_fma_f32 v1, -v1, v4, v2
	v_div_fmas_f32 v1, v1, v3, v4
	v_div_fixup_f32 v1, v1, v10, 1.0
.LBB33_62:
	s_add_i32 s11, s64, 1
	v_add_u32_e32 v0, s11, v0
	v_mul_lo_u32 v0, s6, v0
	v_add_u32_e32 v0, s7, v0
	s_and_saveexec_b64 s[8:9], s[0:1]
	s_cbranch_execz .LBB33_64
; %bb.63:
	buffer_load_dword v2, off, s[84:87], 0 offset:312 ; 4-byte Folded Reload
	buffer_load_dword v3, off, s[84:87], 0 offset:316 ; 4-byte Folded Reload
	s_movk_i32 s12, 0x70
	v_cvt_f32_f16_sdwa v4, v66 dst_sel:DWORD dst_unused:UNUSED_PAD src0_sel:WORD_1
	v_cvt_f32_f16_e32 v5, v66
	v_mul_f32_e32 v26, v1, v4
	v_mul_f32_e32 v25, v1, v5
	s_waitcnt vmcnt(0)
	v_mad_u64_u32 v[9:10], s[12:13], v0, s12, v[2:3]
	v_mov_b32_e32 v10, 0
	v_mov_b32_e32 v2, s57
	v_lshlrev_b64 v[9:10], 2, v[9:10]
	v_cvt_f32_f16_e32 v3, v67
	v_add_co_u32_e32 v9, vcc, s56, v9
	v_addc_co_u32_e32 v10, vcc, v2, v10, vcc
	v_cvt_f32_f16_sdwa v2, v67 dst_sel:DWORD dst_unused:UNUSED_PAD src0_sel:WORD_1
	v_mul_f32_e32 v27, v1, v3
	v_mul_f32_e32 v28, v1, v2
	global_store_dwordx4 v[9:10], v[25:28], off
.LBB33_64:
	s_or_b64 exec, exec, s[8:9]
	s_and_saveexec_b64 s[8:9], s[4:5]
	s_cbranch_execz .LBB33_66
; %bb.65:
	v_ashrrev_i32_e32 v1, 31, v0
	v_lshlrev_b64 v[0:1], 3, v[0:1]
	v_mov_b32_e32 v2, s59
	v_add_co_u32_e32 v0, vcc, s58, v0
	v_addc_co_u32_e32 v1, vcc, v2, v1, vcc
	v_mov_b32_e32 v17, v38
	global_store_dwordx2 v[0:1], v[17:18], off
.LBB33_66:
	s_or_b64 exec, exec, s[8:9]
	buffer_load_dword v0, off, s[84:87], 0 offset:308 ; 4-byte Folded Reload
	s_waitcnt vmcnt(0)
	v_add_u32_e32 v0, s33, v0
	v_cmp_gt_i32_e32 vcc, s62, v0
	s_and_b64 exec, exec, vcc
	s_cbranch_execz .LBB33_108
; %bb.67:
	s_and_b64 vcc, exec, s[2:3]
	v_mov_b32_e32 v1, 1.0
	s_cbranch_vccnz .LBB33_69
; %bb.68:
	v_div_scale_f32 v0, s[8:9], v11, v11, 1.0
	v_div_scale_f32 v1, vcc, 1.0, v11, 1.0
	v_rcp_f32_e32 v2, v0
	v_fma_f32 v3, -v0, v2, 1.0
	v_fmac_f32_e32 v2, v3, v2
	v_mul_f32_e32 v3, v1, v2
	v_fma_f32 v4, -v0, v3, v1
	v_fmac_f32_e32 v3, v4, v2
	v_fma_f32 v0, -v0, v3, v1
	v_div_fmas_f32 v0, v0, v2, v3
	v_div_fixup_f32 v1, v0, v11, 1.0
.LBB33_69:
	buffer_load_dword v0, off, s[84:87], 0 offset:308 ; 4-byte Folded Reload
	s_waitcnt vmcnt(0)
	v_add_u32_e32 v0, s10, v0
	v_mul_lo_u32 v0, v0, s63
	v_add_u32_e32 v0, s64, v0
	v_mul_lo_u32 v0, s6, v0
	v_add_u32_e32 v0, s7, v0
	s_and_saveexec_b64 s[8:9], s[0:1]
	s_cbranch_execz .LBB33_71
; %bb.70:
	buffer_load_dword v2, off, s[84:87], 0 offset:312 ; 4-byte Folded Reload
	buffer_load_dword v3, off, s[84:87], 0 offset:316 ; 4-byte Folded Reload
	s_movk_i32 s12, 0x70
	v_cvt_f32_f16_sdwa v4, v64 dst_sel:DWORD dst_unused:UNUSED_PAD src0_sel:WORD_1
	v_cvt_f32_f16_e32 v5, v64
	v_mul_f32_e32 v26, v1, v4
	v_mul_f32_e32 v25, v1, v5
	s_waitcnt vmcnt(0)
	v_mad_u64_u32 v[9:10], s[12:13], v0, s12, v[2:3]
	v_mov_b32_e32 v10, 0
	v_mov_b32_e32 v2, s57
	v_lshlrev_b64 v[9:10], 2, v[9:10]
	v_cvt_f32_f16_e32 v3, v65
	v_add_co_u32_e32 v9, vcc, s56, v9
	v_addc_co_u32_e32 v10, vcc, v2, v10, vcc
	v_cvt_f32_f16_sdwa v2, v65 dst_sel:DWORD dst_unused:UNUSED_PAD src0_sel:WORD_1
	v_mul_f32_e32 v27, v1, v3
	v_mul_f32_e32 v28, v1, v2
	global_store_dwordx4 v[9:10], v[25:28], off
.LBB33_71:
	s_or_b64 exec, exec, s[8:9]
	s_and_saveexec_b64 s[8:9], s[4:5]
	s_cbranch_execz .LBB33_73
; %bb.72:
	v_ashrrev_i32_e32 v1, 31, v0
	v_lshlrev_b64 v[0:1], 3, v[0:1]
	v_mov_b32_e32 v2, s59
	v_add_co_u32_e32 v0, vcc, s58, v0
	v_addc_co_u32_e32 v1, vcc, v2, v1, vcc
	v_mov_b32_e32 v18, v39
	global_store_dwordx2 v[0:1], v[18:19], off
.LBB33_73:
	s_or_b64 exec, exec, s[8:9]
	buffer_load_dword v0, off, s[84:87], 0 offset:320 ; 4-byte Folded Reload
	s_waitcnt vmcnt(0)
	v_lshrrev_b32_e32 v0, 1, v0
	v_add_u32_e32 v1, s33, v0
	v_cmp_gt_i32_e32 vcc, s62, v1
	s_and_b64 exec, exec, vcc
	s_cbranch_execz .LBB33_108
; %bb.74:
	s_and_b64 vcc, exec, s[2:3]
	v_mov_b32_e32 v1, 1.0
	s_cbranch_vccnz .LBB33_76
; %bb.75:
	v_div_scale_f32 v1, s[8:9], v12, v12, 1.0
	v_div_scale_f32 v2, vcc, 1.0, v12, 1.0
	v_rcp_f32_e32 v3, v1
	v_fma_f32 v4, -v1, v3, 1.0
	v_fmac_f32_e32 v3, v4, v3
	v_mul_f32_e32 v4, v2, v3
	v_fma_f32 v5, -v1, v4, v2
	v_fmac_f32_e32 v4, v5, v3
	v_fma_f32 v1, -v1, v4, v2
	v_div_fmas_f32 v1, v1, v3, v4
	v_div_fixup_f32 v1, v1, v12, 1.0
.LBB33_76:
	v_add_u32_e32 v0, s10, v0
	v_mul_lo_u32 v0, v0, s63
	v_add_u32_e32 v0, s11, v0
	v_mul_lo_u32 v0, s6, v0
	v_add_u32_e32 v0, s7, v0
	s_and_saveexec_b64 s[8:9], s[0:1]
	s_cbranch_execz .LBB33_78
; %bb.77:
	buffer_load_dword v2, off, s[84:87], 0 offset:312 ; 4-byte Folded Reload
	buffer_load_dword v3, off, s[84:87], 0 offset:316 ; 4-byte Folded Reload
	s_movk_i32 s12, 0x70
	v_mov_b32_e32 v4, s57
	v_cvt_f32_f16_e32 v5, v63
	v_cvt_f32_f16_sdwa v6, v62 dst_sel:DWORD dst_unused:UNUSED_PAD src0_sel:WORD_1
	v_cvt_f32_f16_e32 v7, v62
	v_mul_f32_e32 v11, v1, v5
	v_mul_f32_e32 v10, v1, v6
	;; [unrolled: 1-line block ×3, first 2 shown]
	s_waitcnt vmcnt(0)
	v_mad_u64_u32 v[2:3], s[12:13], v0, s12, v[2:3]
	v_mov_b32_e32 v3, 0
	v_lshlrev_b64 v[2:3], 2, v[2:3]
	v_add_co_u32_e32 v2, vcc, s56, v2
	v_addc_co_u32_e32 v3, vcc, v4, v3, vcc
	v_cvt_f32_f16_sdwa v4, v63 dst_sel:DWORD dst_unused:UNUSED_PAD src0_sel:WORD_1
	v_mul_f32_e32 v12, v1, v4
	global_store_dwordx4 v[2:3], v[9:12], off
.LBB33_78:
	s_or_b64 exec, exec, s[8:9]
	s_and_saveexec_b64 s[8:9], s[4:5]
	s_cbranch_execz .LBB33_80
; %bb.79:
	v_ashrrev_i32_e32 v1, 31, v0
	v_lshlrev_b64 v[0:1], 3, v[0:1]
	v_mov_b32_e32 v2, s59
	v_add_co_u32_e32 v0, vcc, s58, v0
	v_addc_co_u32_e32 v1, vcc, v2, v1, vcc
	v_mov_b32_e32 v19, v40
	global_store_dwordx2 v[0:1], v[19:20], off
.LBB33_80:
	s_or_b64 exec, exec, s[8:9]
	buffer_load_dword v0, off, s[84:87], 0 offset:324 ; 4-byte Folded Reload
	s_waitcnt vmcnt(0)
	v_lshrrev_b32_e32 v0, 1, v0
	v_add_u32_e32 v1, s33, v0
	v_cmp_gt_i32_e32 vcc, s62, v1
	s_and_b64 exec, exec, vcc
	s_cbranch_execz .LBB33_108
; %bb.81:
	s_and_b64 vcc, exec, s[2:3]
	v_mov_b32_e32 v1, 1.0
	s_cbranch_vccnz .LBB33_83
; %bb.82:
	v_div_scale_f32 v1, s[8:9], v13, v13, 1.0
	v_div_scale_f32 v2, vcc, 1.0, v13, 1.0
	v_rcp_f32_e32 v3, v1
	v_fma_f32 v4, -v1, v3, 1.0
	v_fmac_f32_e32 v3, v4, v3
	v_mul_f32_e32 v4, v2, v3
	v_fma_f32 v5, -v1, v4, v2
	v_fmac_f32_e32 v4, v5, v3
	v_fma_f32 v1, -v1, v4, v2
	v_div_fmas_f32 v1, v1, v3, v4
	v_div_fixup_f32 v1, v1, v13, 1.0
.LBB33_83:
	v_add_u32_e32 v0, s10, v0
	v_mul_lo_u32 v0, v0, s63
	v_add_u32_e32 v0, s64, v0
	v_mul_lo_u32 v0, s6, v0
	v_add_u32_e32 v0, s7, v0
	s_and_saveexec_b64 s[8:9], s[0:1]
	s_cbranch_execz .LBB33_85
; %bb.84:
	buffer_load_dword v2, off, s[84:87], 0 offset:312 ; 4-byte Folded Reload
	buffer_load_dword v3, off, s[84:87], 0 offset:316 ; 4-byte Folded Reload
	s_movk_i32 s12, 0x70
	v_mov_b32_e32 v4, s57
	v_cvt_f32_f16_sdwa v5, v59 dst_sel:DWORD dst_unused:UNUSED_PAD src0_sel:WORD_1
	v_cvt_f32_f16_e32 v6, v59
	s_waitcnt vmcnt(0)
	v_mad_u64_u32 v[2:3], s[12:13], v0, s12, v[2:3]
	v_mov_b32_e32 v3, 0
	v_lshlrev_b64 v[2:3], 2, v[2:3]
	v_add_co_u32_e32 v9, vcc, s56, v2
	v_addc_co_u32_e32 v10, vcc, v4, v3, vcc
	v_cvt_f32_f16_sdwa v2, v60 dst_sel:DWORD dst_unused:UNUSED_PAD src0_sel:WORD_1
	v_cvt_f32_f16_e32 v3, v60
	v_mul_f32_e32 v4, v1, v2
	v_mul_f32_e32 v3, v1, v3
	;; [unrolled: 1-line block ×4, first 2 shown]
	global_store_dwordx4 v[9:10], v[1:4], off
.LBB33_85:
	s_or_b64 exec, exec, s[8:9]
	s_and_saveexec_b64 s[8:9], s[4:5]
	s_cbranch_execz .LBB33_87
; %bb.86:
	v_ashrrev_i32_e32 v1, 31, v0
	v_lshlrev_b64 v[0:1], 3, v[0:1]
	v_mov_b32_e32 v2, s59
	v_add_co_u32_e32 v0, vcc, s58, v0
	v_addc_co_u32_e32 v1, vcc, v2, v1, vcc
	v_mov_b32_e32 v20, v41
	global_store_dwordx2 v[0:1], v[20:21], off
.LBB33_87:
	s_or_b64 exec, exec, s[8:9]
	buffer_load_dword v0, off, s[84:87], 0 offset:328 ; 4-byte Folded Reload
	s_waitcnt vmcnt(0)
	v_lshrrev_b32_e32 v0, 1, v0
	v_add_u32_e32 v1, s33, v0
	v_cmp_gt_i32_e32 vcc, s62, v1
	s_and_b64 exec, exec, vcc
	s_cbranch_execz .LBB33_108
; %bb.88:
	s_and_b64 vcc, exec, s[2:3]
	v_mov_b32_e32 v1, 1.0
	s_cbranch_vccnz .LBB33_90
; %bb.89:
	v_div_scale_f32 v1, s[8:9], v14, v14, 1.0
	v_div_scale_f32 v2, vcc, 1.0, v14, 1.0
	v_rcp_f32_e32 v3, v1
	v_fma_f32 v4, -v1, v3, 1.0
	v_fmac_f32_e32 v3, v4, v3
	v_mul_f32_e32 v4, v2, v3
	v_fma_f32 v5, -v1, v4, v2
	v_fmac_f32_e32 v4, v5, v3
	v_fma_f32 v1, -v1, v4, v2
	v_div_fmas_f32 v1, v1, v3, v4
	v_div_fixup_f32 v1, v1, v14, 1.0
.LBB33_90:
	v_add_u32_e32 v0, s10, v0
	v_mul_lo_u32 v0, v0, s63
	v_add_u32_e32 v0, s11, v0
	v_mul_lo_u32 v0, s6, v0
	v_add_u32_e32 v0, s7, v0
	s_and_saveexec_b64 s[8:9], s[0:1]
	s_cbranch_execz .LBB33_92
; %bb.91:
	buffer_load_dword v2, off, s[84:87], 0 offset:312 ; 4-byte Folded Reload
	buffer_load_dword v3, off, s[84:87], 0 offset:316 ; 4-byte Folded Reload
	s_movk_i32 s12, 0x70
	v_mov_b32_e32 v4, s57
	v_cvt_f32_f16_sdwa v5, v57 dst_sel:DWORD dst_unused:UNUSED_PAD src0_sel:WORD_1
	v_cvt_f32_f16_e32 v6, v57
	s_waitcnt vmcnt(0)
	v_mad_u64_u32 v[2:3], s[12:13], v0, s12, v[2:3]
	v_mov_b32_e32 v3, 0
	v_lshlrev_b64 v[2:3], 2, v[2:3]
	v_add_co_u32_e32 v9, vcc, s56, v2
	v_addc_co_u32_e32 v10, vcc, v4, v3, vcc
	v_cvt_f32_f16_sdwa v2, v58 dst_sel:DWORD dst_unused:UNUSED_PAD src0_sel:WORD_1
	v_cvt_f32_f16_e32 v3, v58
	v_mul_f32_e32 v4, v1, v2
	v_mul_f32_e32 v3, v1, v3
	;; [unrolled: 1-line block ×4, first 2 shown]
	global_store_dwordx4 v[9:10], v[1:4], off
.LBB33_92:
	s_or_b64 exec, exec, s[8:9]
	s_and_saveexec_b64 s[8:9], s[4:5]
	s_cbranch_execz .LBB33_94
; %bb.93:
	v_ashrrev_i32_e32 v1, 31, v0
	v_lshlrev_b64 v[0:1], 3, v[0:1]
	v_mov_b32_e32 v2, s59
	v_add_co_u32_e32 v0, vcc, s58, v0
	v_addc_co_u32_e32 v1, vcc, v2, v1, vcc
	v_mov_b32_e32 v21, v42
	global_store_dwordx2 v[0:1], v[21:22], off
.LBB33_94:
	s_or_b64 exec, exec, s[8:9]
	buffer_load_dword v0, off, s[84:87], 0 offset:332 ; 4-byte Folded Reload
	s_waitcnt vmcnt(0)
	v_lshrrev_b32_e32 v0, 1, v0
	v_add_u32_e32 v1, s33, v0
	v_cmp_gt_i32_e32 vcc, s62, v1
	s_and_b64 exec, exec, vcc
	s_cbranch_execz .LBB33_108
; %bb.95:
	s_and_b64 vcc, exec, s[2:3]
	v_mov_b32_e32 v1, 1.0
	s_cbranch_vccnz .LBB33_97
; %bb.96:
	v_div_scale_f32 v1, s[8:9], v15, v15, 1.0
	v_div_scale_f32 v2, vcc, 1.0, v15, 1.0
	v_rcp_f32_e32 v3, v1
	v_fma_f32 v4, -v1, v3, 1.0
	v_fmac_f32_e32 v3, v4, v3
	v_mul_f32_e32 v4, v2, v3
	v_fma_f32 v5, -v1, v4, v2
	v_fmac_f32_e32 v4, v5, v3
	v_fma_f32 v1, -v1, v4, v2
	v_div_fmas_f32 v1, v1, v3, v4
	v_div_fixup_f32 v1, v1, v15, 1.0
.LBB33_97:
	v_add_u32_e32 v0, s10, v0
	v_mul_lo_u32 v0, v0, s63
	v_add_u32_e32 v0, s64, v0
	v_mul_lo_u32 v0, s6, v0
	v_add_u32_e32 v0, s7, v0
	s_and_saveexec_b64 s[8:9], s[0:1]
	s_cbranch_execz .LBB33_99
; %bb.98:
	buffer_load_dword v2, off, s[84:87], 0 offset:312 ; 4-byte Folded Reload
	buffer_load_dword v3, off, s[84:87], 0 offset:316 ; 4-byte Folded Reload
	s_movk_i32 s12, 0x70
	v_mov_b32_e32 v4, s57
	v_cvt_f32_f16_sdwa v7, v55 dst_sel:DWORD dst_unused:UNUSED_PAD src0_sel:WORD_1
	v_cvt_f32_f16_e32 v8, v55
	s_waitcnt vmcnt(0)
	v_mad_u64_u32 v[2:3], s[12:13], v0, s12, v[2:3]
	v_mov_b32_e32 v3, 0
	v_lshlrev_b64 v[2:3], 2, v[2:3]
	v_add_co_u32_e32 v5, vcc, s56, v2
	v_addc_co_u32_e32 v6, vcc, v4, v3, vcc
	v_cvt_f32_f16_sdwa v2, v56 dst_sel:DWORD dst_unused:UNUSED_PAD src0_sel:WORD_1
	v_cvt_f32_f16_e32 v3, v56
	v_mul_f32_e32 v4, v1, v2
	v_mul_f32_e32 v3, v1, v3
	;; [unrolled: 1-line block ×4, first 2 shown]
	global_store_dwordx4 v[5:6], v[1:4], off
.LBB33_99:
	s_or_b64 exec, exec, s[8:9]
	s_and_saveexec_b64 s[8:9], s[4:5]
	s_cbranch_execz .LBB33_101
; %bb.100:
	v_ashrrev_i32_e32 v1, 31, v0
	v_lshlrev_b64 v[0:1], 3, v[0:1]
	v_mov_b32_e32 v2, s59
	v_add_co_u32_e32 v0, vcc, s58, v0
	v_addc_co_u32_e32 v1, vcc, v2, v1, vcc
	v_mov_b32_e32 v22, v43
	global_store_dwordx2 v[0:1], v[22:23], off
.LBB33_101:
	s_or_b64 exec, exec, s[8:9]
	buffer_load_dword v0, off, s[84:87], 0 offset:336 ; 4-byte Folded Reload
	s_waitcnt vmcnt(0)
	v_lshrrev_b32_e32 v0, 1, v0
	v_add_u32_e32 v1, s33, v0
	v_cmp_gt_i32_e32 vcc, s62, v1
	s_and_b64 exec, exec, vcc
	s_cbranch_execz .LBB33_108
; %bb.102:
	s_and_b64 vcc, exec, s[2:3]
	v_mov_b32_e32 v1, 1.0
	s_cbranch_vccnz .LBB33_104
; %bb.103:
	v_div_scale_f32 v1, s[2:3], v16, v16, 1.0
	v_div_scale_f32 v2, vcc, 1.0, v16, 1.0
	v_rcp_f32_e32 v3, v1
	v_fma_f32 v4, -v1, v3, 1.0
	v_fmac_f32_e32 v3, v4, v3
	v_mul_f32_e32 v4, v2, v3
	v_fma_f32 v5, -v1, v4, v2
	v_fmac_f32_e32 v4, v5, v3
	v_fma_f32 v1, -v1, v4, v2
	v_div_fmas_f32 v1, v1, v3, v4
	v_div_fixup_f32 v1, v1, v16, 1.0
.LBB33_104:
	v_add_u32_e32 v0, s10, v0
	v_mul_lo_u32 v0, v0, s63
	v_add_u32_e32 v0, s11, v0
	v_mul_lo_u32 v0, s6, v0
	v_add_u32_e32 v0, s7, v0
	s_and_saveexec_b64 s[2:3], s[0:1]
	s_cbranch_execz .LBB33_106
; %bb.105:
	buffer_load_dword v2, off, s[84:87], 0 offset:312 ; 4-byte Folded Reload
	buffer_load_dword v3, off, s[84:87], 0 offset:316 ; 4-byte Folded Reload
	s_movk_i32 s0, 0x70
	v_mov_b32_e32 v4, s57
	v_cvt_f32_f16_sdwa v7, v54 dst_sel:DWORD dst_unused:UNUSED_PAD src0_sel:WORD_1
	v_cvt_f32_f16_e32 v8, v54
	s_waitcnt vmcnt(0)
	v_mad_u64_u32 v[2:3], s[0:1], v0, s0, v[2:3]
	v_mov_b32_e32 v3, 0
	v_lshlrev_b64 v[2:3], 2, v[2:3]
	v_add_co_u32_e32 v5, vcc, s56, v2
	v_addc_co_u32_e32 v6, vcc, v4, v3, vcc
	v_cvt_f32_f16_sdwa v2, v53 dst_sel:DWORD dst_unused:UNUSED_PAD src0_sel:WORD_1
	v_cvt_f32_f16_e32 v3, v53
	v_mul_f32_e32 v4, v1, v2
	v_mul_f32_e32 v3, v1, v3
	;; [unrolled: 1-line block ×4, first 2 shown]
	global_store_dwordx4 v[5:6], v[1:4], off
.LBB33_106:
	s_or_b64 exec, exec, s[2:3]
	s_and_b64 exec, exec, s[4:5]
	s_cbranch_execz .LBB33_108
; %bb.107:
	v_ashrrev_i32_e32 v1, 31, v0
	v_lshlrev_b64 v[0:1], 3, v[0:1]
	v_mov_b32_e32 v2, s59
	v_add_co_u32_e32 v0, vcc, s58, v0
	v_addc_co_u32_e32 v1, vcc, v2, v1, vcc
	v_mov_b32_e32 v23, v44
	global_store_dwordx2 v[0:1], v[23:24], off
.LBB33_108:
	s_endpgm
	.section	.rodata,"a",@progbits
	.p2align	6, 0x0
	.amdhsa_kernel _ZL15flash_attn_tileILi112ELi112ELi32ELi2ELb0EEvPKcS1_S1_S1_S1_PKiPfP15HIP_vector_typeIfLj2EEffffjfiS5_IjLj3EEiiiiiiiiiiiliiliiiiil
		.amdhsa_group_segment_fixed_size 22592
		.amdhsa_private_segment_fixed_size 344
		.amdhsa_kernarg_size 464
		.amdhsa_user_sgpr_count 6
		.amdhsa_user_sgpr_private_segment_buffer 1
		.amdhsa_user_sgpr_dispatch_ptr 0
		.amdhsa_user_sgpr_queue_ptr 0
		.amdhsa_user_sgpr_kernarg_segment_ptr 1
		.amdhsa_user_sgpr_dispatch_id 0
		.amdhsa_user_sgpr_flat_scratch_init 0
		.amdhsa_user_sgpr_private_segment_size 0
		.amdhsa_uses_dynamic_stack 0
		.amdhsa_system_sgpr_private_segment_wavefront_offset 1
		.amdhsa_system_sgpr_workgroup_id_x 1
		.amdhsa_system_sgpr_workgroup_id_y 1
		.amdhsa_system_sgpr_workgroup_id_z 1
		.amdhsa_system_sgpr_workgroup_info 0
		.amdhsa_system_vgpr_workitem_id 1
		.amdhsa_next_free_vgpr 128
		.amdhsa_next_free_sgpr 98
		.amdhsa_reserve_vcc 1
		.amdhsa_reserve_flat_scratch 0
		.amdhsa_float_round_mode_32 0
		.amdhsa_float_round_mode_16_64 0
		.amdhsa_float_denorm_mode_32 3
		.amdhsa_float_denorm_mode_16_64 3
		.amdhsa_dx10_clamp 1
		.amdhsa_ieee_mode 1
		.amdhsa_fp16_overflow 0
		.amdhsa_exception_fp_ieee_invalid_op 0
		.amdhsa_exception_fp_denorm_src 0
		.amdhsa_exception_fp_ieee_div_zero 0
		.amdhsa_exception_fp_ieee_overflow 0
		.amdhsa_exception_fp_ieee_underflow 0
		.amdhsa_exception_fp_ieee_inexact 0
		.amdhsa_exception_int_div_zero 0
	.end_amdhsa_kernel
	.section	.text._ZL15flash_attn_tileILi112ELi112ELi32ELi2ELb0EEvPKcS1_S1_S1_S1_PKiPfP15HIP_vector_typeIfLj2EEffffjfiS5_IjLj3EEiiiiiiiiiiiliiliiiiil,"axG",@progbits,_ZL15flash_attn_tileILi112ELi112ELi32ELi2ELb0EEvPKcS1_S1_S1_S1_PKiPfP15HIP_vector_typeIfLj2EEffffjfiS5_IjLj3EEiiiiiiiiiiiliiliiiiil,comdat
.Lfunc_end33:
	.size	_ZL15flash_attn_tileILi112ELi112ELi32ELi2ELb0EEvPKcS1_S1_S1_S1_PKiPfP15HIP_vector_typeIfLj2EEffffjfiS5_IjLj3EEiiiiiiiiiiiliiliiiiil, .Lfunc_end33-_ZL15flash_attn_tileILi112ELi112ELi32ELi2ELb0EEvPKcS1_S1_S1_S1_PKiPfP15HIP_vector_typeIfLj2EEffffjfiS5_IjLj3EEiiiiiiiiiiiliiliiiiil
                                        ; -- End function
	.set _ZL15flash_attn_tileILi112ELi112ELi32ELi2ELb0EEvPKcS1_S1_S1_S1_PKiPfP15HIP_vector_typeIfLj2EEffffjfiS5_IjLj3EEiiiiiiiiiiiliiliiiiil.num_vgpr, 128
	.set _ZL15flash_attn_tileILi112ELi112ELi32ELi2ELb0EEvPKcS1_S1_S1_S1_PKiPfP15HIP_vector_typeIfLj2EEffffjfiS5_IjLj3EEiiiiiiiiiiiliiliiiiil.num_agpr, 0
	.set _ZL15flash_attn_tileILi112ELi112ELi32ELi2ELb0EEvPKcS1_S1_S1_S1_PKiPfP15HIP_vector_typeIfLj2EEffffjfiS5_IjLj3EEiiiiiiiiiiiliiliiiiil.numbered_sgpr, 88
	.set _ZL15flash_attn_tileILi112ELi112ELi32ELi2ELb0EEvPKcS1_S1_S1_S1_PKiPfP15HIP_vector_typeIfLj2EEffffjfiS5_IjLj3EEiiiiiiiiiiiliiliiiiil.num_named_barrier, 0
	.set _ZL15flash_attn_tileILi112ELi112ELi32ELi2ELb0EEvPKcS1_S1_S1_S1_PKiPfP15HIP_vector_typeIfLj2EEffffjfiS5_IjLj3EEiiiiiiiiiiiliiliiiiil.private_seg_size, 344
	.set _ZL15flash_attn_tileILi112ELi112ELi32ELi2ELb0EEvPKcS1_S1_S1_S1_PKiPfP15HIP_vector_typeIfLj2EEffffjfiS5_IjLj3EEiiiiiiiiiiiliiliiiiil.uses_vcc, 1
	.set _ZL15flash_attn_tileILi112ELi112ELi32ELi2ELb0EEvPKcS1_S1_S1_S1_PKiPfP15HIP_vector_typeIfLj2EEffffjfiS5_IjLj3EEiiiiiiiiiiiliiliiiiil.uses_flat_scratch, 0
	.set _ZL15flash_attn_tileILi112ELi112ELi32ELi2ELb0EEvPKcS1_S1_S1_S1_PKiPfP15HIP_vector_typeIfLj2EEffffjfiS5_IjLj3EEiiiiiiiiiiiliiliiiiil.has_dyn_sized_stack, 0
	.set _ZL15flash_attn_tileILi112ELi112ELi32ELi2ELb0EEvPKcS1_S1_S1_S1_PKiPfP15HIP_vector_typeIfLj2EEffffjfiS5_IjLj3EEiiiiiiiiiiiliiliiiiil.has_recursion, 0
	.set _ZL15flash_attn_tileILi112ELi112ELi32ELi2ELb0EEvPKcS1_S1_S1_S1_PKiPfP15HIP_vector_typeIfLj2EEffffjfiS5_IjLj3EEiiiiiiiiiiiliiliiiiil.has_indirect_call, 0
	.section	.AMDGPU.csdata,"",@progbits
; Kernel info:
; codeLenInByte = 26264
; TotalNumSgprs: 92
; NumVgprs: 128
; ScratchSize: 344
; MemoryBound: 0
; FloatMode: 240
; IeeeMode: 1
; LDSByteSize: 22592 bytes/workgroup (compile time only)
; SGPRBlocks: 12
; VGPRBlocks: 31
; NumSGPRsForWavesPerEU: 102
; NumVGPRsForWavesPerEU: 128
; Occupancy: 2
; WaveLimiterHint : 1
; COMPUTE_PGM_RSRC2:SCRATCH_EN: 1
; COMPUTE_PGM_RSRC2:USER_SGPR: 6
; COMPUTE_PGM_RSRC2:TRAP_HANDLER: 0
; COMPUTE_PGM_RSRC2:TGID_X_EN: 1
; COMPUTE_PGM_RSRC2:TGID_Y_EN: 1
; COMPUTE_PGM_RSRC2:TGID_Z_EN: 1
; COMPUTE_PGM_RSRC2:TIDIG_COMP_CNT: 1
	.section	.text._ZL25flash_attn_mask_to_KV_maxILi32EEvPK7__half2Piiii,"axG",@progbits,_ZL25flash_attn_mask_to_KV_maxILi32EEvPK7__half2Piiii,comdat
	.globl	_ZL25flash_attn_mask_to_KV_maxILi32EEvPK7__half2Piiii ; -- Begin function _ZL25flash_attn_mask_to_KV_maxILi32EEvPK7__half2Piiii
	.p2align	8
	.type	_ZL25flash_attn_mask_to_KV_maxILi32EEvPK7__half2Piiii,@function
_ZL25flash_attn_mask_to_KV_maxILi32EEvPK7__half2Piiii: ; @_ZL25flash_attn_mask_to_KV_maxILi32EEvPK7__half2Piiii
; %bb.0:
	s_load_dwordx4 s[8:11], s[4:5], 0x0
	v_cmp_gt_u32_e32 vcc, 32, v0
	s_and_saveexec_b64 s[0:1], vcc
; %bb.1:
	v_lshlrev_b32_e32 v1, 2, v0
	v_mov_b32_e32 v2, 1
	ds_write_b32 v1, v2
; %bb.2:
	s_or_b64 exec, exec, s[0:1]
	s_load_dwordx4 s[12:15], s[4:5], 0x10
	s_load_dword s33, s[4:5], 0x20
	v_and_b32_e32 v1, 31, v0
	v_lshlrev_b32_e32 v6, 2, v1
	v_lshrrev_b32_e32 v5, 3, v0
	s_waitcnt lgkmcnt(0)
	s_mul_i32 s1, s6, s13
	s_mul_i32 s0, s14, s7
	s_lshl_b32 s1, s1, 5
	s_add_i32 s0, s0, s1
	s_ashr_i32 s1, s0, 31
	s_lshl_b64 s[0:1], s[0:1], 2
	s_add_u32 s94, s8, s0
	s_addc_u32 s95, s9, s1
	v_cmp_eq_u32_e64 s[0:1], 0, v1
	v_mbcnt_lo_u32_b32 v1, -1, 0
	s_lshl_b32 s12, s12, 8
	s_mov_b64 s[4:5], 0
	v_mov_b32_e32 v2, 0
	s_movk_i32 s92, 0x204
	v_mbcnt_hi_u32_b32 v7, -1, v1
	s_barrier
                                        ; implicit-def: $sgpr2_sgpr3
	s_branch .LBB34_5
.LBB34_3:                               ;   in Loop: Header=BB34_5 Depth=1
	s_or_b64 exec, exec, s[8:9]
	s_waitcnt lgkmcnt(0)
	s_barrier
	ds_read_b32 v10, v6
	s_waitcnt lgkmcnt(0)
	s_barrier
	ds_bpermute_b32 v1, v1, v10
	v_cmp_ne_u32_e32 vcc, 0, v10
	s_waitcnt lgkmcnt(0)
	v_cmp_ne_u32_e64 s[2:3], 0, v1
	s_and_b64 s[2:3], vcc, s[2:3]
	v_cndmask_b32_e64 v1, 0, 1, s[2:3]
	ds_bpermute_b32 v1, v3, v1
	s_waitcnt lgkmcnt(0)
	v_cmp_ne_u32_e32 vcc, 0, v1
	s_and_b64 s[2:3], vcc, s[2:3]
	v_cndmask_b32_e64 v1, 0, 1, s[2:3]
	ds_bpermute_b32 v1, v4, v1
	s_waitcnt lgkmcnt(0)
	v_cmp_ne_u32_e32 vcc, 0, v1
	;; [unrolled: 5-line block ×3, first 2 shown]
	s_and_b64 s[2:3], vcc, s[2:3]
	v_cndmask_b32_e64 v1, 0, 1, s[2:3]
	ds_bpermute_b32 v1, v9, v1
	s_xor_b64 s[2:3], s[2:3], -1
	s_waitcnt lgkmcnt(0)
	v_cmp_eq_u32_e32 vcc, 0, v1
	s_or_b64 s[2:3], vcc, s[2:3]
.LBB34_4:                               ;   in Loop: Header=BB34_5 Depth=1
	s_and_b64 s[8:9], exec, s[2:3]
	s_or_b64 s[4:5], s[8:9], s[4:5]
	v_mov_b32_e32 v1, s12
	s_mov_b32 s12, s93
	s_andn2_b64 exec, exec, s[4:5]
	s_cbranch_execz .LBB34_132
.LBB34_5:                               ; =>This Inner Loop Header: Depth=1
	s_add_i32 s93, s12, 0xffffff00
	s_or_b64 s[2:3], s[2:3], exec
	s_cmp_lt_i32 s93, 0
	s_cbranch_scc1 .LBB34_4
; %bb.6:                                ;   in Loop: Header=BB34_5 Depth=1
	s_lshr_b32 s2, s93, 1
	v_add_u32_e32 v1, s2, v0
	v_lshlrev_b64 v[3:4], 2, v[1:2]
	v_mov_b32_e32 v8, s95
	v_add_co_u32_e32 v3, vcc, s94, v3
	v_addc_co_u32_e32 v4, vcc, v8, v4, vcc
	global_load_dword v3, v[3:4], off
	v_mov_b32_e32 v4, 0
	s_waitcnt vmcnt(0)
	v_cmp_class_f16_e64 s[2:3], v3, s92
	v_cmp_class_f16_sdwa s[8:9], v3, s92 src0_sel:WORD_1 src1_sel:DWORD
	s_and_b64 s[8:9], s[2:3], s[8:9]
	s_and_saveexec_b64 s[2:3], s[8:9]
	s_cbranch_execz .LBB34_130
; %bb.7:                                ;   in Loop: Header=BB34_5 Depth=1
	v_add_u32_e32 v3, s13, v1
	v_ashrrev_i32_e32 v4, 31, v3
	v_lshlrev_b64 v[8:9], 2, v[3:4]
	v_mov_b32_e32 v1, s95
	v_add_co_u32_e32 v8, vcc, s94, v8
	v_addc_co_u32_e32 v9, vcc, v1, v9, vcc
	global_load_dword v1, v[8:9], off
	v_mov_b32_e32 v4, 0
	s_waitcnt vmcnt(0)
	v_cmp_class_f16_e64 s[14:15], v1, s92
	s_and_saveexec_b64 s[8:9], s[14:15]
	s_cbranch_execz .LBB34_129
; %bb.8:                                ;   in Loop: Header=BB34_5 Depth=1
	v_cmp_class_f16_sdwa s[16:17], v1, s92 src0_sel:WORD_1 src1_sel:DWORD
	v_mov_b32_e32 v4, 0
	s_and_saveexec_b64 s[14:15], s[16:17]
	s_cbranch_execz .LBB34_128
; %bb.9:                                ;   in Loop: Header=BB34_5 Depth=1
	v_add_u32_e32 v3, s13, v3
	v_ashrrev_i32_e32 v4, 31, v3
	v_lshlrev_b64 v[8:9], 2, v[3:4]
	v_mov_b32_e32 v1, s95
	v_add_co_u32_e32 v8, vcc, s94, v8
	v_addc_co_u32_e32 v9, vcc, v1, v9, vcc
	global_load_dword v1, v[8:9], off
	v_mov_b32_e32 v4, 0
	s_waitcnt vmcnt(0)
	v_cmp_class_f16_e64 s[18:19], v1, s92
	s_and_saveexec_b64 s[16:17], s[18:19]
	s_cbranch_execz .LBB34_127
; %bb.10:                               ;   in Loop: Header=BB34_5 Depth=1
	v_cmp_class_f16_sdwa s[20:21], v1, s92 src0_sel:WORD_1 src1_sel:DWORD
	v_mov_b32_e32 v4, 0
	s_and_saveexec_b64 s[18:19], s[20:21]
	s_cbranch_execz .LBB34_126
; %bb.11:                               ;   in Loop: Header=BB34_5 Depth=1
	v_add_u32_e32 v3, s13, v3
	v_ashrrev_i32_e32 v4, 31, v3
	v_lshlrev_b64 v[8:9], 2, v[3:4]
	v_mov_b32_e32 v1, s95
	v_add_co_u32_e32 v8, vcc, s94, v8
	v_addc_co_u32_e32 v9, vcc, v1, v9, vcc
	global_load_dword v1, v[8:9], off
	v_mov_b32_e32 v4, 0
	s_waitcnt vmcnt(0)
	v_cmp_class_f16_e64 s[22:23], v1, s92
	s_and_saveexec_b64 s[20:21], s[22:23]
	s_cbranch_execz .LBB34_125
; %bb.12:                               ;   in Loop: Header=BB34_5 Depth=1
	v_cmp_class_f16_sdwa s[24:25], v1, s92 src0_sel:WORD_1 src1_sel:DWORD
	v_mov_b32_e32 v4, 0
	s_and_saveexec_b64 s[22:23], s[24:25]
	s_cbranch_execz .LBB34_124
; %bb.13:                               ;   in Loop: Header=BB34_5 Depth=1
	;; [unrolled: 18-line block ×18, first 2 shown]
	v_add_u32_e32 v3, s13, v3
	v_ashrrev_i32_e32 v4, 31, v3
	v_lshlrev_b64 v[8:9], 2, v[3:4]
	v_mov_b32_e32 v1, s95
	v_add_co_u32_e32 v8, vcc, s94, v8
	v_addc_co_u32_e32 v9, vcc, v1, v9, vcc
	global_load_dword v1, v[8:9], off
	v_mov_b32_e32 v4, 0
	s_waitcnt vmcnt(0)
	v_cmp_class_f16_e64 vcc, v1, s92
	s_mov_b64 s[90:91], exec
                                        ; implicit-def: $vgpr12 : SGPR spill to VGPR lane
	v_writelane_b32 v12, s90, 0
	s_and_b64 vcc, s[90:91], vcc
	v_writelane_b32 v12, s91, 1
	s_mov_b64 exec, vcc
	s_cbranch_execz .LBB34_91
; %bb.46:                               ;   in Loop: Header=BB34_5 Depth=1
	v_mov_b32_e32 v4, 0
	v_cmp_class_f16_sdwa s[90:91], v1, s92 src0_sel:WORD_1 src1_sel:DWORD
	s_mov_b64 vcc, exec
	v_writelane_b32 v12, vcc_lo, 2
	s_and_b64 s[90:91], vcc, s[90:91]
	v_writelane_b32 v12, vcc_hi, 3
	s_mov_b64 exec, s[90:91]
	s_cbranch_execz .LBB34_90
; %bb.47:                               ;   in Loop: Header=BB34_5 Depth=1
	v_add_u32_e32 v3, s13, v3
	v_ashrrev_i32_e32 v4, 31, v3
	v_lshlrev_b64 v[8:9], 2, v[3:4]
	v_mov_b32_e32 v1, s95
	v_add_co_u32_e32 v8, vcc, s94, v8
	v_addc_co_u32_e32 v9, vcc, v1, v9, vcc
	global_load_dword v1, v[8:9], off
	v_mov_b32_e32 v4, 0
	s_waitcnt vmcnt(0)
	v_cmp_class_f16_e64 s[90:91], v1, s92
	s_mov_b64 vcc, exec
	v_writelane_b32 v12, vcc_lo, 4
	s_and_b64 s[90:91], vcc, s[90:91]
	v_writelane_b32 v12, vcc_hi, 5
	s_mov_b64 exec, s[90:91]
	s_cbranch_execz .LBB34_89
; %bb.48:                               ;   in Loop: Header=BB34_5 Depth=1
	v_mov_b32_e32 v4, 0
	v_cmp_class_f16_sdwa s[90:91], v1, s92 src0_sel:WORD_1 src1_sel:DWORD
	s_mov_b64 vcc, exec
	v_writelane_b32 v12, vcc_lo, 6
	s_and_b64 s[90:91], vcc, s[90:91]
	v_writelane_b32 v12, vcc_hi, 7
	s_mov_b64 exec, s[90:91]
	s_cbranch_execz .LBB34_88
; %bb.49:                               ;   in Loop: Header=BB34_5 Depth=1
	v_add_u32_e32 v3, s13, v3
	v_ashrrev_i32_e32 v4, 31, v3
	v_lshlrev_b64 v[8:9], 2, v[3:4]
	v_mov_b32_e32 v1, s95
	v_add_co_u32_e32 v8, vcc, s94, v8
	v_addc_co_u32_e32 v9, vcc, v1, v9, vcc
	global_load_dword v1, v[8:9], off
	v_mov_b32_e32 v4, 0
	s_waitcnt vmcnt(0)
	v_cmp_class_f16_e64 s[90:91], v1, s92
	s_mov_b64 vcc, exec
	v_writelane_b32 v12, vcc_lo, 8
	s_and_b64 s[90:91], vcc, s[90:91]
	v_writelane_b32 v12, vcc_hi, 9
	s_mov_b64 exec, s[90:91]
	;; [unrolled: 26-line block ×11, first 2 shown]
; %bb.68:                               ;   in Loop: Header=BB34_5 Depth=1
	v_cmp_class_f16_sdwa s[90:91], v1, s92 src0_sel:WORD_1 src1_sel:DWORD
	v_cndmask_b32_e64 v4, 0, 1, s[90:91]
; %bb.69:                               ;   in Loop: Header=BB34_5 Depth=1
	v_readlane_b32 s90, v12, 44
	v_readlane_b32 s91, v12, 45
	s_or_b64 exec, exec, s[90:91]
.LBB34_70:                              ;   in Loop: Header=BB34_5 Depth=1
	v_readlane_b32 s90, v12, 42
	v_readlane_b32 s91, v12, 43
	s_or_b64 exec, exec, s[90:91]
.LBB34_71:                              ;   in Loop: Header=BB34_5 Depth=1
	v_readlane_b32 s90, v12, 40
	v_readlane_b32 s91, v12, 41
	s_or_b64 exec, exec, s[90:91]
.LBB34_72:                              ;   in Loop: Header=BB34_5 Depth=1
	v_readlane_b32 s90, v12, 38
	v_readlane_b32 s91, v12, 39
	s_or_b64 exec, exec, s[90:91]
.LBB34_73:                              ;   in Loop: Header=BB34_5 Depth=1
	v_readlane_b32 s90, v12, 36
	v_readlane_b32 s91, v12, 37
	s_or_b64 exec, exec, s[90:91]
.LBB34_74:                              ;   in Loop: Header=BB34_5 Depth=1
	v_readlane_b32 s90, v12, 34
	v_readlane_b32 s91, v12, 35
	s_or_b64 exec, exec, s[90:91]
.LBB34_75:                              ;   in Loop: Header=BB34_5 Depth=1
	v_readlane_b32 s90, v12, 32
	v_readlane_b32 s91, v12, 33
	s_or_b64 exec, exec, s[90:91]
.LBB34_76:                              ;   in Loop: Header=BB34_5 Depth=1
	v_readlane_b32 s90, v12, 30
	v_readlane_b32 s91, v12, 31
	s_or_b64 exec, exec, s[90:91]
.LBB34_77:                              ;   in Loop: Header=BB34_5 Depth=1
	v_readlane_b32 s90, v12, 28
	v_readlane_b32 s91, v12, 29
	s_or_b64 exec, exec, s[90:91]
.LBB34_78:                              ;   in Loop: Header=BB34_5 Depth=1
	v_readlane_b32 s90, v12, 26
	v_readlane_b32 s91, v12, 27
	s_or_b64 exec, exec, s[90:91]
.LBB34_79:                              ;   in Loop: Header=BB34_5 Depth=1
	v_readlane_b32 s90, v12, 24
	v_readlane_b32 s91, v12, 25
	s_or_b64 exec, exec, s[90:91]
.LBB34_80:                              ;   in Loop: Header=BB34_5 Depth=1
	v_readlane_b32 s90, v12, 22
	v_readlane_b32 s91, v12, 23
	s_or_b64 exec, exec, s[90:91]
.LBB34_81:                              ;   in Loop: Header=BB34_5 Depth=1
	v_readlane_b32 s90, v12, 20
	v_readlane_b32 s91, v12, 21
	s_or_b64 exec, exec, s[90:91]
.LBB34_82:                              ;   in Loop: Header=BB34_5 Depth=1
	v_readlane_b32 s90, v12, 18
	v_readlane_b32 s91, v12, 19
	s_or_b64 exec, exec, s[90:91]
.LBB34_83:                              ;   in Loop: Header=BB34_5 Depth=1
	v_readlane_b32 s90, v12, 16
	v_readlane_b32 s91, v12, 17
	s_or_b64 exec, exec, s[90:91]
.LBB34_84:                              ;   in Loop: Header=BB34_5 Depth=1
	v_readlane_b32 s90, v12, 14
	v_readlane_b32 s91, v12, 15
	s_or_b64 exec, exec, s[90:91]
.LBB34_85:                              ;   in Loop: Header=BB34_5 Depth=1
	v_readlane_b32 s90, v12, 12
	v_readlane_b32 s91, v12, 13
	s_or_b64 exec, exec, s[90:91]
.LBB34_86:                              ;   in Loop: Header=BB34_5 Depth=1
	v_readlane_b32 s90, v12, 10
	v_readlane_b32 s91, v12, 11
	s_or_b64 exec, exec, s[90:91]
.LBB34_87:                              ;   in Loop: Header=BB34_5 Depth=1
	v_readlane_b32 s90, v12, 8
	v_readlane_b32 s91, v12, 9
	s_or_b64 exec, exec, s[90:91]
.LBB34_88:                              ;   in Loop: Header=BB34_5 Depth=1
	v_readlane_b32 s90, v12, 6
	v_readlane_b32 s91, v12, 7
	s_or_b64 exec, exec, s[90:91]
.LBB34_89:                              ;   in Loop: Header=BB34_5 Depth=1
	v_readlane_b32 s90, v12, 4
	v_readlane_b32 s91, v12, 5
	s_or_b64 exec, exec, s[90:91]
.LBB34_90:                              ;   in Loop: Header=BB34_5 Depth=1
	v_readlane_b32 s90, v12, 2
	v_readlane_b32 s91, v12, 3
	s_or_b64 exec, exec, s[90:91]
.LBB34_91:                              ;   in Loop: Header=BB34_5 Depth=1
	v_readlane_b32 s90, v12, 0
	v_readlane_b32 s91, v12, 1
	s_or_b64 exec, exec, s[90:91]
.LBB34_92:                              ;   in Loop: Header=BB34_5 Depth=1
	s_or_b64 exec, exec, s[88:89]
.LBB34_93:                              ;   in Loop: Header=BB34_5 Depth=1
	s_or_b64 exec, exec, s[86:87]
.LBB34_94:                              ;   in Loop: Header=BB34_5 Depth=1
	s_or_b64 exec, exec, s[84:85]
.LBB34_95:                              ;   in Loop: Header=BB34_5 Depth=1
	s_or_b64 exec, exec, s[82:83]
.LBB34_96:                              ;   in Loop: Header=BB34_5 Depth=1
	s_or_b64 exec, exec, s[80:81]
.LBB34_97:                              ;   in Loop: Header=BB34_5 Depth=1
	s_or_b64 exec, exec, s[78:79]
.LBB34_98:                              ;   in Loop: Header=BB34_5 Depth=1
	s_or_b64 exec, exec, s[76:77]
.LBB34_99:                              ;   in Loop: Header=BB34_5 Depth=1
	s_or_b64 exec, exec, s[74:75]
.LBB34_100:                             ;   in Loop: Header=BB34_5 Depth=1
	s_or_b64 exec, exec, s[72:73]
.LBB34_101:                             ;   in Loop: Header=BB34_5 Depth=1
	s_or_b64 exec, exec, s[70:71]
.LBB34_102:                             ;   in Loop: Header=BB34_5 Depth=1
	s_or_b64 exec, exec, s[68:69]
.LBB34_103:                             ;   in Loop: Header=BB34_5 Depth=1
	s_or_b64 exec, exec, s[66:67]
.LBB34_104:                             ;   in Loop: Header=BB34_5 Depth=1
	s_or_b64 exec, exec, s[64:65]
.LBB34_105:                             ;   in Loop: Header=BB34_5 Depth=1
	s_or_b64 exec, exec, s[62:63]
.LBB34_106:                             ;   in Loop: Header=BB34_5 Depth=1
	s_or_b64 exec, exec, s[60:61]
.LBB34_107:                             ;   in Loop: Header=BB34_5 Depth=1
	s_or_b64 exec, exec, s[58:59]
.LBB34_108:                             ;   in Loop: Header=BB34_5 Depth=1
	s_or_b64 exec, exec, s[56:57]
.LBB34_109:                             ;   in Loop: Header=BB34_5 Depth=1
	s_or_b64 exec, exec, s[54:55]
.LBB34_110:                             ;   in Loop: Header=BB34_5 Depth=1
	s_or_b64 exec, exec, s[52:53]
.LBB34_111:                             ;   in Loop: Header=BB34_5 Depth=1
	s_or_b64 exec, exec, s[50:51]
.LBB34_112:                             ;   in Loop: Header=BB34_5 Depth=1
	s_or_b64 exec, exec, s[48:49]
.LBB34_113:                             ;   in Loop: Header=BB34_5 Depth=1
	s_or_b64 exec, exec, s[46:47]
.LBB34_114:                             ;   in Loop: Header=BB34_5 Depth=1
	s_or_b64 exec, exec, s[44:45]
.LBB34_115:                             ;   in Loop: Header=BB34_5 Depth=1
	s_or_b64 exec, exec, s[42:43]
.LBB34_116:                             ;   in Loop: Header=BB34_5 Depth=1
	s_or_b64 exec, exec, s[40:41]
.LBB34_117:                             ;   in Loop: Header=BB34_5 Depth=1
	s_or_b64 exec, exec, s[38:39]
.LBB34_118:                             ;   in Loop: Header=BB34_5 Depth=1
	s_or_b64 exec, exec, s[36:37]
.LBB34_119:                             ;   in Loop: Header=BB34_5 Depth=1
	s_or_b64 exec, exec, s[34:35]
.LBB34_120:                             ;   in Loop: Header=BB34_5 Depth=1
	s_or_b64 exec, exec, s[30:31]
.LBB34_121:                             ;   in Loop: Header=BB34_5 Depth=1
	s_or_b64 exec, exec, s[28:29]
.LBB34_122:                             ;   in Loop: Header=BB34_5 Depth=1
	s_or_b64 exec, exec, s[26:27]
.LBB34_123:                             ;   in Loop: Header=BB34_5 Depth=1
	s_or_b64 exec, exec, s[24:25]
.LBB34_124:                             ;   in Loop: Header=BB34_5 Depth=1
	s_or_b64 exec, exec, s[22:23]
.LBB34_125:                             ;   in Loop: Header=BB34_5 Depth=1
	s_or_b64 exec, exec, s[20:21]
.LBB34_126:                             ;   in Loop: Header=BB34_5 Depth=1
	s_or_b64 exec, exec, s[18:19]
.LBB34_127:                             ;   in Loop: Header=BB34_5 Depth=1
	s_or_b64 exec, exec, s[16:17]
.LBB34_128:                             ;   in Loop: Header=BB34_5 Depth=1
	s_or_b64 exec, exec, s[14:15]
.LBB34_129:                             ;   in Loop: Header=BB34_5 Depth=1
	s_or_b64 exec, exec, s[8:9]
.LBB34_130:                             ;   in Loop: Header=BB34_5 Depth=1
	s_or_b64 exec, exec, s[2:3]
	v_and_b32_e32 v1, 0x60, v7
	v_add_u32_e32 v9, 32, v1
	v_xor_b32_e32 v1, 16, v7
	v_cmp_lt_i32_e32 vcc, v1, v9
	v_cndmask_b32_e32 v1, v7, v1, vcc
	v_lshlrev_b32_e32 v1, 2, v1
	ds_bpermute_b32 v3, v1, v4
	v_cmp_ne_u32_e32 vcc, 0, v4
	v_xor_b32_e32 v11, 1, v7
	s_waitcnt lgkmcnt(0)
	v_cmp_ne_u32_e64 s[2:3], 0, v3
	v_xor_b32_e32 v3, 8, v7
	s_and_b64 s[2:3], vcc, s[2:3]
	v_cmp_lt_i32_e32 vcc, v3, v9
	v_cndmask_b32_e32 v3, v7, v3, vcc
	v_cndmask_b32_e64 v4, 0, 1, s[2:3]
	v_lshlrev_b32_e32 v3, 2, v3
	ds_bpermute_b32 v4, v3, v4
	s_waitcnt lgkmcnt(0)
	v_cmp_ne_u32_e32 vcc, 0, v4
	v_xor_b32_e32 v4, 4, v7
	s_and_b64 s[2:3], vcc, s[2:3]
	v_cmp_lt_i32_e32 vcc, v4, v9
	v_cndmask_b32_e32 v4, v7, v4, vcc
	v_cndmask_b32_e64 v8, 0, 1, s[2:3]
	v_lshlrev_b32_e32 v4, 2, v4
	ds_bpermute_b32 v8, v4, v8
	s_waitcnt lgkmcnt(0)
	v_cmp_ne_u32_e32 vcc, 0, v8
	;; [unrolled: 9-line block ×3, first 2 shown]
	s_and_b64 s[2:3], vcc, s[2:3]
	v_cmp_lt_i32_e32 vcc, v11, v9
	v_cndmask_b32_e32 v9, v7, v11, vcc
	v_cndmask_b32_e64 v10, 0, 1, s[2:3]
	v_lshlrev_b32_e32 v9, 2, v9
	ds_bpermute_b32 v10, v9, v10
	s_and_saveexec_b64 s[8:9], s[0:1]
	s_cbranch_execz .LBB34_3
; %bb.131:                              ;   in Loop: Header=BB34_5 Depth=1
	s_waitcnt lgkmcnt(0)
	v_cmp_ne_u32_e32 vcc, 0, v10
	s_and_b64 s[2:3], vcc, s[2:3]
	v_cndmask_b32_e64 v10, 0, 1, s[2:3]
	ds_write_b32 v5, v10
	s_branch .LBB34_3
.LBB34_132:
	s_or_b64 exec, exec, s[4:5]
	v_cmp_eq_u32_e32 vcc, 0, v0
	s_and_saveexec_b64 s[0:1], vcc
	s_cbranch_execz .LBB34_134
; %bb.133:
	s_mul_i32 s0, s33, s7
	s_add_i32 s0, s0, s6
	s_ashr_i32 s1, s0, 31
	s_lshl_b64 s[0:1], s[0:1], 2
	s_add_u32 s0, s10, s0
	s_addc_u32 s1, s11, s1
	v_mov_b32_e32 v0, 0
	global_store_dword v0, v1, s[0:1]
.LBB34_134:
	s_endpgm
	.section	.rodata,"a",@progbits
	.p2align	6, 0x0
	.amdhsa_kernel _ZL25flash_attn_mask_to_KV_maxILi32EEvPK7__half2Piiii
		.amdhsa_group_segment_fixed_size 128
		.amdhsa_private_segment_fixed_size 0
		.amdhsa_kernarg_size 288
		.amdhsa_user_sgpr_count 6
		.amdhsa_user_sgpr_private_segment_buffer 1
		.amdhsa_user_sgpr_dispatch_ptr 0
		.amdhsa_user_sgpr_queue_ptr 0
		.amdhsa_user_sgpr_kernarg_segment_ptr 1
		.amdhsa_user_sgpr_dispatch_id 0
		.amdhsa_user_sgpr_flat_scratch_init 0
		.amdhsa_user_sgpr_private_segment_size 0
		.amdhsa_uses_dynamic_stack 0
		.amdhsa_system_sgpr_private_segment_wavefront_offset 0
		.amdhsa_system_sgpr_workgroup_id_x 1
		.amdhsa_system_sgpr_workgroup_id_y 1
		.amdhsa_system_sgpr_workgroup_id_z 0
		.amdhsa_system_sgpr_workgroup_info 0
		.amdhsa_system_vgpr_workitem_id 0
		.amdhsa_next_free_vgpr 13
		.amdhsa_next_free_sgpr 96
		.amdhsa_reserve_vcc 1
		.amdhsa_reserve_flat_scratch 0
		.amdhsa_float_round_mode_32 0
		.amdhsa_float_round_mode_16_64 0
		.amdhsa_float_denorm_mode_32 3
		.amdhsa_float_denorm_mode_16_64 3
		.amdhsa_dx10_clamp 1
		.amdhsa_ieee_mode 1
		.amdhsa_fp16_overflow 0
		.amdhsa_exception_fp_ieee_invalid_op 0
		.amdhsa_exception_fp_denorm_src 0
		.amdhsa_exception_fp_ieee_div_zero 0
		.amdhsa_exception_fp_ieee_overflow 0
		.amdhsa_exception_fp_ieee_underflow 0
		.amdhsa_exception_fp_ieee_inexact 0
		.amdhsa_exception_int_div_zero 0
	.end_amdhsa_kernel
	.section	.text._ZL25flash_attn_mask_to_KV_maxILi32EEvPK7__half2Piiii,"axG",@progbits,_ZL25flash_attn_mask_to_KV_maxILi32EEvPK7__half2Piiii,comdat
.Lfunc_end34:
	.size	_ZL25flash_attn_mask_to_KV_maxILi32EEvPK7__half2Piiii, .Lfunc_end34-_ZL25flash_attn_mask_to_KV_maxILi32EEvPK7__half2Piiii
                                        ; -- End function
	.set _ZL25flash_attn_mask_to_KV_maxILi32EEvPK7__half2Piiii.num_vgpr, 13
	.set _ZL25flash_attn_mask_to_KV_maxILi32EEvPK7__half2Piiii.num_agpr, 0
	.set _ZL25flash_attn_mask_to_KV_maxILi32EEvPK7__half2Piiii.numbered_sgpr, 96
	.set _ZL25flash_attn_mask_to_KV_maxILi32EEvPK7__half2Piiii.num_named_barrier, 0
	.set _ZL25flash_attn_mask_to_KV_maxILi32EEvPK7__half2Piiii.private_seg_size, 0
	.set _ZL25flash_attn_mask_to_KV_maxILi32EEvPK7__half2Piiii.uses_vcc, 1
	.set _ZL25flash_attn_mask_to_KV_maxILi32EEvPK7__half2Piiii.uses_flat_scratch, 0
	.set _ZL25flash_attn_mask_to_KV_maxILi32EEvPK7__half2Piiii.has_dyn_sized_stack, 0
	.set _ZL25flash_attn_mask_to_KV_maxILi32EEvPK7__half2Piiii.has_recursion, 0
	.set _ZL25flash_attn_mask_to_KV_maxILi32EEvPK7__half2Piiii.has_indirect_call, 0
	.section	.AMDGPU.csdata,"",@progbits
; Kernel info:
; codeLenInByte = 4392
; TotalNumSgprs: 100
; NumVgprs: 13
; ScratchSize: 0
; MemoryBound: 0
; FloatMode: 240
; IeeeMode: 1
; LDSByteSize: 128 bytes/workgroup (compile time only)
; SGPRBlocks: 12
; VGPRBlocks: 3
; NumSGPRsForWavesPerEU: 100
; NumVGPRsForWavesPerEU: 13
; Occupancy: 8
; WaveLimiterHint : 0
; COMPUTE_PGM_RSRC2:SCRATCH_EN: 0
; COMPUTE_PGM_RSRC2:USER_SGPR: 6
; COMPUTE_PGM_RSRC2:TRAP_HANDLER: 0
; COMPUTE_PGM_RSRC2:TGID_X_EN: 1
; COMPUTE_PGM_RSRC2:TGID_Y_EN: 1
; COMPUTE_PGM_RSRC2:TGID_Z_EN: 0
; COMPUTE_PGM_RSRC2:TIDIG_COMP_CNT: 0
	.section	.text._ZL33flash_attn_stream_k_fixup_uniformILi112ELi32ELi2EEvPfPK15HIP_vector_typeIfLj2EEiiiiiiS1_IjLj3EES5_S5_,"axG",@progbits,_ZL33flash_attn_stream_k_fixup_uniformILi112ELi32ELi2EEvPfPK15HIP_vector_typeIfLj2EEiiiiiiS1_IjLj3EES5_S5_,comdat
	.globl	_ZL33flash_attn_stream_k_fixup_uniformILi112ELi32ELi2EEvPfPK15HIP_vector_typeIfLj2EEiiiiiiS1_IjLj3EES5_S5_ ; -- Begin function _ZL33flash_attn_stream_k_fixup_uniformILi112ELi32ELi2EEvPfPK15HIP_vector_typeIfLj2EEiiiiiiS1_IjLj3EES5_S5_
	.p2align	8
	.type	_ZL33flash_attn_stream_k_fixup_uniformILi112ELi32ELi2EEvPfPK15HIP_vector_typeIfLj2EEiiiiiiS1_IjLj3EES5_S5_,@function
_ZL33flash_attn_stream_k_fixup_uniformILi112ELi32ELi2EEvPfPK15HIP_vector_typeIfLj2EEiiiiiiS1_IjLj3EES5_S5_: ; @_ZL33flash_attn_stream_k_fixup_uniformILi112ELi32ELi2EEvPfPK15HIP_vector_typeIfLj2EEiiiiiiS1_IjLj3EES5_S5_
; %bb.0:
	s_load_dwordx8 s[12:19], s[4:5], 0x1c
	s_load_dwordx2 s[10:11], s[4:5], 0x10
	s_load_dwordx4 s[0:3], s[4:5], 0x3c
	s_waitcnt lgkmcnt(0)
	s_mul_hi_u32 s9, s15, s6
	s_add_i32 s9, s6, s9
	s_lshr_b32 s9, s9, s16
	s_mul_i32 s15, s9, s17
	s_sub_i32 s16, s6, s15
	s_mul_hi_u32 s15, s16, s18
	s_add_i32 s15, s16, s15
	s_lshr_b32 s15, s15, s19
	s_mul_i32 s0, s15, s0
	s_sub_i32 s0, s16, s0
	;; [unrolled: 5-line block ×3, first 2 shown]
	s_lshl_b32 s0, s16, 5
	s_lshl_b32 s17, s1, 1
	s_add_i32 s0, s0, s7
	s_cmp_lt_i32 s0, s10
	s_cselect_b64 s[0:1], -1, 0
	s_add_i32 s17, s17, s8
	s_cmp_lt_i32 s17, s13
	s_cselect_b64 s[2:3], -1, 0
	s_and_b64 s[0:1], s[0:1], s[2:3]
	s_andn2_b64 vcc, exec, s[0:1]
	s_cbranch_vccnz .LBB35_6
; %bb.1:
	s_load_dwordx4 s[0:3], s[4:5], 0x0
	s_mul_i32 s4, s9, s10
	s_mul_i32 s15, s15, s13
	s_add_i32 s4, s4, s7
	s_mul_i32 s4, s4, s11
	s_add_i32 s9, s17, s15
	;; [unrolled: 2-line block ×3, first 2 shown]
	s_mulk_i32 s5, 0xe00
	s_mulk_i32 s4, 0x70
	s_add_i32 s4, s4, s5
	v_add_u32_e32 v1, s4, v0
	v_ashrrev_i32_e32 v2, 31, v1
	v_lshlrev_b64 v[1:2], 2, v[1:2]
	s_waitcnt lgkmcnt(0)
	v_mov_b32_e32 v3, s1
	v_add_co_u32_e32 v1, vcc, s0, v1
	v_addc_co_u32_e32 v2, vcc, v3, v2, vcc
	global_load_dword v8, v[1:2], off
	s_mul_i32 s9, s14, s6
	s_lshl_b32 s4, s7, 1
	s_add_i32 s11, s9, s14
	s_add_i32 s0, s4, s8
	s_lshl_b32 s1, s11, 6
	s_add_i32 s0, s0, s1
	s_sub_i32 s0, s0, 64
	s_ashr_i32 s1, s0, 31
	s_lshl_b64 s[0:1], s[0:1], 3
	s_add_u32 s0, s2, s0
	s_addc_u32 s1, s3, s1
	s_load_dword s5, s[0:1], 0x4
	s_add_i32 s10, s11, -2
	s_cmp_lt_i32 s10, s9
	s_cbranch_scc1 .LBB35_4
; %bb.2:
	s_lshl_b32 s16, s12, 8
	s_ashr_i32 s17, s16, 31
	s_lshl_b64 s[16:17], s[16:17], 2
	s_add_u32 s10, s2, s16
	s_addc_u32 s13, s3, s17
	s_add_i32 s6, s6, 1
	s_load_dword s0, s[0:1], 0x0
	s_mul_i32 s1, s14, s6
	s_lshl_b32 s6, s1, 6
	s_add_i32 s6, s8, s6
	s_lshl_b32 s12, s12, 6
	s_add_i32 s6, s6, s12
	s_add_i32 s4, s6, s4
	s_mulk_i32 s7, 0xe0
	s_mul_i32 s6, s8, 0x70
	s_mulk_i32 s1, 0x1c00
	s_add_i32 s6, s6, s7
	s_add_i32 s6, s6, s1
	v_add_u32_e32 v0, s6, v0
	s_add_i32 s11, s11, -1
	s_addk_i32 s4, 0xff80
	v_add_u32_e32 v3, 0xffffc800, v0
	s_waitcnt lgkmcnt(0)
	v_mov_b32_e32 v7, s5
	v_mov_b32_e32 v6, s0
	;; [unrolled: 1-line block ×3, first 2 shown]
	s_mov_b32 s6, 0x3fb8aa3b
	s_mov_b32 s7, 0xc2ce8ed0
	;; [unrolled: 1-line block ×3, first 2 shown]
	v_mov_b32_e32 v5, 0x7f800000
	s_mov_b32 s12, 0xc1a00000
.LBB35_3:                               ; =>This Inner Loop Header: Depth=1
	v_ashrrev_i32_e32 v4, 31, v3
	v_lshlrev_b64 v[9:10], 2, v[3:4]
	s_ashr_i32 s5, s4, 31
	v_add_co_u32_e32 v9, vcc, s10, v9
	v_addc_co_u32_e32 v10, vcc, v0, v10, vcc
	global_load_dword v4, v[9:10], off
	s_lshl_b64 s[0:1], s[4:5], 3
	s_add_u32 s0, s2, s0
	s_addc_u32 s1, s3, s1
	s_load_dwordx2 s[14:15], s[0:1], 0x0
	s_waitcnt vmcnt(1)
	v_mov_b32_e32 v9, v8
	v_max_f32_e32 v8, v6, v6
	v_mov_b32_e32 v10, v7
	s_add_i32 s11, s11, -1
	s_waitcnt lgkmcnt(0)
	v_max_f32_e64 v7, s14, s14
	v_max_f32_e32 v7, v8, v7
	v_sub_f32_e32 v11, s14, v7
	v_sub_f32_e32 v8, v6, v7
	v_mul_f32_e32 v12, 0x3fb8aa3b, v11
	v_mov_b32_e32 v6, v7
	v_mul_f32_e32 v7, 0x3fb8aa3b, v8
	v_fma_f32 v15, v11, s6, -v12
	v_rndne_f32_e32 v16, v12
	v_fma_f32 v13, v8, s6, -v7
	v_rndne_f32_e32 v14, v7
	v_fmac_f32_e32 v15, 0x32a5705f, v11
	v_sub_f32_e32 v12, v12, v16
	v_fmac_f32_e32 v13, 0x32a5705f, v8
	v_sub_f32_e32 v7, v7, v14
	v_add_f32_e32 v12, v12, v15
	v_cvt_i32_f32_e32 v16, v16
	v_add_f32_e32 v7, v7, v13
	v_exp_f32_e32 v12, v12
	v_cvt_i32_f32_e32 v14, v14
	v_exp_f32_e32 v7, v7
	v_cmp_ngt_f32_e32 vcc, s7, v11
	v_ldexp_f32 v12, v12, v16
	v_cmp_ngt_f32_e64 s[0:1], s7, v8
	v_ldexp_f32 v7, v7, v14
	v_cndmask_b32_e32 v12, 0, v12, vcc
	v_cmp_nlt_f32_e32 vcc, s8, v11
	v_cndmask_b32_e64 v7, 0, v7, s[0:1]
	v_cmp_nlt_f32_e64 s[0:1], s8, v8
	v_cndmask_b32_e32 v12, v5, v12, vcc
	v_cmp_le_f32_e32 vcc, s12, v11
	v_cndmask_b32_e64 v7, v5, v7, s[0:1]
	v_cmp_le_f32_e64 s[0:1], s12, v8
	v_cndmask_b32_e32 v8, 0, v12, vcc
	s_sub_i32 s4, s4, 64
	v_cndmask_b32_e64 v11, 0, v7, s[0:1]
	v_mul_f32_e32 v7, s15, v8
	v_add_u32_e32 v3, 0xffffe400, v3
	s_cmp_le_i32 s11, s9
	v_fmac_f32_e32 v7, v10, v11
	s_waitcnt vmcnt(0)
	v_mul_f32_e32 v8, v4, v8
	v_fmac_f32_e32 v8, v9, v11
	s_cbranch_scc0 .LBB35_3
	s_branch .LBB35_5
.LBB35_4:
	s_waitcnt lgkmcnt(0)
	v_mov_b32_e32 v7, s5
.LBB35_5:
	s_waitcnt vmcnt(0)
	v_div_scale_f32 v0, s[0:1], v7, v7, v8
	v_div_scale_f32 v3, vcc, v8, v7, v8
	v_rcp_f32_e32 v4, v0
	v_fma_f32 v5, -v0, v4, 1.0
	v_fmac_f32_e32 v4, v5, v4
	v_mul_f32_e32 v5, v3, v4
	v_fma_f32 v6, -v0, v5, v3
	v_fmac_f32_e32 v5, v6, v4
	v_fma_f32 v0, -v0, v5, v3
	v_div_fmas_f32 v0, v0, v4, v5
	v_div_fixup_f32 v0, v0, v7, v8
	global_store_dword v[1:2], v0, off
.LBB35_6:
	s_endpgm
	.section	.rodata,"a",@progbits
	.p2align	6, 0x0
	.amdhsa_kernel _ZL33flash_attn_stream_k_fixup_uniformILi112ELi32ELi2EEvPfPK15HIP_vector_typeIfLj2EEiiiiiiS1_IjLj3EES5_S5_
		.amdhsa_group_segment_fixed_size 0
		.amdhsa_private_segment_fixed_size 0
		.amdhsa_kernarg_size 76
		.amdhsa_user_sgpr_count 6
		.amdhsa_user_sgpr_private_segment_buffer 1
		.amdhsa_user_sgpr_dispatch_ptr 0
		.amdhsa_user_sgpr_queue_ptr 0
		.amdhsa_user_sgpr_kernarg_segment_ptr 1
		.amdhsa_user_sgpr_dispatch_id 0
		.amdhsa_user_sgpr_flat_scratch_init 0
		.amdhsa_user_sgpr_private_segment_size 0
		.amdhsa_uses_dynamic_stack 0
		.amdhsa_system_sgpr_private_segment_wavefront_offset 0
		.amdhsa_system_sgpr_workgroup_id_x 1
		.amdhsa_system_sgpr_workgroup_id_y 1
		.amdhsa_system_sgpr_workgroup_id_z 1
		.amdhsa_system_sgpr_workgroup_info 0
		.amdhsa_system_vgpr_workitem_id 0
		.amdhsa_next_free_vgpr 17
		.amdhsa_next_free_sgpr 20
		.amdhsa_reserve_vcc 1
		.amdhsa_reserve_flat_scratch 0
		.amdhsa_float_round_mode_32 0
		.amdhsa_float_round_mode_16_64 0
		.amdhsa_float_denorm_mode_32 3
		.amdhsa_float_denorm_mode_16_64 3
		.amdhsa_dx10_clamp 1
		.amdhsa_ieee_mode 1
		.amdhsa_fp16_overflow 0
		.amdhsa_exception_fp_ieee_invalid_op 0
		.amdhsa_exception_fp_denorm_src 0
		.amdhsa_exception_fp_ieee_div_zero 0
		.amdhsa_exception_fp_ieee_overflow 0
		.amdhsa_exception_fp_ieee_underflow 0
		.amdhsa_exception_fp_ieee_inexact 0
		.amdhsa_exception_int_div_zero 0
	.end_amdhsa_kernel
	.section	.text._ZL33flash_attn_stream_k_fixup_uniformILi112ELi32ELi2EEvPfPK15HIP_vector_typeIfLj2EEiiiiiiS1_IjLj3EES5_S5_,"axG",@progbits,_ZL33flash_attn_stream_k_fixup_uniformILi112ELi32ELi2EEvPfPK15HIP_vector_typeIfLj2EEiiiiiiS1_IjLj3EES5_S5_,comdat
.Lfunc_end35:
	.size	_ZL33flash_attn_stream_k_fixup_uniformILi112ELi32ELi2EEvPfPK15HIP_vector_typeIfLj2EEiiiiiiS1_IjLj3EES5_S5_, .Lfunc_end35-_ZL33flash_attn_stream_k_fixup_uniformILi112ELi32ELi2EEvPfPK15HIP_vector_typeIfLj2EEiiiiiiS1_IjLj3EES5_S5_
                                        ; -- End function
	.set _ZL33flash_attn_stream_k_fixup_uniformILi112ELi32ELi2EEvPfPK15HIP_vector_typeIfLj2EEiiiiiiS1_IjLj3EES5_S5_.num_vgpr, 17
	.set _ZL33flash_attn_stream_k_fixup_uniformILi112ELi32ELi2EEvPfPK15HIP_vector_typeIfLj2EEiiiiiiS1_IjLj3EES5_S5_.num_agpr, 0
	.set _ZL33flash_attn_stream_k_fixup_uniformILi112ELi32ELi2EEvPfPK15HIP_vector_typeIfLj2EEiiiiiiS1_IjLj3EES5_S5_.numbered_sgpr, 20
	.set _ZL33flash_attn_stream_k_fixup_uniformILi112ELi32ELi2EEvPfPK15HIP_vector_typeIfLj2EEiiiiiiS1_IjLj3EES5_S5_.num_named_barrier, 0
	.set _ZL33flash_attn_stream_k_fixup_uniformILi112ELi32ELi2EEvPfPK15HIP_vector_typeIfLj2EEiiiiiiS1_IjLj3EES5_S5_.private_seg_size, 0
	.set _ZL33flash_attn_stream_k_fixup_uniformILi112ELi32ELi2EEvPfPK15HIP_vector_typeIfLj2EEiiiiiiS1_IjLj3EES5_S5_.uses_vcc, 1
	.set _ZL33flash_attn_stream_k_fixup_uniformILi112ELi32ELi2EEvPfPK15HIP_vector_typeIfLj2EEiiiiiiS1_IjLj3EES5_S5_.uses_flat_scratch, 0
	.set _ZL33flash_attn_stream_k_fixup_uniformILi112ELi32ELi2EEvPfPK15HIP_vector_typeIfLj2EEiiiiiiS1_IjLj3EES5_S5_.has_dyn_sized_stack, 0
	.set _ZL33flash_attn_stream_k_fixup_uniformILi112ELi32ELi2EEvPfPK15HIP_vector_typeIfLj2EEiiiiiiS1_IjLj3EES5_S5_.has_recursion, 0
	.set _ZL33flash_attn_stream_k_fixup_uniformILi112ELi32ELi2EEvPfPK15HIP_vector_typeIfLj2EEiiiiiiS1_IjLj3EES5_S5_.has_indirect_call, 0
	.section	.AMDGPU.csdata,"",@progbits
; Kernel info:
; codeLenInByte = 856
; TotalNumSgprs: 24
; NumVgprs: 17
; ScratchSize: 0
; MemoryBound: 0
; FloatMode: 240
; IeeeMode: 1
; LDSByteSize: 0 bytes/workgroup (compile time only)
; SGPRBlocks: 2
; VGPRBlocks: 4
; NumSGPRsForWavesPerEU: 24
; NumVGPRsForWavesPerEU: 17
; Occupancy: 10
; WaveLimiterHint : 0
; COMPUTE_PGM_RSRC2:SCRATCH_EN: 0
; COMPUTE_PGM_RSRC2:USER_SGPR: 6
; COMPUTE_PGM_RSRC2:TRAP_HANDLER: 0
; COMPUTE_PGM_RSRC2:TGID_X_EN: 1
; COMPUTE_PGM_RSRC2:TGID_Y_EN: 1
; COMPUTE_PGM_RSRC2:TGID_Z_EN: 1
; COMPUTE_PGM_RSRC2:TIDIG_COMP_CNT: 0
	.section	.text._ZL33flash_attn_stream_k_fixup_generalILi112ELi32ELi2EEvPfPK15HIP_vector_typeIfLj2EEiiiiS1_IjLj3EES5_S5_S5_,"axG",@progbits,_ZL33flash_attn_stream_k_fixup_generalILi112ELi32ELi2EEvPfPK15HIP_vector_typeIfLj2EEiiiiS1_IjLj3EES5_S5_S5_,comdat
	.globl	_ZL33flash_attn_stream_k_fixup_generalILi112ELi32ELi2EEvPfPK15HIP_vector_typeIfLj2EEiiiiS1_IjLj3EES5_S5_S5_ ; -- Begin function _ZL33flash_attn_stream_k_fixup_generalILi112ELi32ELi2EEvPfPK15HIP_vector_typeIfLj2EEiiiiS1_IjLj3EES5_S5_S5_
	.p2align	8
	.type	_ZL33flash_attn_stream_k_fixup_generalILi112ELi32ELi2EEvPfPK15HIP_vector_typeIfLj2EEiiiiS1_IjLj3EES5_S5_S5_,@function
_ZL33flash_attn_stream_k_fixup_generalILi112ELi32ELi2EEvPfPK15HIP_vector_typeIfLj2EEiiiiS1_IjLj3EES5_S5_S5_: ; @_ZL33flash_attn_stream_k_fixup_generalILi112ELi32ELi2EEvPfPK15HIP_vector_typeIfLj2EEiiiiS1_IjLj3EES5_S5_S5_
; %bb.0:
	s_load_dwordx4 s[0:3], s[4:5], 0x10
	s_load_dword s22, s[4:5], 0x50
	s_mov_b32 s12, 0
	s_waitcnt lgkmcnt(0)
	s_mul_hi_i32 s13, s3, s6
	s_cmp_lg_u64 s[12:13], 0
	s_mul_i32 s9, s3, s6
	s_cbranch_scc0 .LBB36_20
; %bb.1:
	s_add_u32 s10, s22, 0
	s_addc_u32 s11, 0, 0
	s_xor_b64 s[10:11], s[10:11], 0
	v_cvt_f32_u32_e32 v1, s10
	v_cvt_f32_u32_e32 v2, s11
	s_sub_u32 s12, 0, s10
	s_subb_u32 s18, 0, s11
	v_madmk_f32 v1, v2, 0x4f800000, v1
	v_rcp_f32_e32 v1, v1
	v_mul_f32_e32 v1, 0x5f7ffffc, v1
	v_mul_f32_e32 v2, 0x2f800000, v1
	v_trunc_f32_e32 v2, v2
	v_madmk_f32 v1, v2, 0xcf800000, v1
	v_cvt_u32_f32_e32 v2, v2
	v_cvt_u32_f32_e32 v1, v1
	v_readfirstlane_b32 s19, v2
	v_readfirstlane_b32 s14, v1
	s_mul_i32 s15, s12, s19
	s_mul_hi_u32 s21, s12, s14
	s_mul_i32 s20, s18, s14
	s_add_i32 s15, s21, s15
	s_add_i32 s15, s15, s20
	s_mul_i32 s23, s12, s14
	s_mul_i32 s21, s14, s15
	s_mul_hi_u32 s24, s14, s23
	s_mul_hi_u32 s20, s14, s15
	s_add_u32 s21, s24, s21
	s_addc_u32 s20, 0, s20
	s_mul_hi_u32 s25, s19, s23
	s_mul_i32 s23, s19, s23
	s_add_u32 s21, s21, s23
	s_mul_hi_u32 s24, s19, s15
	s_addc_u32 s20, s20, s25
	s_addc_u32 s21, s24, 0
	s_mul_i32 s15, s19, s15
	s_add_u32 s15, s20, s15
	s_addc_u32 s20, 0, s21
	s_add_u32 s21, s14, s15
	s_cselect_b64 s[14:15], -1, 0
	s_cmp_lg_u64 s[14:15], 0
	s_addc_u32 s19, s19, s20
	s_mul_i32 s14, s12, s19
	s_mul_hi_u32 s15, s12, s21
	s_add_i32 s14, s15, s14
	s_mul_i32 s18, s18, s21
	s_add_i32 s14, s14, s18
	s_mul_i32 s12, s12, s21
	s_mul_hi_u32 s18, s19, s12
	s_mul_i32 s20, s19, s12
	s_mul_i32 s24, s21, s14
	s_mul_hi_u32 s12, s21, s12
	s_mul_hi_u32 s23, s21, s14
	s_add_u32 s12, s12, s24
	s_addc_u32 s23, 0, s23
	s_add_u32 s12, s12, s20
	s_mul_hi_u32 s15, s19, s14
	s_addc_u32 s12, s23, s18
	s_addc_u32 s15, s15, 0
	s_mul_i32 s14, s19, s14
	s_add_u32 s12, s12, s14
	s_addc_u32 s18, 0, s15
	s_add_u32 s20, s21, s12
	s_cselect_b64 s[14:15], -1, 0
	s_cmp_lg_u64 s[14:15], 0
	s_addc_u32 s18, s19, s18
	s_ashr_i32 s14, s13, 31
	s_add_u32 s12, s9, s14
	s_mov_b32 s15, s14
	s_addc_u32 s13, s13, s14
	s_xor_b64 s[12:13], s[12:13], s[14:15]
	s_mul_i32 s21, s12, s18
	s_mul_hi_u32 s23, s12, s20
	s_mul_hi_u32 s19, s12, s18
	s_add_u32 s21, s23, s21
	s_addc_u32 s19, 0, s19
	s_mul_hi_u32 s24, s13, s20
	s_mul_i32 s20, s13, s20
	s_add_u32 s20, s21, s20
	s_mul_hi_u32 s23, s13, s18
	s_addc_u32 s19, s19, s24
	s_addc_u32 s20, s23, 0
	s_mul_i32 s18, s13, s18
	s_add_u32 s23, s19, s18
	s_addc_u32 s24, 0, s20
	s_mul_i32 s18, s10, s24
	s_mul_hi_u32 s19, s10, s23
	s_add_i32 s18, s19, s18
	s_mul_i32 s19, s11, s23
	s_add_i32 s25, s18, s19
	s_sub_i32 s20, s13, s25
	s_mul_i32 s18, s10, s23
	s_sub_u32 s12, s12, s18
	s_cselect_b64 s[18:19], -1, 0
	s_cmp_lg_u64 s[18:19], 0
	s_subb_u32 s26, s20, s11
	s_sub_u32 s27, s12, s10
	s_cselect_b64 s[20:21], -1, 0
	s_cmp_lg_u64 s[20:21], 0
	s_subb_u32 s20, s26, 0
	s_cmp_ge_u32 s20, s11
	s_cselect_b32 s21, -1, 0
	s_cmp_ge_u32 s27, s10
	s_cselect_b32 s26, -1, 0
	s_cmp_eq_u32 s20, s11
	s_cselect_b32 s20, s26, s21
	s_add_u32 s21, s23, 1
	s_addc_u32 s26, s24, 0
	s_add_u32 s27, s23, 2
	s_addc_u32 s28, s24, 0
	s_cmp_lg_u32 s20, 0
	s_cselect_b32 s20, s27, s21
	s_cselect_b32 s21, s28, s26
	s_cmp_lg_u64 s[18:19], 0
	s_subb_u32 s13, s13, s25
	s_cmp_ge_u32 s13, s11
	s_cselect_b32 s18, -1, 0
	s_cmp_ge_u32 s12, s10
	s_cselect_b32 s10, -1, 0
	s_cmp_eq_u32 s13, s11
	s_cselect_b32 s10, s10, s18
	s_cmp_lg_u32 s10, 0
	s_cselect_b32 s11, s21, s24
	s_cselect_b32 s10, s20, s23
	s_xor_b64 s[12:13], s[14:15], 0
	s_xor_b64 s[10:11], s[10:11], s[12:13]
	s_sub_u32 s10, s10, s12
	s_load_dwordx4 s[12:15], s[4:5], 0x44
	s_cbranch_execnz .LBB36_3
.LBB36_2:
	v_cvt_f32_u32_e32 v1, s22
	s_sub_i32 s10, 0, s22
	v_rcp_iflag_f32_e32 v1, v1
	v_mul_f32_e32 v1, 0x4f7ffffe, v1
	v_cvt_u32_f32_e32 v1, v1
	v_readfirstlane_b32 s11, v1
	s_mul_i32 s10, s10, s11
	s_mul_hi_u32 s10, s11, s10
	s_add_i32 s11, s11, s10
	s_mul_hi_u32 s10, s9, s11
	s_waitcnt lgkmcnt(0)
	s_mul_i32 s15, s10, s22
	s_sub_i32 s9, s9, s15
	s_add_i32 s11, s10, 1
	s_sub_i32 s15, s9, s22
	s_cmp_ge_u32 s9, s22
	s_cselect_b32 s10, s11, s10
	s_cselect_b32 s9, s15, s9
	s_add_i32 s11, s10, 1
	s_cmp_ge_u32 s9, s22
	s_cselect_b32 s10, s11, s10
.LBB36_3:
	s_add_i32 s9, s6, 1
	s_mul_hi_i32 s21, s3, s9
	s_mov_b32 s20, 0
	s_cmp_lg_u64 s[20:21], 0
	s_mul_i32 s9, s3, s9
	s_cbranch_scc0 .LBB36_21
; %bb.4:
	s_add_u32 s16, s22, 0
	s_addc_u32 s17, 0, 0
	s_xor_b64 s[18:19], s[16:17], 0
	v_cvt_f32_u32_e32 v1, s18
	v_cvt_f32_u32_e32 v2, s19
	s_sub_u32 s11, 0, s18
	s_waitcnt lgkmcnt(0)
	s_subb_u32 s15, 0, s19
	v_madmk_f32 v1, v2, 0x4f800000, v1
	v_rcp_f32_e32 v1, v1
	v_mul_f32_e32 v1, 0x5f7ffffc, v1
	v_mul_f32_e32 v2, 0x2f800000, v1
	v_trunc_f32_e32 v2, v2
	v_madmk_f32 v1, v2, 0xcf800000, v1
	v_cvt_u32_f32_e32 v2, v2
	v_cvt_u32_f32_e32 v1, v1
	v_readfirstlane_b32 s20, v2
	v_readfirstlane_b32 s23, v1
	s_mul_i32 s24, s11, s20
	s_mul_hi_u32 s26, s11, s23
	s_mul_i32 s25, s15, s23
	s_add_i32 s24, s26, s24
	s_add_i32 s24, s24, s25
	s_mul_i32 s27, s11, s23
	s_mul_i32 s26, s23, s24
	s_mul_hi_u32 s28, s23, s27
	s_mul_hi_u32 s25, s23, s24
	s_add_u32 s26, s28, s26
	s_addc_u32 s25, 0, s25
	s_mul_hi_u32 s29, s20, s27
	s_mul_i32 s27, s20, s27
	s_add_u32 s26, s26, s27
	s_mul_hi_u32 s28, s20, s24
	s_addc_u32 s25, s25, s29
	s_addc_u32 s26, s28, 0
	s_mul_i32 s24, s20, s24
	s_add_u32 s24, s25, s24
	s_addc_u32 s26, 0, s26
	s_add_u32 s23, s23, s24
	s_cselect_b64 s[24:25], -1, 0
	s_cmp_lg_u64 s[24:25], 0
	s_addc_u32 s20, s20, s26
	s_mul_i32 s24, s11, s20
	s_mul_hi_u32 s25, s11, s23
	s_add_i32 s24, s25, s24
	s_mul_i32 s15, s15, s23
	s_add_i32 s24, s24, s15
	s_mul_i32 s11, s11, s23
	s_mul_hi_u32 s25, s20, s11
	s_mul_i32 s26, s20, s11
	s_mul_i32 s28, s23, s24
	s_mul_hi_u32 s11, s23, s11
	s_mul_hi_u32 s27, s23, s24
	s_add_u32 s11, s11, s28
	s_addc_u32 s27, 0, s27
	s_add_u32 s11, s11, s26
	s_mul_hi_u32 s15, s20, s24
	s_addc_u32 s11, s27, s25
	s_addc_u32 s15, s15, 0
	s_mul_i32 s24, s20, s24
	s_add_u32 s11, s11, s24
	s_addc_u32 s15, 0, s15
	s_add_u32 s11, s23, s11
	s_cselect_b64 s[24:25], -1, 0
	s_cmp_lg_u64 s[24:25], 0
	s_addc_u32 s15, s20, s15
	s_ashr_i32 s24, s21, 31
	s_add_u32 s20, s9, s24
	s_mov_b32 s25, s24
	s_addc_u32 s21, s21, s24
	s_xor_b64 s[20:21], s[20:21], s[24:25]
	s_mul_i32 s26, s20, s15
	s_mul_hi_u32 s27, s20, s11
	s_mul_hi_u32 s23, s20, s15
	s_add_u32 s26, s27, s26
	s_addc_u32 s23, 0, s23
	s_mul_hi_u32 s28, s21, s11
	s_mul_i32 s11, s21, s11
	s_add_u32 s11, s26, s11
	s_mul_hi_u32 s27, s21, s15
	s_addc_u32 s11, s23, s28
	s_addc_u32 s23, s27, 0
	s_mul_i32 s15, s21, s15
	s_add_u32 s11, s11, s15
	s_addc_u32 s15, 0, s23
	s_mul_i32 s23, s18, s15
	s_mul_hi_u32 s26, s18, s11
	s_add_i32 s23, s26, s23
	s_mul_i32 s26, s19, s11
	s_add_i32 s23, s23, s26
	s_sub_i32 s28, s21, s23
	s_mul_i32 s26, s18, s11
	s_sub_u32 s20, s20, s26
	s_cselect_b64 s[26:27], -1, 0
	s_cmp_lg_u64 s[26:27], 0
	s_subb_u32 s30, s28, s19
	s_sub_u32 s31, s20, s18
	s_cselect_b64 s[28:29], -1, 0
	s_cmp_lg_u64 s[28:29], 0
	s_subb_u32 s28, s30, 0
	s_cmp_ge_u32 s28, s19
	s_cselect_b32 s29, -1, 0
	s_cmp_ge_u32 s31, s18
	s_cselect_b32 s30, -1, 0
	s_cmp_eq_u32 s28, s19
	s_cselect_b32 s28, s30, s29
	s_add_u32 s29, s11, 1
	s_addc_u32 s30, s15, 0
	s_add_u32 s31, s11, 2
	s_addc_u32 s33, s15, 0
	s_cmp_lg_u32 s28, 0
	s_cselect_b32 s28, s31, s29
	s_cselect_b32 s29, s33, s30
	s_cmp_lg_u64 s[26:27], 0
	s_subb_u32 s21, s21, s23
	s_cmp_ge_u32 s21, s19
	s_cselect_b32 s23, -1, 0
	s_cmp_ge_u32 s20, s18
	s_cselect_b32 s18, -1, 0
	s_cmp_eq_u32 s21, s19
	s_cselect_b32 s18, s18, s23
	s_cmp_lg_u32 s18, 0
	s_cselect_b32 s19, s29, s15
	s_cselect_b32 s18, s28, s11
	s_xor_b64 s[20:21], s[24:25], 0
	s_xor_b64 s[18:19], s[18:19], s[20:21]
	s_sub_u32 s18, s18, s20
	s_cbranch_execnz .LBB36_6
.LBB36_5:
	v_cvt_f32_u32_e32 v1, s22
	s_sub_i32 s11, 0, s22
	v_rcp_iflag_f32_e32 v1, v1
	v_mul_f32_e32 v1, 0x4f7ffffe, v1
	v_cvt_u32_f32_e32 v1, v1
	s_waitcnt lgkmcnt(0)
	v_readfirstlane_b32 s15, v1
	s_mul_i32 s11, s11, s15
	s_mul_hi_u32 s11, s15, s11
	s_add_i32 s15, s15, s11
	s_mul_hi_u32 s11, s9, s15
	s_mul_i32 s16, s11, s22
	s_sub_i32 s9, s9, s16
	s_add_i32 s15, s11, 1
	s_sub_i32 s16, s9, s22
	s_cmp_ge_u32 s9, s22
	s_cselect_b32 s11, s15, s11
	s_cselect_b32 s9, s16, s9
	s_add_i32 s15, s11, 1
	s_cmp_ge_u32 s9, s22
	s_cselect_b32 s18, s15, s11
.LBB36_6:
	s_cmp_eq_u32 s10, s18
	s_waitcnt lgkmcnt(0)
	s_mul_hi_u32 s9, s10, s12
	s_cselect_b64 s[16:17], -1, 0
	s_add_i32 s9, s9, s10
	s_lshr_b32 s11, s9, s13
	s_mul_i32 s9, s11, s14
	s_cmp_eq_u32 s9, s10
	s_mul_hi_u32 s9, s18, s12
	s_cselect_b64 s[20:21], -1, 0
	s_add_i32 s9, s9, s18
	s_lshr_b32 s9, s9, s13
	s_cmp_eq_u32 s11, s9
	s_mul_i32 s9, s9, s14
	s_cselect_b64 s[24:25], -1, 0
	s_cmp_lg_u32 s9, s18
	s_cselect_b64 s[18:19], -1, 0
	s_and_b64 s[18:19], s[24:25], s[18:19]
	s_or_b64 s[16:17], s[16:17], s[20:21]
	s_or_b64 s[16:17], s[16:17], s[18:19]
	s_and_b64 vcc, exec, s[16:17]
	s_cbranch_vccnz .LBB36_23
; %bb.7:
	s_load_dwordx8 s[24:31], s[4:5], 0x20
	s_load_dword s15, s[4:5], 0x40
	s_waitcnt lgkmcnt(0)
	s_mul_hi_u32 s9, s10, s24
	s_add_i32 s9, s9, s10
	s_lshr_b32 s9, s9, s25
	s_mul_i32 s16, s9, s26
	s_sub_i32 s16, s10, s16
	s_mul_hi_u32 s17, s16, s27
	s_add_i32 s17, s16, s17
	s_lshr_b32 s23, s17, s28
	s_mul_i32 s17, s23, s29
	s_sub_i32 s16, s16, s17
	;; [unrolled: 5-line block ×3, first 2 shown]
	s_mul_hi_u32 s16, s15, s12
	s_add_i32 s15, s15, s16
	s_lshr_b32 s24, s15, s13
	s_lshl_b32 s15, s24, 5
	s_lshl_b32 s25, s17, 1
	s_add_i32 s15, s15, s7
	s_cmp_lt_i32 s15, s0
	s_cselect_b64 s[16:17], -1, 0
	s_add_i32 s25, s25, s8
	s_cmp_lt_i32 s25, s2
	s_cselect_b64 s[18:19], -1, 0
	s_and_b64 s[16:17], s[16:17], s[18:19]
	s_andn2_b64 vcc, exec, s[16:17]
	s_cbranch_vccnz .LBB36_23
; %bb.8:
	s_load_dwordx4 s[16:19], s[4:5], 0x0
	s_mov_b32 s4, 0
	s_lshl_b32 s15, s7, 1
	s_lshl_b32 s20, s22, 8
	s_mov_b32 s21, s4
	s_add_i32 s15, s15, s8
	s_lshl_b64 s[20:21], s[20:21], 2
	s_waitcnt lgkmcnt(0)
	s_add_u32 s20, s18, s20
	s_mul_i32 s0, s9, s0
	s_addc_u32 s21, s19, s21
	s_mul_i32 s23, s23, s2
	s_add_i32 s0, s0, s7
	s_mul_i32 s2, s1, s24
	s_mul_i32 s0, s0, s1
	s_add_i32 s1, s25, s23
	s_add_i32 s0, s1, s0
	s_mulk_i32 s2, 0xe00
	s_mulk_i32 s0, 0x70
	s_add_i32 s2, s2, s0
	v_add_u32_e32 v1, s2, v0
	v_ashrrev_i32_e32 v2, 31, v1
	v_lshlrev_b64 v[1:2], 2, v[1:2]
	v_mov_b32_e32 v3, s17
	v_add_co_u32_e32 v1, vcc, s16, v1
	v_addc_co_u32_e32 v2, vcc, v3, v2, vcc
	global_load_dword v3, v[1:2], off
	v_cvt_f32_u32_e32 v4, s22
	s_lshl_b32 s0, s6, 6
	s_add_i32 s0, s15, s0
	s_ashr_i32 s1, s0, 31
	s_lshl_b64 s[0:1], s[0:1], 3
	v_rcp_iflag_f32_e32 v4, v4
	s_add_u32 s0, s18, s0
	s_addc_u32 s1, s19, s1
	s_load_dwordx2 s[0:1], s[0:1], 0x0
	v_mul_f32_e32 v4, 0x4f7ffffe, v4
	v_cvt_u32_f32_e32 v4, v4
	s_mul_i32 s2, s15, 0x70
	s_add_i32 s24, s6, -1
	v_add_u32_e32 v0, s2, v0
	s_waitcnt lgkmcnt(0)
	v_mov_b32_e32 v6, s1
	v_mov_b32_e32 v7, s0
	s_mov_b32 s2, 0x3fb8aa3b
	s_mov_b32 s16, 0xc2ce8ed0
	s_mov_b32 s17, 0x42b17218
	s_mov_b32 s23, 0xc1a00000
	v_mov_b32_e32 v5, 0x7f800000
	s_mul_hi_i32 s5, s24, s3
	s_cmp_lg_u64 s[4:5], 0
	s_mul_i32 s8, s24, s3
	s_cbranch_scc0 .LBB36_19
.LBB36_9:
	s_add_u32 s0, s22, 0
	s_addc_u32 s1, 0, 0
	s_xor_b64 s[0:1], s[0:1], 0
	v_cvt_f32_u32_e32 v8, s0
	v_cvt_f32_u32_e32 v9, s1
	s_sub_u32 s9, 0, s0
	s_subb_u32 s25, 0, s1
	v_mac_f32_e32 v8, 0x4f800000, v9
	v_rcp_f32_e32 v8, v8
	v_mul_f32_e32 v8, 0x5f7ffffc, v8
	v_mul_f32_e32 v9, 0x2f800000, v8
	v_trunc_f32_e32 v9, v9
	v_mac_f32_e32 v8, 0xcf800000, v9
	v_cvt_u32_f32_e32 v9, v9
	v_cvt_u32_f32_e32 v8, v8
	v_readfirstlane_b32 s26, v9
	v_readfirstlane_b32 s6, v8
	s_mul_i32 s7, s9, s26
	s_mul_hi_u32 s28, s9, s6
	s_mul_i32 s27, s25, s6
	s_add_i32 s7, s28, s7
	s_mul_i32 s29, s9, s6
	s_add_i32 s7, s7, s27
	s_mul_i32 s28, s6, s7
	s_mul_hi_u32 s30, s6, s29
	s_mul_hi_u32 s27, s6, s7
	s_add_u32 s28, s30, s28
	s_addc_u32 s27, 0, s27
	s_mul_hi_u32 s31, s26, s29
	s_mul_i32 s29, s26, s29
	s_add_u32 s28, s28, s29
	s_mul_hi_u32 s30, s26, s7
	s_addc_u32 s27, s27, s31
	s_addc_u32 s28, s30, 0
	s_mul_i32 s7, s26, s7
	s_add_u32 s7, s27, s7
	s_addc_u32 s27, 0, s28
	s_add_u32 s28, s6, s7
	s_cselect_b64 s[6:7], -1, 0
	s_cmp_lg_u64 s[6:7], 0
	s_addc_u32 s26, s26, s27
	s_mul_i32 s6, s9, s26
	s_mul_hi_u32 s7, s9, s28
	s_add_i32 s6, s7, s6
	s_mul_i32 s25, s25, s28
	s_add_i32 s6, s6, s25
	s_mul_i32 s9, s9, s28
	s_mul_hi_u32 s25, s26, s9
	s_mul_i32 s27, s26, s9
	s_mul_i32 s30, s28, s6
	s_mul_hi_u32 s9, s28, s9
	s_mul_hi_u32 s29, s28, s6
	s_add_u32 s9, s9, s30
	s_addc_u32 s29, 0, s29
	s_add_u32 s9, s9, s27
	s_mul_hi_u32 s7, s26, s6
	s_addc_u32 s9, s29, s25
	s_addc_u32 s7, s7, 0
	s_mul_i32 s6, s26, s6
	s_add_u32 s6, s9, s6
	s_addc_u32 s9, 0, s7
	s_add_u32 s25, s28, s6
	s_cselect_b64 s[6:7], -1, 0
	s_cmp_lg_u64 s[6:7], 0
	s_addc_u32 s9, s26, s9
	s_ashr_i32 s6, s5, 31
	s_add_u32 s26, s8, s6
	s_mov_b32 s7, s6
	s_addc_u32 s27, s5, s6
	s_xor_b64 s[26:27], s[26:27], s[6:7]
	s_mul_i32 s28, s26, s9
	s_mul_hi_u32 s29, s26, s25
	s_mul_hi_u32 s5, s26, s9
	s_add_u32 s28, s29, s28
	s_addc_u32 s5, 0, s5
	s_mul_hi_u32 s30, s27, s25
	s_mul_i32 s25, s27, s25
	s_add_u32 s25, s28, s25
	s_mul_hi_u32 s29, s27, s9
	s_addc_u32 s5, s5, s30
	s_addc_u32 s25, s29, 0
	s_mul_i32 s9, s27, s9
	s_add_u32 s5, s5, s9
	s_addc_u32 s9, 0, s25
	s_mul_i32 s25, s0, s9
	s_mul_hi_u32 s28, s0, s5
	s_add_i32 s25, s28, s25
	s_mul_i32 s28, s1, s5
	s_add_i32 s25, s25, s28
	s_sub_i32 s30, s27, s25
	s_mul_i32 s28, s0, s5
	s_sub_u32 s26, s26, s28
	s_cselect_b64 s[28:29], -1, 0
	s_cmp_lg_u64 s[28:29], 0
	s_subb_u32 s33, s30, s1
	s_sub_u32 s34, s26, s0
	s_cselect_b64 s[30:31], -1, 0
	s_cmp_lg_u64 s[30:31], 0
	s_subb_u32 s30, s33, 0
	s_cmp_ge_u32 s30, s1
	s_cselect_b32 s31, -1, 0
	s_cmp_ge_u32 s34, s0
	s_cselect_b32 s33, -1, 0
	s_cmp_eq_u32 s30, s1
	s_cselect_b32 s30, s33, s31
	s_add_u32 s31, s5, 1
	s_addc_u32 s33, s9, 0
	s_add_u32 s34, s5, 2
	s_addc_u32 s35, s9, 0
	s_cmp_lg_u32 s30, 0
	s_cselect_b32 s30, s34, s31
	s_cselect_b32 s31, s35, s33
	s_cmp_lg_u64 s[28:29], 0
	s_subb_u32 s25, s27, s25
	s_cmp_ge_u32 s25, s1
	s_cselect_b32 s27, -1, 0
	s_cmp_ge_u32 s26, s0
	s_cselect_b32 s0, -1, 0
	s_cmp_eq_u32 s25, s1
	s_cselect_b32 s0, s0, s27
	s_cmp_lg_u32 s0, 0
	s_cselect_b32 s1, s31, s9
	s_cselect_b32 s0, s30, s5
	s_xor_b64 s[6:7], s[6:7], 0
	s_xor_b64 s[0:1], s[0:1], s[6:7]
	s_sub_u32 s6, s0, s6
	s_cbranch_execnz .LBB36_11
.LBB36_10:
	s_sub_i32 s0, 0, s22
	v_readfirstlane_b32 s1, v4
	s_mul_i32 s0, s0, s1
	s_mul_hi_u32 s0, s1, s0
	s_add_i32 s1, s1, s0
	s_mul_hi_u32 s0, s8, s1
	s_mul_i32 s5, s0, s22
	s_sub_i32 s5, s8, s5
	s_add_i32 s1, s0, 1
	s_sub_i32 s6, s5, s22
	s_cmp_ge_u32 s5, s22
	s_cselect_b32 s0, s1, s0
	s_cselect_b32 s5, s6, s5
	s_add_i32 s1, s0, 1
	s_cmp_ge_u32 s5, s22
	s_cselect_b32 s6, s1, s0
.LBB36_11:
	s_cmp_lg_u32 s10, s6
	s_mov_b64 s[8:9], -1
                                        ; implicit-def: $sgpr0_sgpr1
                                        ; implicit-def: $vgpr10
                                        ; implicit-def: $vgpr8
                                        ; implicit-def: $vgpr9
                                        ; implicit-def: $sgpr5
                                        ; implicit-def: $sgpr7
	s_cbranch_scc1 .LBB36_14
; %bb.12:
	s_andn2_b64 vcc, exec, s[8:9]
	s_cbranch_vccz .LBB36_17
.LBB36_13:
	s_andn2_b64 vcc, exec, s[0:1]
	s_cbranch_vccnz .LBB36_18
	s_branch .LBB36_22
.LBB36_14:
	s_add_i32 s0, s24, s22
	s_lshl_b32 s0, s0, 6
	s_add_i32 s0, s0, s15
	s_mov_b32 s1, s4
	s_lshl_b64 s[0:1], s[0:1], 3
	s_add_u32 s8, s18, s0
	s_mul_hi_u32 s0, s6, s12
	s_addc_u32 s9, s19, s1
	s_add_i32 s0, s0, s6
	s_lshr_b32 s5, s0, s13
	s_mul_i32 s0, s5, s14
	s_cmp_eq_u32 s0, s6
	s_cselect_b64 s[0:1], -1, 0
	s_cmp_lt_u32 s5, s11
	s_cselect_b64 s[26:27], -1, 0
	s_or_b64 s[26:27], s[26:27], s[0:1]
	s_mov_b64 s[0:1], -1
	s_and_b64 vcc, exec, s[26:27]
	s_mov_b32 s5, s24
	s_mov_b32 s7, s10
	s_cbranch_vccnz .LBB36_16
; %bb.15:
	s_add_i32 s5, s24, -1
	s_mov_b64 s[0:1], 0
	s_mov_b32 s7, s6
.LBB36_16:
	s_mul_i32 s6, s24, 0x1c00
	v_add_u32_e32 v8, s6, v0
	v_ashrrev_i32_e32 v9, 31, v8
	v_lshlrev_b64 v[8:9], 2, v[8:9]
	v_mov_b32_e32 v10, s21
	v_add_co_u32_e32 v8, vcc, s20, v8
	v_addc_co_u32_e32 v9, vcc, v10, v9, vcc
	global_load_dword v10, v[8:9], off
	s_load_dwordx2 s[8:9], s[8:9], 0x0
	v_max_f32_e32 v8, v7, v7
	s_waitcnt lgkmcnt(0)
	v_max_f32_e64 v9, s8, s8
	v_max_f32_e32 v8, v8, v9
	v_sub_f32_e32 v9, v7, v8
	v_sub_f32_e32 v11, s8, v8
	v_mul_f32_e32 v12, 0x3fb8aa3b, v9
	v_mul_f32_e32 v13, 0x3fb8aa3b, v11
	v_fma_f32 v14, v9, s2, -v12
	v_rndne_f32_e32 v15, v12
	v_fma_f32 v16, v11, s2, -v13
	v_rndne_f32_e32 v17, v13
	v_fmac_f32_e32 v14, 0x32a5705f, v9
	v_sub_f32_e32 v12, v12, v15
	v_fmac_f32_e32 v16, 0x32a5705f, v11
	v_sub_f32_e32 v13, v13, v17
	v_add_f32_e32 v12, v12, v14
	v_cvt_i32_f32_e32 v15, v15
	v_add_f32_e32 v13, v13, v16
	v_exp_f32_e32 v12, v12
	v_cvt_i32_f32_e32 v17, v17
	v_exp_f32_e32 v13, v13
	v_cmp_ngt_f32_e32 vcc, s16, v9
	v_ldexp_f32 v12, v12, v15
	v_cndmask_b32_e32 v12, 0, v12, vcc
	v_ldexp_f32 v13, v13, v17
	v_cmp_ngt_f32_e32 vcc, s16, v11
	v_cndmask_b32_e32 v13, 0, v13, vcc
	v_cmp_nlt_f32_e32 vcc, s17, v9
	v_cndmask_b32_e32 v12, v5, v12, vcc
	v_cmp_nlt_f32_e32 vcc, s17, v11
	v_cndmask_b32_e32 v13, v5, v13, vcc
	v_cmp_le_f32_e32 vcc, s23, v9
	v_cndmask_b32_e32 v12, 0, v12, vcc
	v_cmp_le_f32_e32 vcc, s23, v11
	v_cndmask_b32_e32 v11, 0, v13, vcc
	v_mul_f32_e32 v9, s9, v11
	v_fmac_f32_e32 v9, v6, v12
	s_waitcnt vmcnt(0)
	v_mul_f32_e32 v10, v10, v11
	v_fmac_f32_e32 v10, v3, v12
	s_cbranch_execnz .LBB36_13
.LBB36_17:
	s_add_i32 s5, s24, -1
	s_mov_b32 s7, s10
	v_mov_b32_e32 v9, v6
	v_mov_b32_e32 v8, v7
	s_waitcnt vmcnt(0)
	v_mov_b32_e32 v10, v3
	s_cbranch_execz .LBB36_22
.LBB36_18:
	s_mov_b32 s10, s7
	s_mov_b32 s24, s5
	v_mov_b32_e32 v6, v9
	v_mov_b32_e32 v7, v8
	s_waitcnt vmcnt(0)
	v_mov_b32_e32 v3, v10
	s_mul_hi_i32 s5, s24, s3
	s_cmp_lg_u64 s[4:5], 0
	s_mul_i32 s8, s24, s3
	s_cbranch_scc1 .LBB36_9
.LBB36_19:
                                        ; implicit-def: $sgpr6_sgpr7
	s_branch .LBB36_10
.LBB36_20:
                                        ; implicit-def: $sgpr10_sgpr11
	s_load_dwordx4 s[12:15], s[4:5], 0x44
	s_branch .LBB36_2
.LBB36_21:
                                        ; implicit-def: $sgpr18_sgpr19
	s_branch .LBB36_5
.LBB36_22:
	v_div_scale_f32 v0, s[0:1], v9, v9, v10
	s_waitcnt vmcnt(0)
	v_div_scale_f32 v3, vcc, v10, v9, v10
	v_rcp_f32_e32 v4, v0
	v_fma_f32 v5, -v0, v4, 1.0
	v_fmac_f32_e32 v4, v5, v4
	v_mul_f32_e32 v5, v3, v4
	v_fma_f32 v6, -v0, v5, v3
	v_fmac_f32_e32 v5, v6, v4
	v_fma_f32 v0, -v0, v5, v3
	v_div_fmas_f32 v0, v0, v4, v5
	v_div_fixup_f32 v0, v0, v9, v10
	global_store_dword v[1:2], v0, off
.LBB36_23:
	s_endpgm
	.section	.rodata,"a",@progbits
	.p2align	6, 0x0
	.amdhsa_kernel _ZL33flash_attn_stream_k_fixup_generalILi112ELi32ELi2EEvPfPK15HIP_vector_typeIfLj2EEiiiiS1_IjLj3EES5_S5_S5_
		.amdhsa_group_segment_fixed_size 0
		.amdhsa_private_segment_fixed_size 0
		.amdhsa_kernarg_size 336
		.amdhsa_user_sgpr_count 6
		.amdhsa_user_sgpr_private_segment_buffer 1
		.amdhsa_user_sgpr_dispatch_ptr 0
		.amdhsa_user_sgpr_queue_ptr 0
		.amdhsa_user_sgpr_kernarg_segment_ptr 1
		.amdhsa_user_sgpr_dispatch_id 0
		.amdhsa_user_sgpr_flat_scratch_init 0
		.amdhsa_user_sgpr_private_segment_size 0
		.amdhsa_uses_dynamic_stack 0
		.amdhsa_system_sgpr_private_segment_wavefront_offset 0
		.amdhsa_system_sgpr_workgroup_id_x 1
		.amdhsa_system_sgpr_workgroup_id_y 1
		.amdhsa_system_sgpr_workgroup_id_z 1
		.amdhsa_system_sgpr_workgroup_info 0
		.amdhsa_system_vgpr_workitem_id 0
		.amdhsa_next_free_vgpr 18
		.amdhsa_next_free_sgpr 36
		.amdhsa_reserve_vcc 1
		.amdhsa_reserve_flat_scratch 0
		.amdhsa_float_round_mode_32 0
		.amdhsa_float_round_mode_16_64 0
		.amdhsa_float_denorm_mode_32 3
		.amdhsa_float_denorm_mode_16_64 3
		.amdhsa_dx10_clamp 1
		.amdhsa_ieee_mode 1
		.amdhsa_fp16_overflow 0
		.amdhsa_exception_fp_ieee_invalid_op 0
		.amdhsa_exception_fp_denorm_src 0
		.amdhsa_exception_fp_ieee_div_zero 0
		.amdhsa_exception_fp_ieee_overflow 0
		.amdhsa_exception_fp_ieee_underflow 0
		.amdhsa_exception_fp_ieee_inexact 0
		.amdhsa_exception_int_div_zero 0
	.end_amdhsa_kernel
	.section	.text._ZL33flash_attn_stream_k_fixup_generalILi112ELi32ELi2EEvPfPK15HIP_vector_typeIfLj2EEiiiiS1_IjLj3EES5_S5_S5_,"axG",@progbits,_ZL33flash_attn_stream_k_fixup_generalILi112ELi32ELi2EEvPfPK15HIP_vector_typeIfLj2EEiiiiS1_IjLj3EES5_S5_S5_,comdat
.Lfunc_end36:
	.size	_ZL33flash_attn_stream_k_fixup_generalILi112ELi32ELi2EEvPfPK15HIP_vector_typeIfLj2EEiiiiS1_IjLj3EES5_S5_S5_, .Lfunc_end36-_ZL33flash_attn_stream_k_fixup_generalILi112ELi32ELi2EEvPfPK15HIP_vector_typeIfLj2EEiiiiS1_IjLj3EES5_S5_S5_
                                        ; -- End function
	.set _ZL33flash_attn_stream_k_fixup_generalILi112ELi32ELi2EEvPfPK15HIP_vector_typeIfLj2EEiiiiS1_IjLj3EES5_S5_S5_.num_vgpr, 18
	.set _ZL33flash_attn_stream_k_fixup_generalILi112ELi32ELi2EEvPfPK15HIP_vector_typeIfLj2EEiiiiS1_IjLj3EES5_S5_S5_.num_agpr, 0
	.set _ZL33flash_attn_stream_k_fixup_generalILi112ELi32ELi2EEvPfPK15HIP_vector_typeIfLj2EEiiiiS1_IjLj3EES5_S5_S5_.numbered_sgpr, 36
	.set _ZL33flash_attn_stream_k_fixup_generalILi112ELi32ELi2EEvPfPK15HIP_vector_typeIfLj2EEiiiiS1_IjLj3EES5_S5_S5_.num_named_barrier, 0
	.set _ZL33flash_attn_stream_k_fixup_generalILi112ELi32ELi2EEvPfPK15HIP_vector_typeIfLj2EEiiiiS1_IjLj3EES5_S5_S5_.private_seg_size, 0
	.set _ZL33flash_attn_stream_k_fixup_generalILi112ELi32ELi2EEvPfPK15HIP_vector_typeIfLj2EEiiiiS1_IjLj3EES5_S5_S5_.uses_vcc, 1
	.set _ZL33flash_attn_stream_k_fixup_generalILi112ELi32ELi2EEvPfPK15HIP_vector_typeIfLj2EEiiiiS1_IjLj3EES5_S5_S5_.uses_flat_scratch, 0
	.set _ZL33flash_attn_stream_k_fixup_generalILi112ELi32ELi2EEvPfPK15HIP_vector_typeIfLj2EEiiiiS1_IjLj3EES5_S5_S5_.has_dyn_sized_stack, 0
	.set _ZL33flash_attn_stream_k_fixup_generalILi112ELi32ELi2EEvPfPK15HIP_vector_typeIfLj2EEiiiiS1_IjLj3EES5_S5_S5_.has_recursion, 0
	.set _ZL33flash_attn_stream_k_fixup_generalILi112ELi32ELi2EEvPfPK15HIP_vector_typeIfLj2EEiiiiS1_IjLj3EES5_S5_S5_.has_indirect_call, 0
	.section	.AMDGPU.csdata,"",@progbits
; Kernel info:
; codeLenInByte = 2944
; TotalNumSgprs: 40
; NumVgprs: 18
; ScratchSize: 0
; MemoryBound: 0
; FloatMode: 240
; IeeeMode: 1
; LDSByteSize: 0 bytes/workgroup (compile time only)
; SGPRBlocks: 4
; VGPRBlocks: 4
; NumSGPRsForWavesPerEU: 40
; NumVGPRsForWavesPerEU: 18
; Occupancy: 10
; WaveLimiterHint : 0
; COMPUTE_PGM_RSRC2:SCRATCH_EN: 0
; COMPUTE_PGM_RSRC2:USER_SGPR: 6
; COMPUTE_PGM_RSRC2:TRAP_HANDLER: 0
; COMPUTE_PGM_RSRC2:TGID_X_EN: 1
; COMPUTE_PGM_RSRC2:TGID_Y_EN: 1
; COMPUTE_PGM_RSRC2:TGID_Z_EN: 1
; COMPUTE_PGM_RSRC2:TIDIG_COMP_CNT: 0
	.section	.text._ZL15flash_attn_tileILi112ELi112ELi16ELi2ELb0EEvPKcS1_S1_S1_S1_PKiPfP15HIP_vector_typeIfLj2EEffffjfiS5_IjLj3EEiiiiiiiiiiiliiliiiiil,"axG",@progbits,_ZL15flash_attn_tileILi112ELi112ELi16ELi2ELb0EEvPKcS1_S1_S1_S1_PKiPfP15HIP_vector_typeIfLj2EEffffjfiS5_IjLj3EEiiiiiiiiiiiliiliiiiil,comdat
	.globl	_ZL15flash_attn_tileILi112ELi112ELi16ELi2ELb0EEvPKcS1_S1_S1_S1_PKiPfP15HIP_vector_typeIfLj2EEffffjfiS5_IjLj3EEiiiiiiiiiiiliiliiiiil ; -- Begin function _ZL15flash_attn_tileILi112ELi112ELi16ELi2ELb0EEvPKcS1_S1_S1_S1_PKiPfP15HIP_vector_typeIfLj2EEffffjfiS5_IjLj3EEiiiiiiiiiiiliiliiiiil
	.p2align	8
	.type	_ZL15flash_attn_tileILi112ELi112ELi16ELi2ELb0EEvPKcS1_S1_S1_S1_PKiPfP15HIP_vector_typeIfLj2EEffffjfiS5_IjLj3EEiiiiiiiiiiiliiliiiiil,@function
_ZL15flash_attn_tileILi112ELi112ELi16ELi2ELb0EEvPKcS1_S1_S1_S1_PKiPfP15HIP_vector_typeIfLj2EEffffjfiS5_IjLj3EEiiiiiiiiiiiliiliiiiil: ; @_ZL15flash_attn_tileILi112ELi112ELi16ELi2ELb0EEvPKcS1_S1_S1_S1_PKiPfP15HIP_vector_typeIfLj2EEffffjfiS5_IjLj3EEiiiiiiiiiiiliiliiiiil
; %bb.0:
	s_mov_b64 s[70:71], s[2:3]
	s_mov_b64 s[68:69], s[0:1]
	s_add_u32 s68, s68, s9
	s_addc_u32 s69, s69, 0
	buffer_store_dword v0, off, s[68:71], 0 offset:12 ; 4-byte Folded Spill
	s_load_dwordx4 s[52:55], s[4:5], 0x5c
	s_load_dwordx2 s[58:59], s[4:5], 0x80
	s_load_dwordx16 s[36:51], s[4:5], 0x0
	v_mov_b32_e32 v20, v1
	s_mov_b64 s[60:61], 0
	s_waitcnt lgkmcnt(0)
	s_lshr_b32 s0, s55, 31
	s_add_i32 s0, s55, s0
	s_ashr_i32 s0, s0, 1
	v_cvt_f32_u32_e32 v0, s0
	s_sub_i32 s1, 0, s0
	v_rcp_iflag_f32_e32 v0, v0
	v_mul_f32_e32 v0, 0x4f7ffffe, v0
	v_cvt_u32_f32_e32 v0, v0
	v_readfirstlane_b32 s2, v0
	s_mul_i32 s1, s1, s2
	s_mul_hi_u32 s1, s2, s1
	s_add_i32 s2, s2, s1
	s_mul_hi_u32 s1, s8, s2
	s_mul_i32 s2, s1, s0
	s_sub_i32 s2, s8, s2
	s_add_i32 s3, s1, 1
	s_sub_i32 s9, s2, s0
	s_cmp_ge_u32 s2, s0
	s_cselect_b32 s1, s3, s1
	s_cselect_b32 s2, s9, s2
	s_add_i32 s3, s1, 1
	s_cmp_ge_u32 s2, s0
	s_cselect_b32 s62, s3, s1
	s_abs_i32 s0, s59
	v_cvt_f32_u32_e32 v0, s0
	s_lshl_b32 s1, s8, 1
	s_mul_i32 s8, s62, s55
	s_sub_i32 s9, 0, s0
	v_rcp_iflag_f32_e32 v0, v0
	s_sub_i32 s56, s1, s8
	s_abs_i32 s3, s55
	s_xor_b32 s2, s55, s59
	v_mul_f32_e32 v0, 0x4f7ffffe, v0
	v_cvt_u32_f32_e32 v0, v0
	s_ashr_i32 s2, s2, 31
	v_readfirstlane_b32 s1, v0
	s_mul_i32 s9, s9, s1
	s_mul_hi_u32 s8, s1, s9
	s_add_i32 s1, s1, s8
	s_mul_hi_u32 s1, s3, s1
	s_mul_i32 s8, s1, s0
	s_sub_i32 s3, s3, s8
	s_add_i32 s9, s1, 1
	s_sub_i32 s8, s3, s0
	s_cmp_ge_u32 s3, s0
	s_cselect_b32 s1, s9, s1
	s_cselect_b32 s3, s8, s3
	s_add_i32 s8, s1, 1
	s_cmp_ge_u32 s3, s0
	s_cselect_b32 s0, s8, s1
	s_xor_b32 s0, s0, s2
	s_sub_i32 s15, s0, s2
	s_abs_i32 s14, s15
	v_cvt_f32_u32_e32 v0, s14
	s_load_dwordx2 s[2:3], s[4:5], 0xb8
	s_cmp_eq_u64 s[42:43], 0
	v_rcp_iflag_f32_e32 v0, v0
	v_mul_f32_e32 v0, 0x4f7ffffe, v0
	v_cvt_u32_f32_e32 v0, v0
	v_readfirstlane_b32 s16, v0
	s_cbranch_scc1 .LBB37_2
; %bb.1:
	s_waitcnt lgkmcnt(0)
	s_abs_i32 s2, s2
	v_cvt_f32_u32_e32 v0, s2
	s_sub_i32 s10, 0, s2
	s_abs_i32 s9, s62
	s_ashr_i32 s8, s62, 31
	v_rcp_iflag_f32_e32 v0, v0
	s_load_dwordx2 s[0:1], s[4:5], 0xc8
	v_mul_f32_e32 v0, 0x4f7ffffe, v0
	v_cvt_u32_f32_e32 v0, v0
	v_readfirstlane_b32 s11, v0
	s_mul_i32 s10, s10, s11
	s_mul_hi_u32 s10, s11, s10
	s_add_i32 s11, s11, s10
	s_mul_hi_u32 s10, s9, s11
	s_mul_i32 s10, s10, s2
	s_sub_i32 s9, s9, s10
	s_sub_i32 s10, s9, s2
	s_cmp_ge_u32 s9, s2
	s_cselect_b32 s9, s10, s9
	s_sub_i32 s10, s9, s2
	s_cmp_ge_u32 s9, s2
	s_cselect_b32 s2, s10, s9
	s_xor_b32 s2, s2, s8
	s_sub_i32 s2, s2, s8
	s_ashr_i32 s8, s2, 31
	s_waitcnt lgkmcnt(0)
	s_mul_hi_u32 s9, s0, s2
	s_mul_i32 s8, s0, s8
	s_mul_i32 s1, s1, s2
	s_add_i32 s8, s9, s8
	s_add_i32 s8, s8, s1
	s_mul_i32 s0, s0, s2
	s_add_u32 s60, s42, s0
	s_addc_u32 s61, s43, s8
.LBB37_2:
	s_load_dwordx4 s[20:23], s[4:5], 0x70
	s_waitcnt lgkmcnt(0)
	s_load_dword s2, s[4:5], 0x40
	buffer_load_dword v0, off, s[68:71], 0 offset:12 ; 4-byte Folded Reload
	s_lshl_b32 s33, s6, 4
	v_lshl_add_u32 v2, v20, 1, s33
	s_mul_i32 s0, s62, s22
	s_ashr_i32 s8, s0, 31
	s_mul_i32 s1, s56, s21
	s_add_u32 s0, s36, s0
	s_addc_u32 s8, s37, s8
	s_ashr_i32 s9, s1, 31
	s_add_u32 s17, s0, s1
	s_addc_u32 s18, s8, s9
	s_ashr_i32 s9, s21, 31
	s_mov_b32 s8, s21
	s_ashr_i32 s21, s20, 31
	s_lshr_b64 s[8:9], s[8:9], 2
	s_lshr_b64 s[10:11], s[20:21], 2
	s_waitcnt vmcnt(0)
	v_cmp_gt_u32_e64 s[0:1], 28, v0
	v_lshlrev_b32_e32 v1, 2, v0
	v_lshlrev_b32_e32 v0, 3, v0
	buffer_store_dword v0, off, s[68:71], 0 ; 4-byte Folded Spill
	v_mov_b32_e32 v0, v1
	buffer_store_dword v0, off, s[68:71], 0 offset:116 ; 4-byte Folded Spill
	s_nop 0
	buffer_store_dword v1, off, s[68:71], 0 offset:120 ; 4-byte Folded Spill
	v_lshlrev_b32_e32 v1, 2, v1
	s_and_saveexec_b64 s[12:13], s[0:1]
	s_cbranch_execz .LBB37_4
; %bb.3:
	v_mul_hi_u32 v0, v2, s52
	v_mov_b32_e32 v6, s18
	v_add_u32_e32 v0, v2, v0
	v_lshrrev_b32_e32 v0, s53, v0
	v_mul_lo_u32 v0, v0, s54
	v_sub_u32_e32 v5, v2, v0
	v_mad_u64_u32 v[3:4], s[20:21], s10, v5, 0
	s_lshl_b64 s[20:21], s[8:9], 2
	s_add_u32 s19, s17, s20
	v_mov_b32_e32 v0, v4
	v_mad_u64_u32 v[4:5], s[22:23], s11, v5, v[0:1]
	s_addc_u32 s20, s18, s21
	v_mov_b32_e32 v0, s20
	v_lshlrev_b64 v[7:8], 2, v[3:4]
	v_add_co_u32_e32 v3, vcc, s17, v7
	v_addc_co_u32_e32 v4, vcc, v6, v8, vcc
	v_add_co_u32_e32 v3, vcc, v3, v1
	v_addc_co_u32_e32 v4, vcc, 0, v4, vcc
	;; [unrolled: 2-line block ×4, first 2 shown]
	global_load_dwordx4 v[3:6], v[3:4], off
	s_movk_i32 s19, 0x380
	global_load_dwordx4 v[7:10], v[7:8], off
	s_waitcnt vmcnt(1) lgkmcnt(0)
	v_fma_mixlo_f16 v3, s2, v3, 0
	buffer_load_dword v0, off, s[68:71], 0  ; 4-byte Folded Reload
	v_fma_mixlo_f16 v4, s2, v4, 0
	v_fma_mixlo_f16 v5, s2, v5, 0
	;; [unrolled: 1-line block ×3, first 2 shown]
	s_waitcnt vmcnt(1)
	v_fma_mixlo_f16 v7, s2, v7, 0
	v_fma_mixlo_f16 v8, s2, v8, 0
	;; [unrolled: 1-line block ×4, first 2 shown]
	v_lshlrev_b32_e32 v4, 16, v4
	v_and_b32_e32 v3, 0xffff, v3
	v_lshlrev_b32_e32 v6, 16, v6
	v_and_b32_e32 v5, 0xffff, v5
	;; [unrolled: 2-line block ×4, first 2 shown]
	v_or_b32_e32 v3, v4, v3
	v_or3_b32 v4, v6, v5, 0
	v_or_b32_e32 v5, v8, v7
	v_or3_b32 v6, v10, v9, 0
	v_or3_b32 v3, 0, 0, v3
	;; [unrolled: 1-line block ×3, first 2 shown]
	s_waitcnt vmcnt(0)
	v_mad_u32_u24 v0, v20, s19, v0
	ds_write2_b64 v0, v[3:4], v[5:6] offset1:28
.LBB37_4:
	s_or_b64 exec, exec, s[12:13]
	v_lshlrev_b32_e32 v3, 2, v20
	v_or_b32_e32 v4, 2, v3
	v_lshrrev_b32_e32 v10, 1, v4
	s_and_saveexec_b64 s[12:13], s[0:1]
	s_cbranch_execz .LBB37_6
; %bb.5:
	v_add_u32_e32 v0, s33, v10
	v_mul_hi_u32 v5, v0, s52
	s_movk_i32 s19, 0xe0
	v_add_u32_e32 v5, v0, v5
	v_lshrrev_b32_e32 v5, s53, v5
	v_mul_lo_u32 v5, v5, s54
	v_sub_u32_e32 v7, v0, v5
	v_mad_u64_u32 v[5:6], s[20:21], s10, v7, 0
	v_mov_b32_e32 v0, v6
	v_mad_u64_u32 v[6:7], s[20:21], s11, v7, v[0:1]
	v_mov_b32_e32 v0, s18
	v_lshlrev_b64 v[5:6], 2, v[5:6]
	v_add_co_u32_e32 v5, vcc, s17, v5
	v_addc_co_u32_e32 v0, vcc, v0, v6, vcc
	v_add_co_u32_e32 v5, vcc, v5, v1
	v_addc_co_u32_e32 v6, vcc, 0, v0, vcc
	global_load_dwordx4 v[5:8], v[5:6], off
	s_nop 0
	buffer_load_dword v0, off, s[68:71], 0  ; 4-byte Folded Reload
	s_waitcnt vmcnt(0)
	v_mad_u32_u24 v0, v4, s19, v0
	s_waitcnt lgkmcnt(0)
	v_fma_mixlo_f16 v4, s2, v5, 0
	v_fma_mixlo_f16 v5, s2, v6, 0
	;; [unrolled: 1-line block ×4, first 2 shown]
	v_lshlrev_b32_e32 v5, 16, v5
	v_and_b32_e32 v4, 0xffff, v4
	v_lshlrev_b32_e32 v7, 16, v7
	v_and_b32_e32 v6, 0xffff, v6
	v_or_b32_e32 v4, v5, v4
	v_or3_b32 v5, v7, v6, 0
	v_or3_b32 v4, 0, 0, v4
	ds_write_b64 v0, v[4:5]
.LBB37_6:
	s_or_b64 exec, exec, s[12:13]
	v_or_b32_e32 v9, 3, v3
	s_and_saveexec_b64 s[12:13], s[0:1]
	s_cbranch_execz .LBB37_8
; %bb.7:
	v_lshrrev_b32_e32 v0, 1, v9
	v_add_u32_e32 v0, s33, v0
	v_mul_hi_u32 v4, v0, s52
	s_lshl_b64 s[8:9], s[8:9], 2
	s_add_u32 s8, s17, s8
	s_addc_u32 s9, s18, s9
	v_add_u32_e32 v4, v0, v4
	v_lshrrev_b32_e32 v4, s53, v4
	v_mul_lo_u32 v4, v4, s54
	v_sub_u32_e32 v6, v0, v4
	v_mad_u64_u32 v[4:5], s[20:21], s10, v6, 0
	v_mov_b32_e32 v0, v5
	v_mad_u64_u32 v[5:6], s[10:11], s11, v6, v[0:1]
	v_mov_b32_e32 v0, s9
	v_lshlrev_b64 v[4:5], 2, v[4:5]
	v_add_co_u32_e32 v4, vcc, s8, v4
	v_addc_co_u32_e32 v5, vcc, v0, v5, vcc
	v_add_co_u32_e32 v0, vcc, v4, v1
	v_addc_co_u32_e32 v1, vcc, 0, v5, vcc
	global_load_dwordx4 v[4:7], v[0:1], off
	s_movk_i32 s8, 0xe0
	buffer_load_dword v0, off, s[68:71], 0  ; 4-byte Folded Reload
	s_waitcnt vmcnt(1) lgkmcnt(0)
	v_fma_mixlo_f16 v1, s2, v5, 0
	v_fma_mixlo_f16 v5, s2, v7, 0
	s_waitcnt vmcnt(0)
	v_mad_u32_u24 v8, v9, s8, v0
	v_fma_mixlo_f16 v0, s2, v4, 0
	v_fma_mixlo_f16 v4, s2, v6, 0
	v_lshlrev_b32_e32 v1, 16, v1
	v_and_b32_e32 v0, 0xffff, v0
	v_lshlrev_b32_e32 v5, 16, v5
	v_and_b32_e32 v4, 0xffff, v4
	v_or_b32_e32 v0, v1, v0
	v_or3_b32 v1, v5, v4, 0
	v_or3_b32 v0, 0, 0, v0
	ds_write_b64 v8, v[0:1]
.LBB37_8:
	s_or_b64 exec, exec, s[12:13]
	s_cmp_eq_u64 s[46:47], 0
	s_waitcnt vmcnt(0) lgkmcnt(0)
	s_barrier
	s_cbranch_scc1 .LBB37_10
; %bb.9:
	s_load_dword s2, s[4:5], 0xd0
	s_mov_b32 s9, 0
	s_waitcnt lgkmcnt(0)
	s_mul_i32 s2, s2, s62
	s_add_i32 s8, s2, s6
	s_lshl_b64 s[8:9], s[8:9], 2
	s_add_u32 s8, s46, s8
	s_addc_u32 s9, s47, s9
	s_load_dword s58, s[8:9], 0x0
.LBB37_10:
	s_lshl_b32 s6, s7, 5
	s_waitcnt lgkmcnt(0)
	s_cmp_lt_i32 s6, s58
	v_mbcnt_lo_u32_b32 v4, -1, 0
	buffer_store_dword v10, off, s[68:71], 0 offset:112 ; 4-byte Folded Spill
	s_cbranch_scc1 .LBB37_15
; %bb.11:
	v_mbcnt_hi_u32_b32 v93, -1, v4
	v_and_b32_e32 v0, 0x60, v93
	v_add_u32_e32 v119, 32, v0
	v_xor_b32_e32 v0, 2, v93
	v_xor_b32_e32 v118, 16, v93
	;; [unrolled: 1-line block ×4, first 2 shown]
	buffer_store_dword v0, off, s[68:71], 0 offset:16 ; 4-byte Folded Spill
	v_xor_b32_e32 v0, 1, v93
	buffer_store_dword v0, off, s[68:71], 0 offset:20 ; 4-byte Folded Spill
	buffer_store_dword v9, off, s[68:71], 0 offset:124 ; 4-byte Folded Spill
	;; [unrolled: 1-line block ×3, first 2 shown]
	s_cbranch_execz .LBB37_16
; %bb.12:
	v_mov_b32_e32 v114, 0
	v_mov_b32_e32 v122, 0
	;; [unrolled: 1-line block ×16, first 2 shown]
.LBB37_13:
	buffer_load_dword v9, off, s[68:71], 0 offset:16 ; 4-byte Folded Reload
	buffer_load_dword v10, off, s[68:71], 0 offset:20 ; 4-byte Folded Reload
	v_cmp_lt_i32_e32 vcc, v118, v119
	v_cndmask_b32_e32 v0, v93, v118, vcc
	v_lshlrev_b32_e32 v0, 2, v0
	ds_bpermute_b32 v1, v0, v121
	ds_bpermute_b32 v11, v0, v120
	;; [unrolled: 1-line block ×4, first 2 shown]
	v_cmp_lt_i32_e32 vcc, v117, v119
	v_cndmask_b32_e32 v6, v93, v117, vcc
	v_lshlrev_b32_e32 v6, 2, v6
	s_waitcnt lgkmcnt(3)
	v_add_f32_e32 v1, v121, v1
	s_waitcnt lgkmcnt(2)
	v_add_f32_e32 v11, v120, v11
	;; [unrolled: 2-line block ×4, first 2 shown]
	ds_bpermute_b32 v7, v6, v1
	ds_bpermute_b32 v13, v6, v11
	;; [unrolled: 1-line block ×4, first 2 shown]
	v_cmp_lt_i32_e32 vcc, v116, v119
	v_cndmask_b32_e32 v8, v93, v116, vcc
	v_lshlrev_b32_e32 v8, 2, v8
	s_waitcnt lgkmcnt(3)
	v_add_f32_e32 v1, v1, v7
	s_waitcnt lgkmcnt(2)
	v_add_f32_e32 v11, v11, v13
	;; [unrolled: 2-line block ×4, first 2 shown]
	ds_bpermute_b32 v7, v8, v1
	ds_bpermute_b32 v13, v8, v11
	;; [unrolled: 1-line block ×4, first 2 shown]
	s_cmp_lg_u64 s[44:45], 0
	s_waitcnt lgkmcnt(3)
	v_add_f32_e32 v1, v1, v7
	s_waitcnt lgkmcnt(2)
	v_add_f32_e32 v8, v11, v13
	;; [unrolled: 2-line block ×4, first 2 shown]
	s_cselect_b64 s[2:3], -1, 0
	s_cmp_eq_u32 s7, 0
	s_cselect_b64 s[8:9], -1, 0
	s_and_b64 s[2:3], s[8:9], s[2:3]
	s_waitcnt vmcnt(1)
	v_cmp_lt_i32_e32 vcc, v9, v119
	v_cndmask_b32_e32 v9, v93, v9, vcc
	v_lshlrev_b32_e32 v9, 2, v9
	ds_bpermute_b32 v7, v9, v1
	ds_bpermute_b32 v11, v9, v8
	;; [unrolled: 1-line block ×4, first 2 shown]
	s_waitcnt vmcnt(0)
	v_cmp_lt_i32_e32 vcc, v10, v119
	v_cndmask_b32_e32 v10, v93, v10, vcc
	v_lshlrev_b32_e32 v10, 2, v10
	s_waitcnt lgkmcnt(3)
	v_add_f32_e32 v1, v1, v7
	s_waitcnt lgkmcnt(2)
	v_add_f32_e32 v8, v8, v11
	;; [unrolled: 2-line block ×4, first 2 shown]
	ds_bpermute_b32 v7, v10, v1
	ds_bpermute_b32 v9, v10, v8
	;; [unrolled: 1-line block ×4, first 2 shown]
	s_and_b64 vcc, exec, s[2:3]
	s_waitcnt lgkmcnt(3)
	v_add_f32_e32 v6, v1, v7
	s_waitcnt lgkmcnt(2)
	v_add_f32_e32 v7, v8, v9
	;; [unrolled: 2-line block ×4, first 2 shown]
	s_cbranch_vccz .LBB37_43
; %bb.14:
	s_ashr_i32 s57, s56, 31
	s_lshl_b64 s[2:3], s[56:57], 2
	s_add_u32 s2, s44, s2
	s_addc_u32 s3, s45, s3
	v_mov_b32_e32 v0, 0
	global_load_dwordx2 v[0:1], v0, s[2:3]
	v_max_f32_e32 v10, v2, v2
	v_max_f32_e32 v11, v3, v3
	;; [unrolled: 1-line block ×3, first 2 shown]
	s_mov_b32 s6, 0x3fb8aa3b
	s_mov_b32 s3, 0xc2ce8ed0
	;; [unrolled: 1-line block ×3, first 2 shown]
	v_mov_b32_e32 v13, 0x7f800000
	s_waitcnt vmcnt(0)
	v_max_f32_e32 v16, v0, v0
	v_max_f32_e32 v14, v10, v16
	;; [unrolled: 1-line block ×3, first 2 shown]
	v_sub_f32_e32 v2, v2, v14
	v_max_f32_e32 v15, v11, v17
	v_max_f32_e32 v16, v12, v16
	v_sub_f32_e32 v10, v0, v14
	v_mul_f32_e32 v12, 0x3fb8aa3b, v2
	v_sub_f32_e32 v3, v3, v15
	v_mul_f32_e32 v18, 0x3fb8aa3b, v10
	v_fma_f32 v23, v2, s6, -v12
	v_rndne_f32_e32 v24, v12
	v_sub_f32_e32 v11, v1, v15
	v_mul_f32_e32 v19, 0x3fb8aa3b, v3
	v_fma_f32 v25, v10, s6, -v18
	v_rndne_f32_e32 v26, v18
	v_fmac_f32_e32 v23, 0x32a5705f, v2
	v_sub_f32_e32 v12, v12, v24
	v_mul_f32_e32 v20, 0x3fb8aa3b, v11
	v_fma_f32 v27, v3, s6, -v19
	v_rndne_f32_e32 v28, v19
	v_fmac_f32_e32 v25, 0x32a5705f, v10
	v_sub_f32_e32 v18, v18, v26
	v_add_f32_e32 v12, v12, v23
	v_fma_f32 v29, v11, s6, -v20
	v_rndne_f32_e32 v30, v20
	v_cvt_i32_f32_e32 v24, v24
	v_fmac_f32_e32 v27, 0x32a5705f, v3
	v_sub_f32_e32 v19, v19, v28
	v_add_f32_e32 v18, v18, v25
	v_exp_f32_e32 v12, v12
	v_cvt_i32_f32_e32 v26, v26
	v_fmac_f32_e32 v29, 0x32a5705f, v11
	v_sub_f32_e32 v20, v20, v30
	v_add_f32_e32 v19, v19, v27
	v_exp_f32_e32 v18, v18
	v_cvt_i32_f32_e32 v28, v28
	v_add_f32_e32 v20, v20, v29
	v_exp_f32_e32 v19, v19
	v_cvt_i32_f32_e32 v30, v30
	v_exp_f32_e32 v20, v20
	v_ldexp_f32 v12, v12, v24
	v_cmp_ngt_f32_e32 vcc, s3, v2
	v_ldexp_f32 v18, v18, v26
	v_cndmask_b32_e32 v12, 0, v12, vcc
	v_cmp_ngt_f32_e32 vcc, s3, v10
	v_sub_f32_e32 v4, v4, v16
	v_ldexp_f32 v19, v19, v28
	v_cndmask_b32_e32 v18, 0, v18, vcc
	v_cmp_ngt_f32_e32 vcc, s3, v3
	v_mul_f32_e32 v21, 0x3fb8aa3b, v4
	v_ldexp_f32 v20, v20, v30
	v_cndmask_b32_e32 v19, 0, v19, vcc
	v_cmp_ngt_f32_e32 vcc, s3, v11
	v_sub_f32_e32 v0, v0, v16
	v_fma_f32 v31, v4, s6, -v21
	v_rndne_f32_e32 v32, v21
	v_cndmask_b32_e32 v20, 0, v20, vcc
	v_cmp_nlt_f32_e32 vcc, s2, v2
	v_mul_f32_e32 v22, 0x3fb8aa3b, v0
	v_fmac_f32_e32 v31, 0x32a5705f, v4
	v_sub_f32_e32 v21, v21, v32
	v_cndmask_b32_e32 v2, v13, v12, vcc
	v_cmp_nlt_f32_e32 vcc, s2, v10
	v_fma_f32 v33, v0, s6, -v22
	v_rndne_f32_e32 v34, v22
	v_add_f32_e32 v21, v21, v31
	v_cndmask_b32_e32 v10, v13, v18, vcc
	v_cmp_nlt_f32_e32 vcc, s2, v3
	v_cvt_i32_f32_e32 v32, v32
	v_fmac_f32_e32 v33, 0x32a5705f, v0
	v_sub_f32_e32 v22, v22, v34
	v_exp_f32_e32 v21, v21
	v_cndmask_b32_e32 v3, v13, v19, vcc
	v_cvt_f16_f32_e32 v12, v2
	v_add_f32_e32 v22, v22, v33
	v_cvt_f16_f32_e32 v18, v3
	v_cvt_i32_f32_e32 v34, v34
	v_exp_f32_e32 v22, v22
	v_cmp_nlt_f32_e32 vcc, s2, v11
	v_ldexp_f32 v21, v21, v32
	v_cndmask_b32_e32 v11, v13, v20, vcc
	v_fmac_f32_e32 v10, v6, v2
	v_mul_u32_u24_e32 v2, 0x10001, v12
	v_cmp_ngt_f32_e32 vcc, s3, v4
	v_fmac_f32_e32 v11, v7, v3
	v_mul_u32_u24_e32 v3, 0x10001, v18
	v_pk_mul_f16 v114, v114, v2
	v_pk_mul_f16 v99, v99, v2
	v_cndmask_b32_e32 v2, 0, v21, vcc
	v_cmp_nlt_f32_e32 vcc, s2, v4
	v_pk_mul_f16 v124, v124, v3
	v_pk_mul_f16 v91, v91, v3
	v_cndmask_b32_e32 v2, v13, v2, vcc
	v_ldexp_f32 v3, v22, v34
	v_cmp_ngt_f32_e32 vcc, s3, v0
	v_cndmask_b32_e32 v3, 0, v3, vcc
	v_cmp_nlt_f32_e32 vcc, s2, v0
	v_cndmask_b32_e32 v12, v13, v3, vcc
	v_fmac_f32_e32 v12, v8, v2
	v_cvt_f16_f32_e32 v0, v2
	v_max_f32_e32 v2, v5, v5
	v_max_f32_e32 v17, v2, v17
	v_sub_f32_e32 v2, v5, v17
	v_mul_f32_e32 v3, 0x3fb8aa3b, v2
	v_fma_f32 v4, v2, s6, -v3
	v_rndne_f32_e32 v5, v3
	v_fmac_f32_e32 v4, 0x32a5705f, v2
	v_sub_f32_e32 v3, v3, v5
	v_add_f32_e32 v3, v3, v4
	v_exp_f32_e32 v3, v3
	v_cvt_i32_f32_e32 v4, v5
	v_mul_u32_u24_e32 v0, 0x10001, v0
	v_sub_f32_e32 v1, v1, v17
	v_pk_mul_f16 v109, v109, v0
	v_pk_mul_f16 v89, v89, v0
	v_ldexp_f32 v0, v3, v4
	v_mul_f32_e32 v3, 0x3fb8aa3b, v1
	v_fma_f32 v4, v1, s6, -v3
	v_rndne_f32_e32 v5, v3
	v_fmac_f32_e32 v4, 0x32a5705f, v1
	v_sub_f32_e32 v3, v3, v5
	v_add_f32_e32 v3, v3, v4
	v_exp_f32_e32 v3, v3
	v_cvt_i32_f32_e32 v4, v5
	v_cmp_ngt_f32_e32 vcc, s3, v2
	v_cndmask_b32_e32 v0, 0, v0, vcc
	v_cmp_nlt_f32_e32 vcc, s2, v2
	v_cndmask_b32_e32 v0, v13, v0, vcc
	v_ldexp_f32 v2, v3, v4
	v_cvt_f16_f32_e32 v3, v0
	v_cmp_ngt_f32_e32 vcc, s3, v1
	v_cndmask_b32_e32 v2, 0, v2, vcc
	v_cmp_nlt_f32_e32 vcc, s2, v1
	v_cndmask_b32_e32 v13, v13, v2, vcc
	v_fmac_f32_e32 v13, v9, v0
	v_mul_u32_u24_e32 v0, 0x10001, v3
	v_mov_b32_e32 v2, v14
	v_pk_mul_f16 v90, v90, v0
	v_pk_mul_f16 v92, v92, v0
	v_mov_b32_e32 v3, v15
	v_mov_b32_e32 v4, v16
	;; [unrolled: 1-line block ×7, first 2 shown]
	s_branch .LBB37_44
.LBB37_15:
                                        ; implicit-def: $vgpr0
                                        ; implicit-def: $vgpr93
                                        ; implicit-def: $vgpr119
                                        ; implicit-def: $vgpr118
                                        ; implicit-def: $vgpr117
                                        ; implicit-def: $vgpr116
                                        ; kill: killed $vgpr0
                                        ; implicit-def: $vgpr0
                                        ; kill: killed $vgpr0
	buffer_store_dword v9, off, s[68:71], 0 offset:124 ; 4-byte Folded Spill
	buffer_store_dword v20, off, s[68:71], 0 offset:108 ; 4-byte Folded Spill
.LBB37_16:
	s_load_dwordx2 s[12:13], s[4:5], 0x8c
	s_load_dwordx4 s[8:11], s[4:5], 0x98
	buffer_load_dword v19, off, s[68:71], 0 offset:12 ; 4-byte Folded Reload
	s_sub_i32 s2, 0, s14
	s_mul_i32 s2, s2, s16
	s_waitcnt lgkmcnt(0)
	s_ashr_i32 s43, s12, 2
	s_ashr_i32 s42, s10, 2
	;; [unrolled: 1-line block ×4, first 2 shown]
	s_mul_hi_u32 s12, s8, s62
	s_mul_i32 s20, s8, s3
	s_mul_hi_u32 s2, s16, s2
	s_add_i32 s12, s12, s20
	s_mul_i32 s9, s9, s62
	s_abs_i32 s18, s56
	s_add_i32 s16, s16, s2
	s_ashr_i32 s19, s56, 31
	s_ashr_i32 s15, s15, 31
	s_add_i32 s12, s12, s9
	s_mul_i32 s8, s8, s62
	s_mul_hi_u32 s2, s18, s16
	s_add_u32 s8, s38, s8
	s_addc_u32 s9, s39, s12
	s_xor_b32 s12, s19, s15
	s_mul_i32 s15, s2, s14
	v_add_u32_e32 v15, 1, v2
	s_sub_i32 s15, s18, s15
	v_mul_hi_u32 v12, s52, v15
	s_add_i32 s18, s2, 1
	s_sub_i32 s19, s15, s14
	s_cmp_ge_u32 s15, s14
	s_cselect_b32 s2, s18, s2
	s_cselect_b32 s15, s19, s15
	s_add_i32 s18, s2, 1
	v_add_u32_e32 v12, v15, v12
	s_cmp_ge_u32 s15, s14
	v_lshrrev_b32_e32 v12, s53, v12
	s_load_dwordx2 s[16:17], s[4:5], 0xa8
	s_cselect_b32 s2, s18, s2
	v_mul_lo_u32 v16, v12, s54
	s_xor_b32 s2, s2, s12
	s_sub_i32 s2, s2, s12
	s_mul_i32 s12, s2, s13
	s_ashr_i32 s13, s12, 31
	s_add_u32 s46, s8, s12
	s_waitcnt lgkmcnt(0)
	s_mul_hi_u32 s8, s16, s62
	s_mul_i32 s3, s16, s3
	s_addc_u32 s47, s9, s13
	s_add_i32 s3, s8, s3
	s_mul_i32 s8, s17, s62
	s_add_i32 s3, s3, s8
	s_mul_i32 s8, s16, s62
	s_add_u32 s8, s40, s8
	s_mul_i32 s2, s2, s11
	s_addc_u32 s3, s41, s3
	s_ashr_i32 s9, s2, 31
	s_add_u32 s40, s8, s2
	s_addc_u32 s41, s3, s9
	s_movk_i32 s15, 0x1c80
	s_movk_i32 s14, 0x1c00
	s_add_u32 s36, s4, 0xd0
	v_mul_u32_u24_e32 v95, 0x380, v20
	v_mov_b32_e32 v92, 0
	s_addc_u32 s37, s5, 0
	s_mov_b32 s57, 0x42b17218
	s_mov_b32 s59, 0x10001
	v_mbcnt_hi_u32_b32 v93, -1, v4
	v_mov_b32_e32 v75, 0x7f800000
	v_mov_b32_e32 v90, 0
	;; [unrolled: 1-line block ×12, first 2 shown]
	s_waitcnt vmcnt(0)
	v_lshrrev_b32_e32 v1, 1, v19
	v_lshl_add_u32 v7, v20, 4, v1
	v_lshrrev_b32_e32 v1, 2, v19
	v_lshl_add_u32 v0, v20, 5, v19
	v_lshl_add_u32 v8, v20, 3, v1
	v_lshlrev_b32_e32 v1, 7, v19
	v_cmp_gt_u32_e32 vcc, 32, v0
	v_mul_lo_u32 v5, s43, v0
	v_add_u32_e32 v0, 0x1c60, v1
	buffer_store_dword v0, off, s[68:71], 0 offset:24 ; 4-byte Folded Spill
	v_lshlrev_b32_e32 v0, 2, v19
	v_and_b32_e32 v17, 4, v0
	v_lshlrev_b32_e32 v13, 2, v17
	v_add_u32_e32 v94, 0x1c00, v1
	v_lshl_or_b32 v1, v7, 7, v13
	v_and_b32_e32 v18, 12, v0
	v_add_u32_e32 v1, 0x1c40, v1
	v_lshlrev_b32_e32 v14, 2, v18
	buffer_store_dword v1, off, s[68:71], 0 offset:28 ; 4-byte Folded Spill
	v_lshl_or_b32 v1, v8, 7, v14
	v_add_u32_e32 v1, 0x1c00, v1
	buffer_store_dword v1, off, s[68:71], 0 offset:32 ; 4-byte Folded Spill
	v_mul_hi_u32 v1, s52, v2
	v_cmp_gt_u32_e64 s[2:3], 32, v7
	v_mul_lo_u32 v9, s43, v7
	v_cmp_gt_u32_e64 s[8:9], 16, v7
	v_add_u32_e32 v1, v2, v1
	v_lshrrev_b32_e32 v1, s53, v1
	v_mul_lo_u32 v1, v1, s54
	v_ashrrev_i32_e32 v6, 31, v5
	v_and_b32_e32 v0, 28, v0
	v_lshlrev_b64 v[5:6], 2, v[5:6]
	v_sub_u32_e32 v1, v2, v1
	v_mul_lo_u32 v1, v1, s10
	v_mul_u32_u24_e32 v2, 0xe0, v7
	v_or_b32_e32 v2, v2, v13
	v_mul_lo_u32 v11, s43, v8
	buffer_store_dword v1, off, s[68:71], 0 offset:36 ; 4-byte Folded Spill
	v_sub_u32_e32 v1, v15, v16
	v_mul_lo_u32 v1, v1, s10
	v_add_u32_e32 v2, 0x1cc0, v2
	buffer_store_dword v0, off, s[68:71], 0 offset:52 ; 4-byte Folded Spill
	v_ashrrev_i32_e32 v10, 31, v9
	buffer_store_dword v1, off, s[68:71], 0 offset:40 ; 4-byte Folded Spill
	v_mov_b32_e32 v1, 0x2c40
	v_lshl_add_u32 v102, v20, 8, v1
	v_lshrrev_b32_e32 v1, 3, v19
	v_add_u32_e32 v3, v1, v3
	v_mul_lo_u32 v1, s42, v7
	v_mul_u32_u24_e32 v7, 0xe0, v8
	v_add3_u32 v7, v7, v14, s15
	v_cmp_gt_u32_e64 s[12:13], 16, v3
	buffer_store_dword v7, off, s[68:71], 0 offset:48 ; 4-byte Folded Spill
	v_mul_lo_u32 v15, s42, v3
	v_mul_u32_u24_e32 v3, 0xe0, v3
	v_lshlrev_b32_e32 v7, 2, v0
	v_add3_u32 v0, v3, v7, s14
	buffer_store_dword v2, off, s[68:71], 0 offset:44 ; 4-byte Folded Spill
	buffer_store_dword v0, off, s[68:71], 0 offset:56 ; 4-byte Folded Spill
	;; [unrolled: 1-line block ×3, first 2 shown]
	s_nop 0
	buffer_store_dword v6, off, s[68:71], 0 offset:64 ; 4-byte Folded Spill
	v_lshlrev_b64 v[5:6], 2, v[9:10]
	v_ashrrev_i32_e32 v12, 31, v11
	buffer_store_dword v5, off, s[68:71], 0 offset:68 ; 4-byte Folded Spill
	s_nop 0
	buffer_store_dword v6, off, s[68:71], 0 offset:72 ; 4-byte Folded Spill
	v_lshlrev_b64 v[5:6], 2, v[11:12]
	v_mul_lo_u32 v13, s42, v8
	v_lshlrev_b32_e32 v0, 2, v17
	v_ashrrev_i32_e32 v2, 31, v1
	buffer_store_dword v5, off, s[68:71], 0 offset:76 ; 4-byte Folded Spill
	s_nop 0
	buffer_store_dword v6, off, s[68:71], 0 offset:80 ; 4-byte Folded Spill
	buffer_store_dword v0, off, s[68:71], 0 offset:4 ; 4-byte Folded Spill
	v_lshlrev_b32_e32 v0, 2, v18
	buffer_store_dword v0, off, s[68:71], 0 offset:8 ; 4-byte Folded Spill
	v_lshlrev_b64 v[0:1], 2, v[1:2]
	v_ashrrev_i32_e32 v14, 31, v13
	buffer_store_dword v0, off, s[68:71], 0 offset:84 ; 4-byte Folded Spill
	s_nop 0
	buffer_store_dword v1, off, s[68:71], 0 offset:88 ; 4-byte Folded Spill
	v_lshlrev_b64 v[0:1], 2, v[13:14]
	v_ashrrev_i32_e32 v16, 31, v15
	buffer_store_dword v0, off, s[68:71], 0 offset:92 ; 4-byte Folded Spill
	s_nop 0
	buffer_store_dword v1, off, s[68:71], 0 offset:96 ; 4-byte Folded Spill
	v_lshlrev_b64 v[0:1], 2, v[15:16]
	v_cmp_gt_u32_e64 s[30:31], 32, v8
	v_cmp_gt_u32_e64 s[10:11], 16, v8
	v_mov_b32_e32 v8, 0xfeffffff
	s_mov_b32 s52, 0x3fb8aa3b
	s_mov_b32 s53, 0xc2ce8ed0
	v_mov_b32_e32 v9, 0xfeffffff
	v_mov_b32_e32 v7, 0xfeffffff
	;; [unrolled: 1-line block ×3, first 2 shown]
	buffer_store_dword v0, off, s[68:71], 0 offset:100 ; 4-byte Folded Spill
	s_nop 0
	buffer_store_dword v1, off, s[68:71], 0 offset:104 ; 4-byte Folded Spill
.LBB37_17:                              ; =>This Inner Loop Header: Depth=1
	s_mul_hi_i32 s15, s6, s43
	s_mul_i32 s14, s6, s43
	s_lshl_b64 s[14:15], s[14:15], 2
	s_add_u32 s18, s46, s14
	s_addc_u32 s19, s47, s15
	s_and_saveexec_b64 s[16:17], vcc
	s_cbranch_execnz .LBB37_37
; %bb.18:                               ;   in Loop: Header=BB37_17 Depth=1
	s_or_b64 exec, exec, s[16:17]
	s_and_saveexec_b64 s[16:17], s[2:3]
	s_cbranch_execnz .LBB37_38
.LBB37_19:                              ;   in Loop: Header=BB37_17 Depth=1
	s_or_b64 exec, exec, s[16:17]
	s_and_saveexec_b64 s[16:17], s[30:31]
	s_cbranch_execz .LBB37_21
.LBB37_20:                              ;   in Loop: Header=BB37_17 Depth=1
	buffer_load_dword v2, off, s[68:71], 0 offset:76 ; 4-byte Folded Reload
	buffer_load_dword v3, off, s[68:71], 0 offset:80 ; 4-byte Folded Reload
	;; [unrolled: 1-line block ×3, first 2 shown]
	v_mov_b32_e32 v1, s19
	s_waitcnt vmcnt(2)
	v_add_co_u32_e64 v2, s[14:15], s18, v2
	s_waitcnt vmcnt(1)
	v_addc_co_u32_e64 v3, s[14:15], v1, v3, s[14:15]
	s_waitcnt vmcnt(0)
	v_add_co_u32_e64 v1, s[14:15], v2, v0
	v_addc_co_u32_e64 v2, s[14:15], 0, v3, s[14:15]
	global_load_dwordx4 v[1:4], v[1:2], off
	s_nop 0
	buffer_load_dword v0, off, s[68:71], 0 offset:32 ; 4-byte Folded Reload
	s_waitcnt vmcnt(0)
	ds_write_b128 v0, v[1:4]
.LBB37_21:                              ;   in Loop: Header=BB37_17 Depth=1
	s_or_b64 exec, exec, s[16:17]
	s_waitcnt vmcnt(0) lgkmcnt(0)
	s_barrier
	ds_read_b128 v[10:13], v94
	ds_read_b128 v[14:17], v95
	ds_read_b128 v[18:21], v95 offset:224
	ds_read_b128 v[22:25], v95 offset:448
	;; [unrolled: 1-line block ×3, first 2 shown]
	v_mov_b32_e32 v2, 0
	s_waitcnt lgkmcnt(3)
	;;#ASMSTART
	v_dot2_f32_f16 v2, v10, v14, v2
	;;#ASMEND
	;;#ASMSTART
	v_dot2_f32_f16 v2, v11, v15, v2
	;;#ASMEND
	;;#ASMSTART
	v_dot2_f32_f16 v2, v12, v16, v2
	;;#ASMEND
	v_mov_b32_e32 v3, 0
	;;#ASMSTART
	v_dot2_f32_f16 v2, v13, v17, v2
	;;#ASMEND
	s_waitcnt lgkmcnt(2)
	;;#ASMSTART
	v_dot2_f32_f16 v3, v10, v18, v3
	;;#ASMEND
	;;#ASMSTART
	v_dot2_f32_f16 v3, v11, v19, v3
	;;#ASMEND
	;;#ASMSTART
	v_dot2_f32_f16 v3, v12, v20, v3
	;;#ASMEND
	v_mov_b32_e32 v4, 0
	;;#ASMSTART
	v_dot2_f32_f16 v3, v13, v21, v3
	;;#ASMEND
	s_waitcnt lgkmcnt(1)
	;;#ASMSTART
	v_dot2_f32_f16 v4, v10, v22, v4
	;;#ASMEND
	;;#ASMSTART
	v_dot2_f32_f16 v4, v11, v23, v4
	;;#ASMEND
	;;#ASMSTART
	v_dot2_f32_f16 v4, v12, v24, v4
	;;#ASMEND
	v_mov_b32_e32 v5, 0
	;;#ASMSTART
	v_dot2_f32_f16 v4, v13, v25, v4
	;;#ASMEND
	s_waitcnt lgkmcnt(0)
	;;#ASMSTART
	v_dot2_f32_f16 v5, v10, v26, v5
	;;#ASMEND
	;;#ASMSTART
	v_dot2_f32_f16 v5, v11, v27, v5
	;;#ASMEND
	;;#ASMSTART
	v_dot2_f32_f16 v5, v12, v28, v5
	;;#ASMEND
	;;#ASMSTART
	v_dot2_f32_f16 v5, v13, v29, v5
	;;#ASMEND
	ds_read_b128 v[10:13], v94 offset:16
	ds_read_b128 v[14:17], v95 offset:16
	ds_read_b128 v[18:21], v95 offset:240
	ds_read_b128 v[22:25], v95 offset:464
	ds_read_b128 v[26:29], v95 offset:688
	s_waitcnt lgkmcnt(3)
	;;#ASMSTART
	v_dot2_f32_f16 v2, v10, v14, v2
	;;#ASMEND
	;;#ASMSTART
	v_dot2_f32_f16 v2, v11, v15, v2
	;;#ASMEND
	;;#ASMSTART
	v_dot2_f32_f16 v2, v12, v16, v2
	;;#ASMEND
	;;#ASMSTART
	v_dot2_f32_f16 v2, v13, v17, v2
	;;#ASMEND
	s_waitcnt lgkmcnt(2)
	;;#ASMSTART
	v_dot2_f32_f16 v3, v10, v18, v3
	;;#ASMEND
	;;#ASMSTART
	v_dot2_f32_f16 v3, v11, v19, v3
	;;#ASMEND
	;;#ASMSTART
	v_dot2_f32_f16 v3, v12, v20, v3
	;;#ASMEND
	;;#ASMSTART
	v_dot2_f32_f16 v3, v13, v21, v3
	;;#ASMEND
	s_waitcnt lgkmcnt(1)
	;;#ASMSTART
	v_dot2_f32_f16 v4, v10, v22, v4
	;;#ASMEND
	;;#ASMSTART
	v_dot2_f32_f16 v4, v11, v23, v4
	;;#ASMEND
	;;#ASMSTART
	v_dot2_f32_f16 v4, v12, v24, v4
	;;#ASMEND
	;;#ASMSTART
	v_dot2_f32_f16 v4, v13, v25, v4
	;;#ASMEND
	s_waitcnt lgkmcnt(0)
	;;#ASMSTART
	v_dot2_f32_f16 v5, v10, v26, v5
	;;#ASMEND
	;;#ASMSTART
	v_dot2_f32_f16 v5, v11, v27, v5
	;;#ASMEND
	;;#ASMSTART
	v_dot2_f32_f16 v5, v12, v28, v5
	;;#ASMEND
	;;#ASMSTART
	v_dot2_f32_f16 v5, v13, v29, v5
	;;#ASMEND
	ds_read_b128 v[10:13], v94 offset:32
	ds_read_b128 v[14:17], v95 offset:32
	ds_read_b128 v[18:21], v95 offset:256
	ds_read_b128 v[22:25], v95 offset:480
	ds_read_b128 v[26:29], v95 offset:704
	s_waitcnt lgkmcnt(3)
	;;#ASMSTART
	v_dot2_f32_f16 v2, v10, v14, v2
	;;#ASMEND
	;;#ASMSTART
	v_dot2_f32_f16 v2, v11, v15, v2
	;;#ASMEND
	;;#ASMSTART
	v_dot2_f32_f16 v2, v12, v16, v2
	;;#ASMEND
	;;#ASMSTART
	v_dot2_f32_f16 v2, v13, v17, v2
	;;#ASMEND
	s_waitcnt lgkmcnt(2)
	;;#ASMSTART
	v_dot2_f32_f16 v3, v10, v18, v3
	;;#ASMEND
	;;#ASMSTART
	v_dot2_f32_f16 v3, v11, v19, v3
	;;#ASMEND
	;;#ASMSTART
	v_dot2_f32_f16 v3, v12, v20, v3
	;;#ASMEND
	;;#ASMSTART
	v_dot2_f32_f16 v3, v13, v21, v3
	;;#ASMEND
	s_waitcnt lgkmcnt(1)
	;;#ASMSTART
	v_dot2_f32_f16 v4, v10, v22, v4
	;;#ASMEND
	;;#ASMSTART
	v_dot2_f32_f16 v4, v11, v23, v4
	;;#ASMEND
	;;#ASMSTART
	v_dot2_f32_f16 v4, v12, v24, v4
	;;#ASMEND
	;;#ASMSTART
	v_dot2_f32_f16 v4, v13, v25, v4
	;;#ASMEND
	;; [unrolled: 57-line block ×6, first 2 shown]
	s_waitcnt lgkmcnt(0)
	;;#ASMSTART
	v_dot2_f32_f16 v5, v10, v26, v5
	;;#ASMEND
	;;#ASMSTART
	v_dot2_f32_f16 v5, v11, v27, v5
	;;#ASMEND
	;; [unrolled: 3-line block ×4, first 2 shown]
	s_barrier
	s_and_saveexec_b64 s[16:17], vcc
	s_cbranch_execnz .LBB37_39
; %bb.22:                               ;   in Loop: Header=BB37_17 Depth=1
	s_or_b64 exec, exec, s[16:17]
	s_and_saveexec_b64 s[16:17], s[2:3]
	s_cbranch_execnz .LBB37_40
.LBB37_23:                              ;   in Loop: Header=BB37_17 Depth=1
	s_or_b64 exec, exec, s[16:17]
	s_and_saveexec_b64 s[16:17], s[30:31]
	s_cbranch_execz .LBB37_25
.LBB37_24:                              ;   in Loop: Header=BB37_17 Depth=1
	buffer_load_dword v10, off, s[68:71], 0 offset:76 ; 4-byte Folded Reload
	buffer_load_dword v11, off, s[68:71], 0 offset:80 ; 4-byte Folded Reload
	;; [unrolled: 1-line block ×3, first 2 shown]
	v_mov_b32_e32 v1, s19
	s_waitcnt vmcnt(2)
	v_add_co_u32_e64 v10, s[14:15], s18, v10
	s_waitcnt vmcnt(1)
	v_addc_co_u32_e64 v1, s[14:15], v1, v11, s[14:15]
	s_waitcnt vmcnt(0)
	v_add_co_u32_e64 v10, s[14:15], v10, v0
	v_addc_co_u32_e64 v11, s[14:15], 0, v1, s[14:15]
	global_load_dwordx4 v[10:13], v[10:11], off offset:112
	s_nop 0
	buffer_load_dword v0, off, s[68:71], 0 offset:32 ; 4-byte Folded Reload
	s_waitcnt vmcnt(0)
	ds_write_b128 v0, v[10:13]
.LBB37_25:                              ;   in Loop: Header=BB37_17 Depth=1
	s_or_b64 exec, exec, s[16:17]
	s_waitcnt lgkmcnt(0)
	s_barrier
	ds_read_b128 v[10:13], v94
	ds_read_b128 v[14:17], v95 offset:112
	ds_read_b128 v[18:21], v95 offset:336
	ds_read_b128 v[22:25], v95 offset:560
	ds_read_b128 v[26:29], v95 offset:784
	s_waitcnt lgkmcnt(3)
	;;#ASMSTART
	v_dot2_f32_f16 v2, v10, v14, v2
	;;#ASMEND
	;;#ASMSTART
	v_dot2_f32_f16 v2, v11, v15, v2
	;;#ASMEND
	;;#ASMSTART
	v_dot2_f32_f16 v2, v12, v16, v2
	;;#ASMEND
	;;#ASMSTART
	v_dot2_f32_f16 v2, v13, v17, v2
	;;#ASMEND
	s_waitcnt lgkmcnt(2)
	;;#ASMSTART
	v_dot2_f32_f16 v3, v10, v18, v3
	;;#ASMEND
	;;#ASMSTART
	v_dot2_f32_f16 v3, v11, v19, v3
	;;#ASMEND
	;;#ASMSTART
	v_dot2_f32_f16 v3, v12, v20, v3
	;;#ASMEND
	;;#ASMSTART
	v_dot2_f32_f16 v3, v13, v21, v3
	;;#ASMEND
	s_waitcnt lgkmcnt(1)
	;;#ASMSTART
	v_dot2_f32_f16 v4, v10, v22, v4
	;;#ASMEND
	;;#ASMSTART
	v_dot2_f32_f16 v4, v11, v23, v4
	;;#ASMEND
	;;#ASMSTART
	v_dot2_f32_f16 v4, v12, v24, v4
	;;#ASMEND
	;;#ASMSTART
	v_dot2_f32_f16 v4, v13, v25, v4
	;;#ASMEND
	s_waitcnt lgkmcnt(0)
	;;#ASMSTART
	v_dot2_f32_f16 v5, v10, v26, v5
	;;#ASMEND
	;;#ASMSTART
	v_dot2_f32_f16 v5, v11, v27, v5
	;;#ASMEND
	;;#ASMSTART
	v_dot2_f32_f16 v5, v12, v28, v5
	;;#ASMEND
	;;#ASMSTART
	v_dot2_f32_f16 v5, v13, v29, v5
	;;#ASMEND
	ds_read_b128 v[10:13], v94 offset:16
	ds_read_b128 v[14:17], v95 offset:128
	ds_read_b128 v[18:21], v95 offset:352
	ds_read_b128 v[22:25], v95 offset:576
	ds_read_b128 v[26:29], v95 offset:800
	s_waitcnt lgkmcnt(3)
	;;#ASMSTART
	v_dot2_f32_f16 v2, v10, v14, v2
	;;#ASMEND
	;;#ASMSTART
	v_dot2_f32_f16 v2, v11, v15, v2
	;;#ASMEND
	;;#ASMSTART
	v_dot2_f32_f16 v2, v12, v16, v2
	;;#ASMEND
	;;#ASMSTART
	v_dot2_f32_f16 v2, v13, v17, v2
	;;#ASMEND
	s_waitcnt lgkmcnt(2)
	;;#ASMSTART
	v_dot2_f32_f16 v3, v10, v18, v3
	;;#ASMEND
	;;#ASMSTART
	v_dot2_f32_f16 v3, v11, v19, v3
	;;#ASMEND
	;;#ASMSTART
	v_dot2_f32_f16 v3, v12, v20, v3
	;;#ASMEND
	;;#ASMSTART
	v_dot2_f32_f16 v3, v13, v21, v3
	;;#ASMEND
	s_waitcnt lgkmcnt(1)
	;;#ASMSTART
	v_dot2_f32_f16 v4, v10, v22, v4
	;;#ASMEND
	;;#ASMSTART
	v_dot2_f32_f16 v4, v11, v23, v4
	;;#ASMEND
	;;#ASMSTART
	v_dot2_f32_f16 v4, v12, v24, v4
	;;#ASMEND
	;;#ASMSTART
	v_dot2_f32_f16 v4, v13, v25, v4
	;;#ASMEND
	s_waitcnt lgkmcnt(0)
	;;#ASMSTART
	v_dot2_f32_f16 v5, v10, v26, v5
	;;#ASMEND
	;;#ASMSTART
	v_dot2_f32_f16 v5, v11, v27, v5
	;;#ASMEND
	;;#ASMSTART
	v_dot2_f32_f16 v5, v12, v28, v5
	;;#ASMEND
	;;#ASMSTART
	v_dot2_f32_f16 v5, v13, v29, v5
	;;#ASMEND
	ds_read_b128 v[10:13], v94 offset:32
	;; [unrolled: 57-line block ×6, first 2 shown]
	ds_read_b128 v[14:17], v95 offset:208
	ds_read_b128 v[18:21], v95 offset:432
	;; [unrolled: 1-line block ×4, first 2 shown]
	s_waitcnt lgkmcnt(3)
	;;#ASMSTART
	v_dot2_f32_f16 v2, v10, v14, v2
	;;#ASMEND
	;;#ASMSTART
	v_dot2_f32_f16 v2, v11, v15, v2
	;;#ASMEND
	;;#ASMSTART
	v_dot2_f32_f16 v2, v12, v16, v2
	;;#ASMEND
	;;#ASMSTART
	v_dot2_f32_f16 v2, v13, v17, v2
	;;#ASMEND
	s_waitcnt lgkmcnt(2)
	;;#ASMSTART
	v_dot2_f32_f16 v3, v10, v18, v3
	;;#ASMEND
	;;#ASMSTART
	v_dot2_f32_f16 v3, v11, v19, v3
	;;#ASMEND
	;;#ASMSTART
	v_dot2_f32_f16 v3, v12, v20, v3
	;;#ASMEND
	;;#ASMSTART
	v_dot2_f32_f16 v3, v13, v21, v3
	;;#ASMEND
	;; [unrolled: 13-line block ×4, first 2 shown]
	buffer_load_dword v0, off, s[68:71], 0 offset:12 ; 4-byte Folded Reload
	v_mov_b32_e32 v12, s61
	v_xor_b32_e32 v118, 16, v93
	v_xor_b32_e32 v117, 8, v93
	;; [unrolled: 1-line block ×4, first 2 shown]
	v_max_f32_e32 v14, v7, v7
	v_max_f32_e32 v15, v6, v6
	buffer_store_dword v19, off, s[68:71], 0 offset:20 ; 4-byte Folded Spill
	s_mul_hi_i32 s35, s6, s42
	s_mul_i32 s34, s6, s42
	s_lshl_b64 s[34:35], s[34:35], 2
	s_add_u32 s63, s40, s34
	s_addc_u32 s64, s41, s35
	s_waitcnt vmcnt(1)
	v_add_u32_e32 v1, s6, v0
	buffer_load_dword v0, off, s[68:71], 0 offset:36 ; 4-byte Folded Reload
	s_waitcnt vmcnt(0)
	v_add_u32_e32 v10, v1, v0
	buffer_load_dword v0, off, s[68:71], 0 offset:40 ; 4-byte Folded Reload
	v_ashrrev_i32_e32 v11, 31, v10
	v_lshlrev_b64 v[10:11], 1, v[10:11]
	v_add_co_u32_e64 v10, s[14:15], s60, v10
	v_addc_co_u32_e64 v11, s[14:15], v12, v11, s[14:15]
	global_load_ushort v13, v[10:11], off
	s_waitcnt vmcnt(1)
	v_add_u32_e32 v10, v1, v0
	v_ashrrev_i32_e32 v11, 31, v10
	v_lshlrev_b64 v[10:11], 1, v[10:11]
	v_xor_b32_e32 v0, 2, v93
	v_add_co_u32_e64 v10, s[14:15], s60, v10
	v_addc_co_u32_e64 v11, s[14:15], v12, v11, s[14:15]
	global_load_ushort v1, v[10:11], off
	s_waitcnt vmcnt(1)
	v_cvt_f32_f16_e32 v13, v13
	v_and_b32_e32 v10, 0x60, v93
	v_add_u32_e32 v119, 32, v10
	v_cmp_lt_i32_e64 s[14:15], v118, v119
	v_add_f32_e32 v20, v2, v13
	v_max_f32_e32 v11, v8, v8
	v_cndmask_b32_e64 v10, v93, v118, s[14:15]
	v_add_f32_e32 v2, 0x40051340, v20
	v_lshlrev_b32_e32 v10, 2, v10
	v_max_f32_e32 v2, v11, v2
	ds_bpermute_b32 v11, v10, v2
	v_cmp_lt_i32_e64 s[14:15], v117, v119
	v_cndmask_b32_e64 v16, v93, v117, s[14:15]
	v_lshlrev_b32_e32 v16, 2, v16
	v_add_f32_e32 v13, v3, v13
	s_waitcnt lgkmcnt(0)
	v_max_f32_e32 v11, v11, v11
	v_max_f32_e32 v2, v2, v11
	ds_bpermute_b32 v11, v16, v2
	v_max_f32_e32 v12, v9, v9
	v_add_f32_e32 v3, 0x40051340, v13
	v_max_f32_e32 v3, v12, v3
	ds_bpermute_b32 v12, v10, v3
	v_cmp_lt_i32_e64 s[14:15], v116, v119
	v_cndmask_b32_e64 v17, v93, v116, s[14:15]
	s_waitcnt lgkmcnt(1)
	v_max_f32_e32 v11, v11, v11
	v_lshlrev_b32_e32 v17, 2, v17
	v_max_f32_e32 v2, v2, v11
	ds_bpermute_b32 v11, v17, v2
	s_waitcnt lgkmcnt(1)
	v_max_f32_e32 v12, v12, v12
	v_max_f32_e32 v3, v3, v12
	ds_bpermute_b32 v12, v16, v3
	v_cmp_lt_i32_e64 s[14:15], v0, v119
	v_cndmask_b32_e64 v18, v93, v0, s[14:15]
	s_waitcnt lgkmcnt(1)
	v_max_f32_e32 v11, v11, v11
	v_lshlrev_b32_e32 v18, 2, v18
	v_max_f32_e32 v2, v2, v11
	buffer_store_dword v0, off, s[68:71], 0 offset:16 ; 4-byte Folded Spill
	ds_bpermute_b32 v11, v18, v2
	s_waitcnt vmcnt(0) lgkmcnt(0)
	s_barrier
	buffer_load_dword v0, off, s[68:71], 0  ; 4-byte Folded Reload
	v_max_f32_e32 v12, v12, v12
	v_max_f32_e32 v3, v3, v12
	ds_bpermute_b32 v12, v17, v3
	v_cmp_lt_i32_e64 s[14:15], v19, v119
	v_cndmask_b32_e64 v19, v93, v19, s[14:15]
	v_max_f32_e32 v11, v11, v11
	v_lshlrev_b32_e32 v19, 2, v19
	v_max_f32_e32 v2, v2, v11
	ds_bpermute_b32 v11, v19, v2
	s_waitcnt lgkmcnt(0)
	v_max_f32_e32 v11, v11, v11
	v_max_f32_e32 v2, v2, v11
	v_sub_f32_e32 v83, v8, v2
	v_cmp_ngt_f32_e64 s[14:15], s53, v83
	v_cmp_nlt_f32_e64 s[16:17], s57, v83
	v_cvt_f32_f16_e32 v1, v1
	v_add_f32_e32 v21, v4, v1
	v_add_f32_e32 v1, v5, v1
	;; [unrolled: 1-line block ×4, first 2 shown]
	v_max_f32_e32 v4, v14, v4
	v_max_f32_e32 v5, v15, v5
	ds_bpermute_b32 v14, v10, v4
	ds_bpermute_b32 v10, v10, v5
	s_waitcnt lgkmcnt(1)
	v_max_f32_e32 v14, v14, v14
	s_waitcnt lgkmcnt(0)
	v_max_f32_e32 v10, v10, v10
	v_max_f32_e32 v4, v4, v14
	;; [unrolled: 1-line block ×4, first 2 shown]
	ds_bpermute_b32 v12, v16, v4
	ds_bpermute_b32 v14, v16, v5
	v_max_f32_e32 v3, v3, v10
	ds_bpermute_b32 v10, v18, v3
	s_waitcnt lgkmcnt(2)
	v_max_f32_e32 v11, v12, v12
	v_max_f32_e32 v4, v4, v11
	s_waitcnt lgkmcnt(1)
	v_max_f32_e32 v12, v14, v14
	ds_bpermute_b32 v11, v17, v4
	v_max_f32_e32 v5, v5, v12
	ds_bpermute_b32 v12, v17, v5
	s_waitcnt lgkmcnt(2)
	v_max_f32_e32 v10, v10, v10
	v_max_f32_e32 v3, v3, v10
	s_waitcnt lgkmcnt(1)
	v_max_f32_e32 v10, v11, v11
	v_max_f32_e32 v4, v4, v10
	s_waitcnt lgkmcnt(0)
	v_max_f32_e32 v11, v12, v12
	ds_bpermute_b32 v10, v18, v4
	v_max_f32_e32 v5, v5, v11
	ds_bpermute_b32 v11, v18, v5
	ds_bpermute_b32 v12, v19, v3
	s_waitcnt lgkmcnt(2)
	v_max_f32_e32 v10, v10, v10
	v_max_f32_e32 v4, v4, v10
	s_waitcnt lgkmcnt(1)
	v_max_f32_e32 v11, v11, v11
	ds_bpermute_b32 v10, v19, v4
	v_max_f32_e32 v5, v5, v11
	ds_bpermute_b32 v11, v19, v5
	s_waitcnt lgkmcnt(2)
	v_max_f32_e32 v12, v12, v12
	v_max_f32_e32 v3, v3, v12
	s_waitcnt lgkmcnt(1)
	v_max_f32_e32 v10, v10, v10
	v_max_f32_e32 v4, v4, v10
	;; [unrolled: 3-line block ×3, first 2 shown]
	v_sub_f32_e32 v10, v20, v2
	v_mul_f32_e32 v11, 0x3fb8aa3b, v10
	v_fma_f32 v12, v10, s52, -v11
	v_rndne_f32_e32 v14, v11
	v_fmac_f32_e32 v12, 0x32a5705f, v10
	v_sub_f32_e32 v11, v11, v14
	v_add_f32_e32 v11, v11, v12
	v_exp_f32_e32 v11, v11
	v_cvt_i32_f32_e32 v12, v14
	v_cmp_ngt_f32_e64 s[18:19], s53, v10
	v_sub_f32_e32 v84, v9, v3
	v_sub_f32_e32 v1, v1, v5
	v_ldexp_f32 v8, v11, v12
	v_cndmask_b32_e64 v8, 0, v8, s[18:19]
	v_cmp_nlt_f32_e64 s[18:19], s57, v10
	v_sub_f32_e32 v10, v13, v3
	v_mul_f32_e32 v11, 0x3fb8aa3b, v10
	v_fma_f32 v12, v10, s52, -v11
	v_rndne_f32_e32 v13, v11
	v_fmac_f32_e32 v12, 0x32a5705f, v10
	v_sub_f32_e32 v11, v11, v13
	v_add_f32_e32 v11, v11, v12
	v_exp_f32_e32 v11, v11
	v_cvt_i32_f32_e32 v12, v13
	v_cmp_ngt_f32_e64 s[22:23], s53, v10
	v_sub_f32_e32 v70, v7, v4
	v_sub_f32_e32 v105, v6, v5
	v_ldexp_f32 v9, v11, v12
	v_cndmask_b32_e64 v9, 0, v9, s[22:23]
	v_cmp_nlt_f32_e64 s[22:23], s57, v10
	v_sub_f32_e32 v10, v21, v4
	v_mul_f32_e32 v11, 0x3fb8aa3b, v10
	v_fma_f32 v12, v10, s52, -v11
	v_rndne_f32_e32 v13, v11
	v_fmac_f32_e32 v12, 0x32a5705f, v10
	v_sub_f32_e32 v11, v11, v13
	v_add_f32_e32 v11, v11, v12
	v_exp_f32_e32 v11, v11
	v_cvt_i32_f32_e32 v12, v13
	v_cmp_ngt_f32_e64 s[26:27], s53, v10
	v_cndmask_b32_e64 v121, v75, v8, s[18:19]
	v_cndmask_b32_e64 v120, v75, v9, s[22:23]
	v_ldexp_f32 v7, v11, v12
	v_mul_f32_e32 v11, 0x3fb8aa3b, v1
	v_fma_f32 v12, v1, s52, -v11
	v_rndne_f32_e32 v13, v11
	v_fmac_f32_e32 v12, 0x32a5705f, v1
	v_sub_f32_e32 v11, v11, v13
	v_add_f32_e32 v11, v11, v12
	v_exp_f32_e32 v11, v11
	v_cvt_i32_f32_e32 v12, v13
	v_cndmask_b32_e64 v7, 0, v7, s[26:27]
	v_cmp_nlt_f32_e64 s[26:27], s57, v10
	v_cndmask_b32_e64 v123, v75, v7, s[26:27]
	v_ldexp_f32 v6, v11, v12
	v_cmp_ngt_f32_e64 s[26:27], s53, v1
	v_cndmask_b32_e64 v6, 0, v6, s[26:27]
	v_cmp_nlt_f32_e64 s[26:27], s57, v1
	v_cndmask_b32_e64 v122, v75, v6, s[26:27]
	v_cvt_f16_f32_e32 v8, v121
	v_cvt_f16_f32_e32 v9, v120
	;; [unrolled: 1-line block ×4, first 2 shown]
	v_cmp_ngt_f32_e64 s[18:19], s53, v84
	v_cmp_nlt_f32_e64 s[20:21], s57, v84
	v_cmp_ngt_f32_e64 s[22:23], s53, v70
	v_cmp_nlt_f32_e64 s[24:25], s57, v70
	;; [unrolled: 2-line block ×3, first 2 shown]
	s_waitcnt vmcnt(0)
	v_add_u32_e32 v10, v102, v0
	v_pack_b32_f16 v7, v7, v1
	v_pack_b32_f16 v6, v8, v9
	ds_write_b64 v10, v[6:7]
	s_and_saveexec_b64 s[38:39], s[8:9]
	s_cbranch_execz .LBB37_27
; %bb.26:                               ;   in Loop: Header=BB37_17 Depth=1
	buffer_load_dword v6, off, s[68:71], 0 offset:84 ; 4-byte Folded Reload
	buffer_load_dword v7, off, s[68:71], 0 offset:88 ; 4-byte Folded Reload
	;; [unrolled: 1-line block ×3, first 2 shown]
	v_mov_b32_e32 v1, s64
	s_waitcnt vmcnt(2)
	v_add_co_u32_e64 v6, s[34:35], s63, v6
	s_waitcnt vmcnt(1)
	v_addc_co_u32_e64 v1, s[34:35], v1, v7, s[34:35]
	s_waitcnt vmcnt(0)
	v_add_co_u32_e64 v6, s[34:35], v6, v0
	v_addc_co_u32_e64 v7, s[34:35], 0, v1, s[34:35]
	global_load_dwordx4 v[6:9], v[6:7], off offset:192
	s_nop 0
	buffer_load_dword v0, off, s[68:71], 0 offset:44 ; 4-byte Folded Reload
	s_waitcnt vmcnt(0)
	ds_write_b128 v0, v[6:9]
.LBB37_27:                              ;   in Loop: Header=BB37_17 Depth=1
	s_or_b64 exec, exec, s[38:39]
	s_and_saveexec_b64 s[38:39], s[10:11]
	s_cbranch_execz .LBB37_29
; %bb.28:                               ;   in Loop: Header=BB37_17 Depth=1
	buffer_load_dword v6, off, s[68:71], 0 offset:92 ; 4-byte Folded Reload
	buffer_load_dword v7, off, s[68:71], 0 offset:96 ; 4-byte Folded Reload
	;; [unrolled: 1-line block ×3, first 2 shown]
	v_mov_b32_e32 v1, s64
	s_waitcnt vmcnt(2)
	v_add_co_u32_e64 v6, s[34:35], s63, v6
	s_waitcnt vmcnt(1)
	v_addc_co_u32_e64 v1, s[34:35], v1, v7, s[34:35]
	s_waitcnt vmcnt(0)
	v_add_co_u32_e64 v6, s[34:35], v6, v0
	v_addc_co_u32_e64 v7, s[34:35], 0, v1, s[34:35]
	global_load_dwordx4 v[6:9], v[6:7], off offset:128
	s_nop 0
	buffer_load_dword v0, off, s[68:71], 0 offset:48 ; 4-byte Folded Reload
	s_waitcnt vmcnt(0)
	ds_write_b128 v0, v[6:9]
.LBB37_29:                              ;   in Loop: Header=BB37_17 Depth=1
	s_or_b64 exec, exec, s[38:39]
	buffer_load_dword v0, off, s[68:71], 0 offset:52 ; 4-byte Folded Reload
	s_waitcnt vmcnt(0)
	v_lshlrev_b32_e32 v1, 2, v0
	s_and_saveexec_b64 s[38:39], s[12:13]
	s_cbranch_execz .LBB37_31
; %bb.30:                               ;   in Loop: Header=BB37_17 Depth=1
	buffer_load_dword v7, off, s[68:71], 0 offset:100 ; 4-byte Folded Reload
	buffer_load_dword v8, off, s[68:71], 0 offset:104 ; 4-byte Folded Reload
	v_mov_b32_e32 v6, s64
	buffer_load_dword v0, off, s[68:71], 0 offset:56 ; 4-byte Folded Reload
	s_waitcnt vmcnt(2)
	v_add_co_u32_e64 v7, s[34:35], s63, v7
	s_waitcnt vmcnt(1)
	v_addc_co_u32_e64 v8, s[34:35], v6, v8, s[34:35]
	v_add_co_u32_e64 v6, s[34:35], v7, v1
	v_addc_co_u32_e64 v7, s[34:35], 0, v8, s[34:35]
	global_load_dwordx4 v[6:9], v[6:7], off
	s_waitcnt vmcnt(0)
	ds_write_b128 v0, v[6:9]
.LBB37_31:                              ;   in Loop: Header=BB37_17 Depth=1
	s_or_b64 exec, exec, s[38:39]
	s_waitcnt lgkmcnt(0)
	s_barrier
	buffer_load_dword v0, off, s[68:71], 0  ; 4-byte Folded Reload
	s_or_b32 s34, s6, 16
	s_mul_hi_i32 s35, s34, s42
	s_mul_i32 s34, s34, s42
	s_lshl_b64 s[34:35], s[34:35], 2
	s_add_u32 s63, s40, s34
	s_addc_u32 s64, s41, s35
	s_waitcnt vmcnt(0)
	v_add_u32_e32 v127, 0x1800, v0
	v_add_u32_e32 v126, 0x1c00, v0
	;; [unrolled: 1-line block ×3, first 2 shown]
	ds_read2_b64 v[34:37], v127 offset0:128 offset1:156
	ds_read_b128 v[66:69], v102
	ds_read_b128 v[62:65], v102 offset:16
	ds_read_b128 v[54:57], v102 offset:32
	;; [unrolled: 1-line block ×3, first 2 shown]
	ds_read2_b64 v[30:33], v127 offset0:184 offset1:212
	ds_read2_b64 v[26:29], v126 offset0:112 offset1:140
	;; [unrolled: 1-line block ×5, first 2 shown]
	ds_read_b128 v[58:61], v102 offset:64
	ds_read_b128 v[50:53], v102 offset:80
	ds_read2_b64 v[10:13], v125 offset0:208 offset1:236
	v_add_u32_e32 v0, 0x2800, v0
	ds_read2_b64 v[6:9], v0 offset0:8 offset1:36
	ds_read_b128 v[46:49], v102 offset:96
	ds_read_b128 v[38:41], v102 offset:112
	v_mov_b32_e32 v115, v0
	s_waitcnt lgkmcnt(0)
	s_barrier
	s_and_saveexec_b64 s[38:39], s[8:9]
	s_cbranch_execnz .LBB37_41
; %bb.32:                               ;   in Loop: Header=BB37_17 Depth=1
	s_or_b64 exec, exec, s[38:39]
	s_and_saveexec_b64 s[38:39], s[10:11]
	s_cbranch_execnz .LBB37_42
.LBB37_33:                              ;   in Loop: Header=BB37_17 Depth=1
	s_or_b64 exec, exec, s[38:39]
	s_and_saveexec_b64 s[38:39], s[12:13]
	s_cbranch_execz .LBB37_35
.LBB37_34:                              ;   in Loop: Header=BB37_17 Depth=1
	buffer_load_dword v72, off, s[68:71], 0 offset:100 ; 4-byte Folded Reload
	buffer_load_dword v73, off, s[68:71], 0 offset:104 ; 4-byte Folded Reload
	v_mov_b32_e32 v71, s64
	buffer_load_dword v0, off, s[68:71], 0 offset:56 ; 4-byte Folded Reload
	s_waitcnt vmcnt(2)
	v_add_co_u32_e64 v72, s[34:35], s63, v72
	s_waitcnt vmcnt(1)
	v_addc_co_u32_e64 v73, s[34:35], v71, v73, s[34:35]
	v_add_co_u32_e64 v71, s[34:35], v72, v1
	v_addc_co_u32_e64 v72, s[34:35], 0, v73, s[34:35]
	global_load_dwordx4 v[71:74], v[71:72], off
	s_waitcnt vmcnt(0)
	ds_write_b128 v0, v[71:74]
.LBB37_35:                              ;   in Loop: Header=BB37_17 Depth=1
	s_or_b64 exec, exec, s[38:39]
	v_mul_f32_e32 v1, 0x3fb8aa3b, v83
	v_fma_f32 v71, v83, s52, -v1
	v_rndne_f32_e32 v72, v1
	v_fmac_f32_e32 v71, 0x32a5705f, v83
	v_sub_f32_e32 v1, v1, v72
	v_add_f32_e32 v1, v1, v71
	v_cvt_i32_f32_e32 v71, v72
	v_exp_f32_e32 v1, v1
	v_mul_u32_u24_sdwa v83, v68, s59 dst_sel:DWORD dst_unused:UNUSED_PAD src0_sel:WORD_0 src1_sel:DWORD
	v_mul_u32_u24_sdwa v68, v68, s59 dst_sel:DWORD dst_unused:UNUSED_PAD src0_sel:WORD_1 src1_sel:DWORD
	v_mul_u32_u24_sdwa v0, v55, s59 dst_sel:DWORD dst_unused:UNUSED_PAD src0_sel:WORD_0 src1_sel:DWORD
	v_ldexp_f32 v1, v1, v71
	v_mul_f32_e32 v71, 0x3fb8aa3b, v84
	v_fma_f32 v72, v84, s52, -v71
	v_rndne_f32_e32 v73, v71
	v_fmac_f32_e32 v72, 0x32a5705f, v84
	v_sub_f32_e32 v71, v71, v73
	v_add_f32_e32 v71, v71, v72
	v_exp_f32_e32 v71, v71
	v_cvt_i32_f32_e32 v72, v73
	v_cndmask_b32_e64 v1, 0, v1, s[14:15]
	v_cndmask_b32_e64 v1, v75, v1, s[16:17]
	v_fmac_f32_e32 v121, v113, v1
	v_ldexp_f32 v71, v71, v72
	v_mul_f32_e32 v72, 0x3fb8aa3b, v70
	v_fma_f32 v73, v70, s52, -v72
	v_fmac_f32_e32 v73, 0x32a5705f, v70
	v_rndne_f32_e32 v70, v72
	v_sub_f32_e32 v72, v72, v70
	v_add_f32_e32 v72, v72, v73
	v_exp_f32_e32 v72, v72
	v_cvt_i32_f32_e32 v70, v70
	v_cndmask_b32_e64 v71, 0, v71, s[18:19]
	v_cndmask_b32_e64 v71, v75, v71, s[20:21]
	v_cvt_f16_f32_e32 v1, v1
	v_ldexp_f32 v70, v72, v70
	v_mul_f32_e32 v72, 0x3fb8aa3b, v105
	v_fma_f32 v73, v105, s52, -v72
	v_rndne_f32_e32 v74, v72
	v_fmac_f32_e32 v73, 0x32a5705f, v105
	v_sub_f32_e32 v72, v72, v74
	v_add_f32_e32 v72, v72, v73
	v_exp_f32_e32 v72, v72
	v_cvt_i32_f32_e32 v73, v74
	v_cndmask_b32_e64 v70, 0, v70, s[22:23]
	v_cndmask_b32_e64 v70, v75, v70, s[24:25]
	v_fmac_f32_e32 v120, v112, v71
	v_ldexp_f32 v72, v72, v73
	v_cndmask_b32_e64 v72, 0, v72, s[26:27]
	v_cndmask_b32_e64 v72, v75, v72, s[28:29]
	v_fmac_f32_e32 v122, v110, v72
	v_cvt_f16_f32_e32 v72, v72
	v_fmac_f32_e32 v123, v111, v70
	v_cvt_f16_f32_e32 v71, v71
	v_cvt_f16_f32_e32 v70, v70
	v_mul_u32_u24_e32 v72, 0x10001, v72
	v_mul_u32_u24_sdwa v73, v66, s59 dst_sel:DWORD dst_unused:UNUSED_PAD src0_sel:WORD_0 src1_sel:DWORD
	v_mul_u32_u24_e32 v1, 0x10001, v1
	v_mul_u32_u24_sdwa v66, v66, s59 dst_sel:DWORD dst_unused:UNUSED_PAD src0_sel:WORD_1 src1_sel:DWORD
	v_pk_mul_f16 v90, v90, v72
	v_pk_mul_f16 v72, v92, v72
	v_pk_mul_f16 v92, v34, v73
	v_mul_u32_u24_e32 v71, 0x10001, v71
	v_mul_u32_u24_e32 v70, 0x10001, v70
	v_mul_u32_u24_sdwa v74, v67, s59 dst_sel:DWORD dst_unused:UNUSED_PAD src0_sel:WORD_0 src1_sel:DWORD
	v_pk_mul_f16 v99, v99, v1
	v_pk_fma_f16 v1, v114, v1, v92
	v_pk_mul_f16 v92, v34, v66
	v_mul_u32_u24_sdwa v67, v67, s59 dst_sel:DWORD dst_unused:UNUSED_PAD src0_sel:WORD_1 src1_sel:DWORD
	v_pk_mul_f16 v91, v91, v71
	v_pk_mul_f16 v89, v89, v70
	v_pk_fma_f16 v71, v124, v71, v92
	v_pk_mul_f16 v92, v34, v74
	v_mul_u32_u24_sdwa v84, v69, s59 dst_sel:DWORD dst_unused:UNUSED_PAD src0_sel:WORD_0 src1_sel:DWORD
	v_mul_u32_u24_sdwa v69, v69, s59 dst_sel:DWORD dst_unused:UNUSED_PAD src0_sel:WORD_1 src1_sel:DWORD
	v_pk_fma_f16 v70, v109, v70, v92
	v_pk_fma_f16 v34, v34, v67, v90
	;; [unrolled: 1-line block ×6, first 2 shown]
	v_mul_u32_u24_sdwa v105, v62, s59 dst_sel:DWORD dst_unused:UNUSED_PAD src0_sel:WORD_0 src1_sel:DWORD
	v_mul_u32_u24_sdwa v62, v62, s59 dst_sel:DWORD dst_unused:UNUSED_PAD src0_sel:WORD_1 src1_sel:DWORD
	v_mul_u32_u24_sdwa v110, v63, s59 dst_sel:DWORD dst_unused:UNUSED_PAD src0_sel:WORD_0 src1_sel:DWORD
	v_mul_u32_u24_sdwa v63, v63, s59 dst_sel:DWORD dst_unused:UNUSED_PAD src0_sel:WORD_1 src1_sel:DWORD
	v_pk_fma_f16 v1, v36, v83, v1
	v_pk_fma_f16 v67, v36, v68, v71
	;; [unrolled: 1-line block ×8, first 2 shown]
	v_mul_u32_u24_sdwa v111, v64, s59 dst_sel:DWORD dst_unused:UNUSED_PAD src0_sel:WORD_0 src1_sel:DWORD
	v_mul_u32_u24_sdwa v64, v64, s59 dst_sel:DWORD dst_unused:UNUSED_PAD src0_sel:WORD_1 src1_sel:DWORD
	v_mul_u32_u24_sdwa v112, v65, s59 dst_sel:DWORD dst_unused:UNUSED_PAD src0_sel:WORD_0 src1_sel:DWORD
	v_mul_u32_u24_sdwa v65, v65, s59 dst_sel:DWORD dst_unused:UNUSED_PAD src0_sel:WORD_1 src1_sel:DWORD
	v_pk_fma_f16 v1, v30, v105, v1
	v_pk_fma_f16 v37, v30, v62, v67
	;; [unrolled: 1-line block ×8, first 2 shown]
	v_mul_u32_u24_sdwa v113, v54, s59 dst_sel:DWORD dst_unused:UNUSED_PAD src0_sel:WORD_0 src1_sel:DWORD
	v_mul_u32_u24_sdwa v54, v54, s59 dst_sel:DWORD dst_unused:UNUSED_PAD src0_sel:WORD_1 src1_sel:DWORD
	v_mul_u32_u24_sdwa v55, v55, s59 dst_sel:DWORD dst_unused:UNUSED_PAD src0_sel:WORD_1 src1_sel:DWORD
	v_pk_fma_f16 v1, v32, v111, v1
	v_pk_fma_f16 v35, v32, v64, v37
	v_pk_fma_f16 v37, v32, v112, v67
	v_pk_fma_f16 v30, v32, v65, v30
	v_pk_fma_f16 v32, v33, v111, v34
	v_pk_fma_f16 v34, v33, v64, v36
	v_pk_fma_f16 v36, v33, v112, v62
	v_pk_fma_f16 v31, v33, v65, v31
	v_mul_u32_u24_sdwa v98, v56, s59 dst_sel:DWORD dst_unused:UNUSED_PAD src0_sel:WORD_0 src1_sel:DWORD
	v_mul_u32_u24_sdwa v56, v56, s59 dst_sel:DWORD dst_unused:UNUSED_PAD src0_sel:WORD_1 src1_sel:DWORD
	v_mul_u32_u24_sdwa v103, v57, s59 dst_sel:DWORD dst_unused:UNUSED_PAD src0_sel:WORD_0 src1_sel:DWORD
	v_mul_u32_u24_sdwa v57, v57, s59 dst_sel:DWORD dst_unused:UNUSED_PAD src0_sel:WORD_1 src1_sel:DWORD
	v_pk_fma_f16 v1, v26, v113, v1
	v_pk_fma_f16 v33, v26, v54, v35
	v_pk_fma_f16 v35, v26, v0, v37
	v_pk_fma_f16 v26, v26, v55, v30
	v_pk_fma_f16 v30, v27, v113, v32
	v_pk_fma_f16 v32, v27, v54, v34
	v_pk_fma_f16 v0, v27, v0, v36
	v_pk_fma_f16 v27, v27, v55, v31
	v_mul_u32_u24_sdwa v104, v42, s59 dst_sel:DWORD dst_unused:UNUSED_PAD src0_sel:WORD_0 src1_sel:DWORD
	v_mul_u32_u24_sdwa v42, v42, s59 dst_sel:DWORD dst_unused:UNUSED_PAD src0_sel:WORD_1 src1_sel:DWORD
	v_mul_u32_u24_sdwa v106, v43, s59 dst_sel:DWORD dst_unused:UNUSED_PAD src0_sel:WORD_0 src1_sel:DWORD
	;; [unrolled: 12-line block ×11, first 2 shown]
	v_mul_u32_u24_sdwa v41, v41, s59 dst_sel:DWORD dst_unused:UNUSED_PAD src0_sel:WORD_1 src1_sel:DWORD
	v_pk_fma_f16 v1, v6, v85, v1
	v_pk_fma_f16 v13, v6, v38, v15
	;; [unrolled: 1-line block ×16, first 2 shown]
	s_waitcnt lgkmcnt(0)
	s_barrier
	ds_read_b128 v[6:9], v102 offset:128
	ds_read2_b64 v[10:13], v127 offset0:128 offset1:156
	ds_read_b128 v[14:17], v102 offset:144
	ds_read_b128 v[18:21], v102 offset:160
	;; [unrolled: 1-line block ×3, first 2 shown]
	s_waitcnt lgkmcnt(4)
	v_mul_u32_u24_sdwa v32, v6, s59 dst_sel:DWORD dst_unused:UNUSED_PAD src0_sel:WORD_0 src1_sel:DWORD
	v_mul_u32_u24_sdwa v6, v6, s59 dst_sel:DWORD dst_unused:UNUSED_PAD src0_sel:WORD_1 src1_sel:DWORD
	v_mul_u32_u24_sdwa v33, v7, s59 dst_sel:DWORD dst_unused:UNUSED_PAD src0_sel:WORD_0 src1_sel:DWORD
	v_mul_u32_u24_sdwa v7, v7, s59 dst_sel:DWORD dst_unused:UNUSED_PAD src0_sel:WORD_1 src1_sel:DWORD
	s_waitcnt lgkmcnt(3)
	v_pk_fma_f16 v1, v10, v32, v1
	v_pk_fma_f16 v26, v10, v6, v26
	;; [unrolled: 1-line block ×8, first 2 shown]
	v_mul_u32_u24_sdwa v11, v8, s59 dst_sel:DWORD dst_unused:UNUSED_PAD src0_sel:WORD_0 src1_sel:DWORD
	v_mul_u32_u24_sdwa v8, v8, s59 dst_sel:DWORD dst_unused:UNUSED_PAD src0_sel:WORD_1 src1_sel:DWORD
	v_mul_u32_u24_sdwa v29, v9, s59 dst_sel:DWORD dst_unused:UNUSED_PAD src0_sel:WORD_0 src1_sel:DWORD
	v_mul_u32_u24_sdwa v9, v9, s59 dst_sel:DWORD dst_unused:UNUSED_PAD src0_sel:WORD_1 src1_sel:DWORD
	v_pk_fma_f16 v1, v12, v11, v1
	v_pk_fma_f16 v26, v12, v8, v26
	;; [unrolled: 1-line block ×8, first 2 shown]
	ds_read2_b64 v[6:9], v127 offset0:184 offset1:212
	s_waitcnt lgkmcnt(3)
	v_mul_u32_u24_sdwa v28, v14, s59 dst_sel:DWORD dst_unused:UNUSED_PAD src0_sel:WORD_0 src1_sel:DWORD
	v_mul_u32_u24_sdwa v14, v14, s59 dst_sel:DWORD dst_unused:UNUSED_PAD src0_sel:WORD_1 src1_sel:DWORD
	v_mul_u32_u24_sdwa v29, v15, s59 dst_sel:DWORD dst_unused:UNUSED_PAD src0_sel:WORD_0 src1_sel:DWORD
	v_mul_u32_u24_sdwa v15, v15, s59 dst_sel:DWORD dst_unused:UNUSED_PAD src0_sel:WORD_1 src1_sel:DWORD
	s_waitcnt lgkmcnt(0)
	v_pk_fma_f16 v1, v6, v28, v1
	v_pk_fma_f16 v26, v6, v14, v26
	;; [unrolled: 1-line block ×8, first 2 shown]
	v_mul_u32_u24_sdwa v12, v16, s59 dst_sel:DWORD dst_unused:UNUSED_PAD src0_sel:WORD_0 src1_sel:DWORD
	v_mul_u32_u24_sdwa v13, v16, s59 dst_sel:DWORD dst_unused:UNUSED_PAD src0_sel:WORD_1 src1_sel:DWORD
	v_mul_u32_u24_sdwa v14, v17, s59 dst_sel:DWORD dst_unused:UNUSED_PAD src0_sel:WORD_0 src1_sel:DWORD
	v_mul_u32_u24_sdwa v15, v17, s59 dst_sel:DWORD dst_unused:UNUSED_PAD src0_sel:WORD_1 src1_sel:DWORD
	v_pk_fma_f16 v1, v8, v12, v1
	v_pk_fma_f16 v16, v8, v13, v26
	;; [unrolled: 1-line block ×8, first 2 shown]
	ds_read2_b64 v[6:9], v126 offset0:112 offset1:140
	v_mul_u32_u24_sdwa v13, v18, s59 dst_sel:DWORD dst_unused:UNUSED_PAD src0_sel:WORD_0 src1_sel:DWORD
	v_mul_u32_u24_sdwa v14, v18, s59 dst_sel:DWORD dst_unused:UNUSED_PAD src0_sel:WORD_1 src1_sel:DWORD
	v_mul_u32_u24_sdwa v15, v19, s59 dst_sel:DWORD dst_unused:UNUSED_PAD src0_sel:WORD_0 src1_sel:DWORD
	v_mul_u32_u24_sdwa v18, v19, s59 dst_sel:DWORD dst_unused:UNUSED_PAD src0_sel:WORD_1 src1_sel:DWORD
	s_waitcnt lgkmcnt(0)
	v_pk_fma_f16 v1, v6, v13, v1
	v_pk_fma_f16 v16, v6, v14, v16
	;; [unrolled: 1-line block ×8, first 2 shown]
	v_mul_u32_u24_sdwa v12, v20, s59 dst_sel:DWORD dst_unused:UNUSED_PAD src0_sel:WORD_0 src1_sel:DWORD
	v_mul_u32_u24_sdwa v13, v20, s59 dst_sel:DWORD dst_unused:UNUSED_PAD src0_sel:WORD_1 src1_sel:DWORD
	v_mul_u32_u24_sdwa v14, v21, s59 dst_sel:DWORD dst_unused:UNUSED_PAD src0_sel:WORD_0 src1_sel:DWORD
	v_mul_u32_u24_sdwa v15, v21, s59 dst_sel:DWORD dst_unused:UNUSED_PAD src0_sel:WORD_1 src1_sel:DWORD
	v_pk_fma_f16 v1, v8, v12, v1
	v_pk_fma_f16 v16, v8, v13, v16
	;; [unrolled: 1-line block ×8, first 2 shown]
	ds_read2_b64 v[6:9], v125 offset0:40 offset1:68
	v_mul_u32_u24_sdwa v13, v22, s59 dst_sel:DWORD dst_unused:UNUSED_PAD src0_sel:WORD_0 src1_sel:DWORD
	v_mul_u32_u24_sdwa v14, v22, s59 dst_sel:DWORD dst_unused:UNUSED_PAD src0_sel:WORD_1 src1_sel:DWORD
	v_mul_u32_u24_sdwa v15, v23, s59 dst_sel:DWORD dst_unused:UNUSED_PAD src0_sel:WORD_0 src1_sel:DWORD
	v_mul_u32_u24_sdwa v19, v23, s59 dst_sel:DWORD dst_unused:UNUSED_PAD src0_sel:WORD_1 src1_sel:DWORD
	s_waitcnt lgkmcnt(0)
	v_pk_fma_f16 v1, v6, v13, v1
	v_pk_fma_f16 v16, v6, v14, v16
	;; [unrolled: 1-line block ×6, first 2 shown]
	v_mul_u32_u24_sdwa v12, v24, s59 dst_sel:DWORD dst_unused:UNUSED_PAD src0_sel:WORD_0 src1_sel:DWORD
	v_mul_u32_u24_sdwa v13, v24, s59 dst_sel:DWORD dst_unused:UNUSED_PAD src0_sel:WORD_1 src1_sel:DWORD
	v_pk_fma_f16 v17, v6, v15, v17
	v_pk_fma_f16 v6, v6, v19, v18
	v_pk_fma_f16 v1, v8, v12, v1
	v_pk_fma_f16 v18, v8, v13, v16
	v_pk_fma_f16 v21, v9, v12, v10
	v_pk_fma_f16 v22, v9, v13, v11
	ds_read_b128 v[10:13], v102 offset:192
	v_mul_u32_u24_sdwa v14, v25, s59 dst_sel:DWORD dst_unused:UNUSED_PAD src0_sel:WORD_0 src1_sel:DWORD
	v_mul_u32_u24_sdwa v15, v25, s59 dst_sel:DWORD dst_unused:UNUSED_PAD src0_sel:WORD_1 src1_sel:DWORD
	v_pk_fma_f16 v19, v8, v14, v17
	v_pk_fma_f16 v20, v8, v15, v6
	;; [unrolled: 1-line block ×4, first 2 shown]
	ds_read2_b64 v[6:9], v125 offset0:96 offset1:124
	ds_read_b128 v[14:17], v102 offset:208
	s_waitcnt lgkmcnt(2)
	v_mul_u32_u24_sdwa v24, v10, s59 dst_sel:DWORD dst_unused:UNUSED_PAD src0_sel:WORD_0 src1_sel:DWORD
	v_mul_u32_u24_sdwa v10, v10, s59 dst_sel:DWORD dst_unused:UNUSED_PAD src0_sel:WORD_1 src1_sel:DWORD
	v_mul_u32_u24_sdwa v25, v11, s59 dst_sel:DWORD dst_unused:UNUSED_PAD src0_sel:WORD_0 src1_sel:DWORD
	v_mul_u32_u24_sdwa v11, v11, s59 dst_sel:DWORD dst_unused:UNUSED_PAD src0_sel:WORD_1 src1_sel:DWORD
	s_waitcnt lgkmcnt(1)
	v_pk_fma_f16 v1, v6, v24, v1
	v_pk_fma_f16 v18, v6, v10, v18
	;; [unrolled: 1-line block ×8, first 2 shown]
	v_mul_u32_u24_sdwa v11, v12, s59 dst_sel:DWORD dst_unused:UNUSED_PAD src0_sel:WORD_0 src1_sel:DWORD
	v_mul_u32_u24_sdwa v12, v12, s59 dst_sel:DWORD dst_unused:UNUSED_PAD src0_sel:WORD_1 src1_sel:DWORD
	v_mul_u32_u24_sdwa v21, v13, s59 dst_sel:DWORD dst_unused:UNUSED_PAD src0_sel:WORD_0 src1_sel:DWORD
	v_mul_u32_u24_sdwa v13, v13, s59 dst_sel:DWORD dst_unused:UNUSED_PAD src0_sel:WORD_1 src1_sel:DWORD
	v_pk_fma_f16 v1, v8, v11, v1
	v_pk_fma_f16 v18, v8, v12, v18
	v_pk_fma_f16 v19, v8, v21, v19
	v_pk_fma_f16 v22, v8, v13, v6
	v_pk_fma_f16 v11, v9, v11, v20
	v_pk_fma_f16 v10, v9, v12, v10
	v_pk_fma_f16 v0, v9, v21, v0
	v_pk_fma_f16 v12, v9, v13, v7
	ds_read2_b64 v[6:9], v125 offset0:152 offset1:180
	s_waitcnt lgkmcnt(1)
	v_mul_u32_u24_sdwa v13, v14, s59 dst_sel:DWORD dst_unused:UNUSED_PAD src0_sel:WORD_0 src1_sel:DWORD
	v_mul_u32_u24_sdwa v14, v14, s59 dst_sel:DWORD dst_unused:UNUSED_PAD src0_sel:WORD_1 src1_sel:DWORD
	v_mul_u32_u24_sdwa v20, v15, s59 dst_sel:DWORD dst_unused:UNUSED_PAD src0_sel:WORD_0 src1_sel:DWORD
	v_mul_u32_u24_sdwa v15, v15, s59 dst_sel:DWORD dst_unused:UNUSED_PAD src0_sel:WORD_1 src1_sel:DWORD
	s_waitcnt lgkmcnt(0)
	v_pk_fma_f16 v1, v6, v13, v1
	v_pk_fma_f16 v18, v6, v14, v18
	;; [unrolled: 1-line block ×6, first 2 shown]
	v_mul_u32_u24_sdwa v12, v16, s59 dst_sel:DWORD dst_unused:UNUSED_PAD src0_sel:WORD_0 src1_sel:DWORD
	v_mul_u32_u24_sdwa v13, v16, s59 dst_sel:DWORD dst_unused:UNUSED_PAD src0_sel:WORD_1 src1_sel:DWORD
	v_pk_fma_f16 v19, v6, v20, v19
	v_pk_fma_f16 v6, v6, v15, v22
	;; [unrolled: 1-line block ×6, first 2 shown]
	ds_read_b128 v[10:13], v102 offset:224
	v_mul_u32_u24_sdwa v14, v17, s59 dst_sel:DWORD dst_unused:UNUSED_PAD src0_sel:WORD_0 src1_sel:DWORD
	v_mul_u32_u24_sdwa v15, v17, s59 dst_sel:DWORD dst_unused:UNUSED_PAD src0_sel:WORD_1 src1_sel:DWORD
	v_pk_fma_f16 v19, v8, v14, v19
	v_pk_fma_f16 v20, v8, v15, v6
	;; [unrolled: 1-line block ×4, first 2 shown]
	ds_read2_b64 v[6:9], v125 offset0:208 offset1:236
	ds_read_b128 v[14:17], v102 offset:240
	s_waitcnt lgkmcnt(2)
	v_mul_u32_u24_sdwa v24, v10, s59 dst_sel:DWORD dst_unused:UNUSED_PAD src0_sel:WORD_0 src1_sel:DWORD
	v_mul_u32_u24_sdwa v10, v10, s59 dst_sel:DWORD dst_unused:UNUSED_PAD src0_sel:WORD_1 src1_sel:DWORD
	v_mul_u32_u24_sdwa v25, v11, s59 dst_sel:DWORD dst_unused:UNUSED_PAD src0_sel:WORD_0 src1_sel:DWORD
	v_mul_u32_u24_sdwa v11, v11, s59 dst_sel:DWORD dst_unused:UNUSED_PAD src0_sel:WORD_1 src1_sel:DWORD
	s_waitcnt lgkmcnt(1)
	v_pk_fma_f16 v1, v6, v24, v1
	v_pk_fma_f16 v18, v6, v10, v18
	;; [unrolled: 1-line block ×8, first 2 shown]
	v_mul_u32_u24_sdwa v11, v12, s59 dst_sel:DWORD dst_unused:UNUSED_PAD src0_sel:WORD_0 src1_sel:DWORD
	v_mul_u32_u24_sdwa v12, v12, s59 dst_sel:DWORD dst_unused:UNUSED_PAD src0_sel:WORD_1 src1_sel:DWORD
	v_mul_u32_u24_sdwa v21, v13, s59 dst_sel:DWORD dst_unused:UNUSED_PAD src0_sel:WORD_0 src1_sel:DWORD
	v_mul_u32_u24_sdwa v13, v13, s59 dst_sel:DWORD dst_unused:UNUSED_PAD src0_sel:WORD_1 src1_sel:DWORD
	v_pk_fma_f16 v1, v8, v11, v1
	v_pk_fma_f16 v18, v8, v12, v18
	;; [unrolled: 1-line block ×8, first 2 shown]
	ds_read2_b64 v[6:9], v115 offset0:8 offset1:36
	s_waitcnt lgkmcnt(0)
	s_barrier
	s_load_dword s14, s[36:37], 0x4
	v_mul_u32_u24_sdwa v13, v14, s59 dst_sel:DWORD dst_unused:UNUSED_PAD src0_sel:WORD_0 src1_sel:DWORD
	v_mul_u32_u24_sdwa v14, v14, s59 dst_sel:DWORD dst_unused:UNUSED_PAD src0_sel:WORD_1 src1_sel:DWORD
	v_mul_u32_u24_sdwa v20, v15, s59 dst_sel:DWORD dst_unused:UNUSED_PAD src0_sel:WORD_0 src1_sel:DWORD
	v_mul_u32_u24_sdwa v15, v15, s59 dst_sel:DWORD dst_unused:UNUSED_PAD src0_sel:WORD_1 src1_sel:DWORD
	s_waitcnt lgkmcnt(0)
	s_lshl_b32 s14, s14, 5
	v_pk_fma_f16 v1, v6, v13, v1
	v_pk_fma_f16 v18, v6, v14, v18
	;; [unrolled: 1-line block ×8, first 2 shown]
	v_mul_u32_u24_sdwa v12, v16, s59 dst_sel:DWORD dst_unused:UNUSED_PAD src0_sel:WORD_0 src1_sel:DWORD
	v_mul_u32_u24_sdwa v13, v16, s59 dst_sel:DWORD dst_unused:UNUSED_PAD src0_sel:WORD_1 src1_sel:DWORD
	v_mul_u32_u24_sdwa v14, v17, s59 dst_sel:DWORD dst_unused:UNUSED_PAD src0_sel:WORD_0 src1_sel:DWORD
	v_mul_u32_u24_sdwa v15, v17, s59 dst_sel:DWORD dst_unused:UNUSED_PAD src0_sel:WORD_1 src1_sel:DWORD
	s_add_i32 s6, s14, s6
	v_pk_fma_f16 v114, v8, v12, v1
	v_pk_fma_f16 v124, v8, v13, v18
	;; [unrolled: 1-line block ×7, first 2 shown]
	s_cmp_ge_i32 s6, s58
	v_pk_fma_f16 v92, v9, v15, v7
	s_cbranch_scc1 .LBB37_13
; %bb.36:                               ;   in Loop: Header=BB37_17 Depth=1
	v_mov_b32_e32 v8, v2
	v_mov_b32_e32 v9, v3
	;; [unrolled: 1-line block ×9, first 2 shown]
	s_branch .LBB37_17
.LBB37_37:                              ;   in Loop: Header=BB37_17 Depth=1
	buffer_load_dword v3, off, s[68:71], 0 offset:60 ; 4-byte Folded Reload
	buffer_load_dword v4, off, s[68:71], 0 offset:64 ; 4-byte Folded Reload
	v_mov_b32_e32 v2, s19
	buffer_load_dword v0, off, s[68:71], 0 offset:24 ; 4-byte Folded Reload
	s_waitcnt vmcnt(2)
	v_add_co_u32_e64 v1, s[14:15], s18, v3
	s_waitcnt vmcnt(1)
	v_addc_co_u32_e64 v2, s[14:15], v2, v4, s[14:15]
	global_load_dwordx4 v[1:4], v[1:2], off offset:96
	s_waitcnt vmcnt(0)
	ds_write_b128 v0, v[1:4]
	s_or_b64 exec, exec, s[16:17]
	s_and_saveexec_b64 s[16:17], s[2:3]
	s_cbranch_execz .LBB37_19
.LBB37_38:                              ;   in Loop: Header=BB37_17 Depth=1
	buffer_load_dword v2, off, s[68:71], 0 offset:68 ; 4-byte Folded Reload
	buffer_load_dword v3, off, s[68:71], 0 offset:72 ; 4-byte Folded Reload
	buffer_load_dword v0, off, s[68:71], 0 offset:4 ; 4-byte Folded Reload
	v_mov_b32_e32 v1, s19
	s_waitcnt vmcnt(2)
	v_add_co_u32_e64 v2, s[14:15], s18, v2
	s_waitcnt vmcnt(1)
	v_addc_co_u32_e64 v3, s[14:15], v1, v3, s[14:15]
	s_waitcnt vmcnt(0)
	v_add_co_u32_e64 v1, s[14:15], v2, v0
	v_addc_co_u32_e64 v2, s[14:15], 0, v3, s[14:15]
	global_load_dwordx4 v[1:4], v[1:2], off offset:64
	s_nop 0
	buffer_load_dword v0, off, s[68:71], 0 offset:28 ; 4-byte Folded Reload
	s_waitcnt vmcnt(0)
	ds_write_b128 v0, v[1:4]
	s_or_b64 exec, exec, s[16:17]
	s_and_saveexec_b64 s[16:17], s[30:31]
	s_cbranch_execnz .LBB37_20
	s_branch .LBB37_21
.LBB37_39:                              ;   in Loop: Header=BB37_17 Depth=1
	buffer_load_dword v10, off, s[68:71], 0 offset:60 ; 4-byte Folded Reload
	buffer_load_dword v11, off, s[68:71], 0 offset:64 ; 4-byte Folded Reload
	v_mov_b32_e32 v1, s19
	buffer_load_dword v0, off, s[68:71], 0 offset:24 ; 4-byte Folded Reload
	s_waitcnt vmcnt(2)
	v_add_co_u32_e64 v10, s[14:15], s18, v10
	s_waitcnt vmcnt(1)
	v_addc_co_u32_e64 v11, s[14:15], v1, v11, s[14:15]
	global_load_dwordx4 v[10:13], v[10:11], off offset:208
	s_waitcnt vmcnt(0)
	ds_write_b128 v0, v[10:13]
	s_or_b64 exec, exec, s[16:17]
	s_and_saveexec_b64 s[16:17], s[2:3]
	s_cbranch_execz .LBB37_23
.LBB37_40:                              ;   in Loop: Header=BB37_17 Depth=1
	buffer_load_dword v10, off, s[68:71], 0 offset:68 ; 4-byte Folded Reload
	buffer_load_dword v11, off, s[68:71], 0 offset:72 ; 4-byte Folded Reload
	;; [unrolled: 1-line block ×3, first 2 shown]
	v_mov_b32_e32 v1, s19
	s_waitcnt vmcnt(2)
	v_add_co_u32_e64 v10, s[14:15], s18, v10
	s_waitcnt vmcnt(1)
	v_addc_co_u32_e64 v1, s[14:15], v1, v11, s[14:15]
	s_waitcnt vmcnt(0)
	v_add_co_u32_e64 v10, s[14:15], v10, v0
	v_addc_co_u32_e64 v11, s[14:15], 0, v1, s[14:15]
	global_load_dwordx4 v[10:13], v[10:11], off offset:176
	s_nop 0
	buffer_load_dword v0, off, s[68:71], 0 offset:28 ; 4-byte Folded Reload
	s_waitcnt vmcnt(0)
	ds_write_b128 v0, v[10:13]
	s_or_b64 exec, exec, s[16:17]
	s_and_saveexec_b64 s[16:17], s[30:31]
	s_cbranch_execnz .LBB37_24
	s_branch .LBB37_25
.LBB37_41:                              ;   in Loop: Header=BB37_17 Depth=1
	buffer_load_dword v72, off, s[68:71], 0 offset:84 ; 4-byte Folded Reload
	buffer_load_dword v73, off, s[68:71], 0 offset:88 ; 4-byte Folded Reload
	buffer_load_dword v0, off, s[68:71], 0 offset:4 ; 4-byte Folded Reload
	v_mov_b32_e32 v71, s64
	s_waitcnt vmcnt(2)
	v_add_co_u32_e64 v72, s[34:35], s63, v72
	s_waitcnt vmcnt(1)
	v_addc_co_u32_e64 v73, s[34:35], v71, v73, s[34:35]
	s_waitcnt vmcnt(0)
	v_add_co_u32_e64 v71, s[34:35], v72, v0
	v_addc_co_u32_e64 v72, s[34:35], 0, v73, s[34:35]
	global_load_dwordx4 v[71:74], v[71:72], off offset:192
	s_nop 0
	buffer_load_dword v0, off, s[68:71], 0 offset:44 ; 4-byte Folded Reload
	s_waitcnt vmcnt(0)
	ds_write_b128 v0, v[71:74]
	s_or_b64 exec, exec, s[38:39]
	s_and_saveexec_b64 s[38:39], s[10:11]
	s_cbranch_execz .LBB37_33
.LBB37_42:                              ;   in Loop: Header=BB37_17 Depth=1
	buffer_load_dword v72, off, s[68:71], 0 offset:92 ; 4-byte Folded Reload
	buffer_load_dword v73, off, s[68:71], 0 offset:96 ; 4-byte Folded Reload
	;; [unrolled: 1-line block ×3, first 2 shown]
	v_mov_b32_e32 v71, s64
	s_waitcnt vmcnt(2)
	v_add_co_u32_e64 v72, s[34:35], s63, v72
	s_waitcnt vmcnt(1)
	v_addc_co_u32_e64 v73, s[34:35], v71, v73, s[34:35]
	s_waitcnt vmcnt(0)
	v_add_co_u32_e64 v71, s[34:35], v72, v0
	v_addc_co_u32_e64 v72, s[34:35], 0, v73, s[34:35]
	global_load_dwordx4 v[71:74], v[71:72], off offset:128
	s_nop 0
	buffer_load_dword v0, off, s[68:71], 0 offset:48 ; 4-byte Folded Reload
	s_waitcnt vmcnt(0)
	ds_write_b128 v0, v[71:74]
	s_or_b64 exec, exec, s[38:39]
	s_and_saveexec_b64 s[38:39], s[12:13]
	s_cbranch_execnz .LBB37_34
	s_branch .LBB37_35
.LBB37_43:
	v_mov_b32_e32 v13, v9
	v_mov_b32_e32 v12, v8
	;; [unrolled: 1-line block ×4, first 2 shown]
.LBB37_44:
	buffer_load_dword v22, off, s[68:71], 0 offset:112 ; 4-byte Folded Reload
	buffer_load_dword v0, off, s[68:71], 0 offset:108 ; 4-byte Folded Reload
	s_waitcnt vmcnt(0)
	v_lshlrev_b32_e32 v1, 1, v0
	v_add_u32_e32 v0, s33, v1
	v_cmp_gt_i32_e32 vcc, s54, v0
	s_and_saveexec_b64 s[2:3], vcc
	s_cbranch_execz .LBB37_71
; %bb.45:
	s_load_dword s6, s[4:5], 0xd4
	v_mov_b32_e32 v15, 1.0
	s_waitcnt lgkmcnt(0)
	s_cmp_lg_u32 s6, 1
	s_cselect_b64 s[2:3], -1, 0
	s_cmp_eq_u32 s6, 1
	s_cselect_b64 s[8:9], -1, 0
	s_and_b64 vcc, exec, s[2:3]
	s_cbranch_vccnz .LBB37_47
; %bb.46:
	v_div_scale_f32 v0, s[4:5], v6, v6, 1.0
	v_div_scale_f32 v14, vcc, 1.0, v6, 1.0
	v_rcp_f32_e32 v15, v0
	v_fma_f32 v16, -v0, v15, 1.0
	v_fmac_f32_e32 v15, v16, v15
	v_mul_f32_e32 v16, v14, v15
	v_fma_f32 v17, -v0, v16, v14
	v_fmac_f32_e32 v16, v17, v15
	v_fma_f32 v0, -v0, v16, v14
	v_div_fmas_f32 v0, v0, v15, v16
	v_div_fixup_f32 v15, v0, v6, 1.0
.LBB37_47:
	s_mul_i32 s10, s62, s54
	s_add_i32 s10, s10, s33
	v_add_u32_e32 v0, s10, v1
	v_mul_lo_u32 v1, v0, s55
	v_add_u32_e32 v0, s56, v1
	v_mul_lo_u32 v0, s6, v0
	v_add_u32_e32 v14, s7, v0
	s_and_saveexec_b64 s[4:5], s[0:1]
	s_cbranch_execz .LBB37_49
; %bb.48:
	buffer_load_dword v0, off, s[68:71], 0 offset:12 ; 4-byte Folded Reload
	s_movk_i32 s11, 0x70
	v_cvt_f32_f16_e32 v6, v99
	v_cvt_f32_f16_e32 v21, v114
	s_waitcnt vmcnt(0)
	v_lshlrev_b32_e32 v0, 2, v0
	v_mad_u64_u32 v[16:17], s[12:13], v14, s11, v[0:1]
	v_mov_b32_e32 v17, 0
	v_mov_b32_e32 v0, s49
	v_lshlrev_b64 v[16:17], 2, v[16:17]
	v_add_co_u32_e32 v19, vcc, s48, v16
	v_addc_co_u32_e32 v20, vcc, v0, v17, vcc
	v_cvt_f32_f16_sdwa v0, v99 dst_sel:DWORD dst_unused:UNUSED_PAD src0_sel:WORD_1
	v_cvt_f32_f16_sdwa v16, v114 dst_sel:DWORD dst_unused:UNUSED_PAD src0_sel:WORD_1
	v_mul_f32_e32 v17, v15, v6
	v_mul_f32_e32 v18, v15, v0
	;; [unrolled: 1-line block ×4, first 2 shown]
	global_store_dwordx4 v[19:20], v[15:18], off
.LBB37_49:
	s_or_b64 exec, exec, s[4:5]
	buffer_load_dword v0, off, s[68:71], 0 offset:12 ; 4-byte Folded Reload
	s_waitcnt vmcnt(0)
	v_cmp_eq_u32_e32 vcc, 0, v0
	s_and_b64 s[4:5], vcc, s[2:3]
	s_and_saveexec_b64 s[2:3], s[4:5]
	s_cbranch_execz .LBB37_51
; %bb.50:
	v_ashrrev_i32_e32 v15, 31, v14
	v_lshlrev_b64 v[14:15], 3, v[14:15]
	v_mov_b32_e32 v0, s51
	v_add_co_u32_e32 v14, vcc, s50, v14
	v_addc_co_u32_e32 v15, vcc, v0, v15, vcc
	v_mov_b32_e32 v16, v2
	v_mov_b32_e32 v17, v10
	global_store_dwordx2 v[14:15], v[16:17], off
.LBB37_51:
	s_or_b64 exec, exec, s[2:3]
	v_cndmask_b32_e64 v0, 0, 1, s[8:9]
	v_cmp_ne_u32_e64 s[2:3], 1, v0
	s_andn2_b64 vcc, exec, s[8:9]
	v_mov_b32_e32 v2, 1.0
	s_cbranch_vccnz .LBB37_53
; %bb.52:
	v_div_scale_f32 v0, s[8:9], v7, v7, 1.0
	v_div_scale_f32 v2, vcc, 1.0, v7, 1.0
	v_rcp_f32_e32 v6, v0
	v_fma_f32 v10, -v0, v6, 1.0
	v_fmac_f32_e32 v6, v10, v6
	v_mul_f32_e32 v10, v2, v6
	v_fma_f32 v14, -v0, v10, v2
	v_fmac_f32_e32 v10, v14, v6
	v_fma_f32 v0, -v0, v10, v2
	v_div_fmas_f32 v0, v0, v6, v10
	v_div_fixup_f32 v2, v0, v7, 1.0
.LBB37_53:
	s_add_i32 s11, s56, 1
	v_add_u32_e32 v0, s11, v1
	v_mul_lo_u32 v0, s6, v0
	v_add_u32_e32 v0, s7, v0
	s_and_saveexec_b64 s[8:9], s[0:1]
	s_cbranch_execz .LBB37_55
; %bb.54:
	buffer_load_dword v6, off, s[68:71], 0 offset:116 ; 4-byte Folded Reload
	buffer_load_dword v7, off, s[68:71], 0 offset:120 ; 4-byte Folded Reload
	s_movk_i32 s12, 0x70
	v_mov_b32_e32 v1, s49
	v_cvt_f32_f16_e32 v10, v91
	v_cvt_f32_f16_sdwa v14, v124 dst_sel:DWORD dst_unused:UNUSED_PAD src0_sel:WORD_1
	v_cvt_f32_f16_e32 v18, v124
	v_mul_f32_e32 v16, v2, v10
	v_mul_f32_e32 v15, v2, v14
	;; [unrolled: 1-line block ×3, first 2 shown]
	s_waitcnt vmcnt(0)
	v_mad_u64_u32 v[6:7], s[12:13], v0, s12, v[6:7]
	v_mov_b32_e32 v7, 0
	v_lshlrev_b64 v[6:7], 2, v[6:7]
	v_add_co_u32_e32 v6, vcc, s48, v6
	v_addc_co_u32_e32 v7, vcc, v1, v7, vcc
	v_cvt_f32_f16_sdwa v1, v91 dst_sel:DWORD dst_unused:UNUSED_PAD src0_sel:WORD_1
	v_mul_f32_e32 v17, v2, v1
	global_store_dwordx4 v[6:7], v[14:17], off
.LBB37_55:
	s_or_b64 exec, exec, s[8:9]
	s_and_saveexec_b64 s[8:9], s[4:5]
	s_cbranch_execz .LBB37_57
; %bb.56:
	v_ashrrev_i32_e32 v1, 31, v0
	v_lshlrev_b64 v[0:1], 3, v[0:1]
	v_mov_b32_e32 v2, s51
	v_add_co_u32_e32 v0, vcc, s50, v0
	v_addc_co_u32_e32 v1, vcc, v2, v1, vcc
	v_mov_b32_e32 v10, v3
	global_store_dwordx2 v[0:1], v[10:11], off
.LBB37_57:
	s_or_b64 exec, exec, s[8:9]
	v_add_u32_e32 v0, s33, v22
	v_cmp_gt_i32_e32 vcc, s54, v0
	s_and_b64 exec, exec, vcc
	s_cbranch_execz .LBB37_71
; %bb.58:
	s_and_b64 vcc, exec, s[2:3]
	v_mov_b32_e32 v1, 1.0
	s_cbranch_vccnz .LBB37_60
; %bb.59:
	v_div_scale_f32 v0, s[8:9], v8, v8, 1.0
	v_div_scale_f32 v1, vcc, 1.0, v8, 1.0
	v_rcp_f32_e32 v2, v0
	v_fma_f32 v3, -v0, v2, 1.0
	v_fmac_f32_e32 v2, v3, v2
	v_mul_f32_e32 v3, v1, v2
	v_fma_f32 v6, -v0, v3, v1
	v_fmac_f32_e32 v3, v6, v2
	v_fma_f32 v0, -v0, v3, v1
	v_div_fmas_f32 v0, v0, v2, v3
	v_div_fixup_f32 v1, v0, v8, 1.0
.LBB37_60:
	v_add_u32_e32 v0, s10, v22
	v_mul_lo_u32 v0, v0, s55
	v_add_u32_e32 v0, s56, v0
	v_mul_lo_u32 v0, s6, v0
	v_add_u32_e32 v0, s7, v0
	s_and_saveexec_b64 s[8:9], s[0:1]
	s_cbranch_execz .LBB37_62
; %bb.61:
	buffer_load_dword v2, off, s[68:71], 0 offset:116 ; 4-byte Folded Reload
	buffer_load_dword v3, off, s[68:71], 0 offset:120 ; 4-byte Folded Reload
	s_movk_i32 s12, 0x70
	v_mov_b32_e32 v6, s49
	v_cvt_f32_f16_e32 v7, v89
	v_cvt_f32_f16_sdwa v8, v109 dst_sel:DWORD dst_unused:UNUSED_PAD src0_sel:WORD_1
	v_cvt_f32_f16_e32 v10, v109
	v_mul_f32_e32 v16, v1, v7
	v_mul_f32_e32 v15, v1, v8
	;; [unrolled: 1-line block ×3, first 2 shown]
	s_waitcnt vmcnt(0)
	v_mad_u64_u32 v[2:3], s[12:13], v0, s12, v[2:3]
	v_mov_b32_e32 v3, 0
	v_lshlrev_b64 v[2:3], 2, v[2:3]
	v_add_co_u32_e32 v2, vcc, s48, v2
	v_addc_co_u32_e32 v3, vcc, v6, v3, vcc
	v_cvt_f32_f16_sdwa v6, v89 dst_sel:DWORD dst_unused:UNUSED_PAD src0_sel:WORD_1
	v_mul_f32_e32 v17, v1, v6
	global_store_dwordx4 v[2:3], v[14:17], off
.LBB37_62:
	s_or_b64 exec, exec, s[8:9]
	s_and_saveexec_b64 s[8:9], s[4:5]
	s_cbranch_execz .LBB37_64
; %bb.63:
	v_ashrrev_i32_e32 v1, 31, v0
	v_lshlrev_b64 v[0:1], 3, v[0:1]
	v_mov_b32_e32 v2, s51
	v_add_co_u32_e32 v0, vcc, s50, v0
	v_addc_co_u32_e32 v1, vcc, v2, v1, vcc
	v_mov_b32_e32 v11, v4
	global_store_dwordx2 v[0:1], v[11:12], off
.LBB37_64:
	s_or_b64 exec, exec, s[8:9]
	buffer_load_dword v0, off, s[68:71], 0 offset:124 ; 4-byte Folded Reload
	s_waitcnt vmcnt(0)
	v_lshrrev_b32_e32 v0, 1, v0
	v_add_u32_e32 v1, s33, v0
	v_cmp_gt_i32_e32 vcc, s54, v1
	s_and_b64 exec, exec, vcc
	s_cbranch_execz .LBB37_71
; %bb.65:
	s_and_b64 vcc, exec, s[2:3]
	v_mov_b32_e32 v1, 1.0
	s_cbranch_vccnz .LBB37_67
; %bb.66:
	v_div_scale_f32 v1, s[2:3], v9, v9, 1.0
	v_div_scale_f32 v2, vcc, 1.0, v9, 1.0
	v_rcp_f32_e32 v3, v1
	v_fma_f32 v4, -v1, v3, 1.0
	v_fmac_f32_e32 v3, v4, v3
	v_mul_f32_e32 v4, v2, v3
	v_fma_f32 v6, -v1, v4, v2
	v_fmac_f32_e32 v4, v6, v3
	v_fma_f32 v1, -v1, v4, v2
	v_div_fmas_f32 v1, v1, v3, v4
	v_div_fixup_f32 v1, v1, v9, 1.0
.LBB37_67:
	v_add_u32_e32 v0, s10, v0
	v_mul_lo_u32 v0, v0, s55
	v_add_u32_e32 v0, s11, v0
	v_mul_lo_u32 v0, s6, v0
	v_add_u32_e32 v0, s7, v0
	s_and_saveexec_b64 s[2:3], s[0:1]
	s_cbranch_execz .LBB37_69
; %bb.68:
	buffer_load_dword v2, off, s[68:71], 0 offset:116 ; 4-byte Folded Reload
	buffer_load_dword v3, off, s[68:71], 0 offset:120 ; 4-byte Folded Reload
	s_movk_i32 s0, 0x70
	v_mov_b32_e32 v4, s49
	v_cvt_f32_f16_sdwa v8, v90 dst_sel:DWORD dst_unused:UNUSED_PAD src0_sel:WORD_1
	v_cvt_f32_f16_e32 v9, v90
	s_waitcnt vmcnt(0)
	v_mad_u64_u32 v[2:3], s[0:1], v0, s0, v[2:3]
	v_mov_b32_e32 v3, 0
	v_lshlrev_b64 v[2:3], 2, v[2:3]
	v_add_co_u32_e32 v6, vcc, s48, v2
	v_addc_co_u32_e32 v7, vcc, v4, v3, vcc
	v_cvt_f32_f16_sdwa v2, v92 dst_sel:DWORD dst_unused:UNUSED_PAD src0_sel:WORD_1
	v_cvt_f32_f16_e32 v3, v92
	v_mul_f32_e32 v4, v1, v2
	v_mul_f32_e32 v3, v1, v3
	;; [unrolled: 1-line block ×4, first 2 shown]
	global_store_dwordx4 v[6:7], v[1:4], off
.LBB37_69:
	s_or_b64 exec, exec, s[2:3]
	s_and_b64 exec, exec, s[4:5]
	s_cbranch_execz .LBB37_71
; %bb.70:
	v_ashrrev_i32_e32 v1, 31, v0
	v_lshlrev_b64 v[0:1], 3, v[0:1]
	v_mov_b32_e32 v2, s51
	v_add_co_u32_e32 v0, vcc, s50, v0
	v_addc_co_u32_e32 v1, vcc, v2, v1, vcc
	v_mov_b32_e32 v12, v5
	global_store_dwordx2 v[0:1], v[12:13], off
.LBB37_71:
	s_endpgm
	.section	.rodata,"a",@progbits
	.p2align	6, 0x0
	.amdhsa_kernel _ZL15flash_attn_tileILi112ELi112ELi16ELi2ELb0EEvPKcS1_S1_S1_S1_PKiPfP15HIP_vector_typeIfLj2EEffffjfiS5_IjLj3EEiiiiiiiiiiiliiliiiiil
		.amdhsa_group_segment_fixed_size 13376
		.amdhsa_private_segment_fixed_size 132
		.amdhsa_kernarg_size 464
		.amdhsa_user_sgpr_count 6
		.amdhsa_user_sgpr_private_segment_buffer 1
		.amdhsa_user_sgpr_dispatch_ptr 0
		.amdhsa_user_sgpr_queue_ptr 0
		.amdhsa_user_sgpr_kernarg_segment_ptr 1
		.amdhsa_user_sgpr_dispatch_id 0
		.amdhsa_user_sgpr_flat_scratch_init 0
		.amdhsa_user_sgpr_private_segment_size 0
		.amdhsa_uses_dynamic_stack 0
		.amdhsa_system_sgpr_private_segment_wavefront_offset 1
		.amdhsa_system_sgpr_workgroup_id_x 1
		.amdhsa_system_sgpr_workgroup_id_y 1
		.amdhsa_system_sgpr_workgroup_id_z 1
		.amdhsa_system_sgpr_workgroup_info 0
		.amdhsa_system_vgpr_workitem_id 1
		.amdhsa_next_free_vgpr 128
		.amdhsa_next_free_sgpr 98
		.amdhsa_reserve_vcc 1
		.amdhsa_reserve_flat_scratch 0
		.amdhsa_float_round_mode_32 0
		.amdhsa_float_round_mode_16_64 0
		.amdhsa_float_denorm_mode_32 3
		.amdhsa_float_denorm_mode_16_64 3
		.amdhsa_dx10_clamp 1
		.amdhsa_ieee_mode 1
		.amdhsa_fp16_overflow 0
		.amdhsa_exception_fp_ieee_invalid_op 0
		.amdhsa_exception_fp_denorm_src 0
		.amdhsa_exception_fp_ieee_div_zero 0
		.amdhsa_exception_fp_ieee_overflow 0
		.amdhsa_exception_fp_ieee_underflow 0
		.amdhsa_exception_fp_ieee_inexact 0
		.amdhsa_exception_int_div_zero 0
	.end_amdhsa_kernel
	.section	.text._ZL15flash_attn_tileILi112ELi112ELi16ELi2ELb0EEvPKcS1_S1_S1_S1_PKiPfP15HIP_vector_typeIfLj2EEffffjfiS5_IjLj3EEiiiiiiiiiiiliiliiiiil,"axG",@progbits,_ZL15flash_attn_tileILi112ELi112ELi16ELi2ELb0EEvPKcS1_S1_S1_S1_PKiPfP15HIP_vector_typeIfLj2EEffffjfiS5_IjLj3EEiiiiiiiiiiiliiliiiiil,comdat
.Lfunc_end37:
	.size	_ZL15flash_attn_tileILi112ELi112ELi16ELi2ELb0EEvPKcS1_S1_S1_S1_PKiPfP15HIP_vector_typeIfLj2EEffffjfiS5_IjLj3EEiiiiiiiiiiiliiliiiiil, .Lfunc_end37-_ZL15flash_attn_tileILi112ELi112ELi16ELi2ELb0EEvPKcS1_S1_S1_S1_PKiPfP15HIP_vector_typeIfLj2EEffffjfiS5_IjLj3EEiiiiiiiiiiiliiliiiiil
                                        ; -- End function
	.set _ZL15flash_attn_tileILi112ELi112ELi16ELi2ELb0EEvPKcS1_S1_S1_S1_PKiPfP15HIP_vector_typeIfLj2EEffffjfiS5_IjLj3EEiiiiiiiiiiiliiliiiiil.num_vgpr, 128
	.set _ZL15flash_attn_tileILi112ELi112ELi16ELi2ELb0EEvPKcS1_S1_S1_S1_PKiPfP15HIP_vector_typeIfLj2EEffffjfiS5_IjLj3EEiiiiiiiiiiiliiliiiiil.num_agpr, 0
	.set _ZL15flash_attn_tileILi112ELi112ELi16ELi2ELb0EEvPKcS1_S1_S1_S1_PKiPfP15HIP_vector_typeIfLj2EEffffjfiS5_IjLj3EEiiiiiiiiiiiliiliiiiil.numbered_sgpr, 72
	.set _ZL15flash_attn_tileILi112ELi112ELi16ELi2ELb0EEvPKcS1_S1_S1_S1_PKiPfP15HIP_vector_typeIfLj2EEffffjfiS5_IjLj3EEiiiiiiiiiiiliiliiiiil.num_named_barrier, 0
	.set _ZL15flash_attn_tileILi112ELi112ELi16ELi2ELb0EEvPKcS1_S1_S1_S1_PKiPfP15HIP_vector_typeIfLj2EEffffjfiS5_IjLj3EEiiiiiiiiiiiliiliiiiil.private_seg_size, 132
	.set _ZL15flash_attn_tileILi112ELi112ELi16ELi2ELb0EEvPKcS1_S1_S1_S1_PKiPfP15HIP_vector_typeIfLj2EEffffjfiS5_IjLj3EEiiiiiiiiiiiliiliiiiil.uses_vcc, 1
	.set _ZL15flash_attn_tileILi112ELi112ELi16ELi2ELb0EEvPKcS1_S1_S1_S1_PKiPfP15HIP_vector_typeIfLj2EEffffjfiS5_IjLj3EEiiiiiiiiiiiliiliiiiil.uses_flat_scratch, 0
	.set _ZL15flash_attn_tileILi112ELi112ELi16ELi2ELb0EEvPKcS1_S1_S1_S1_PKiPfP15HIP_vector_typeIfLj2EEffffjfiS5_IjLj3EEiiiiiiiiiiiliiliiiiil.has_dyn_sized_stack, 0
	.set _ZL15flash_attn_tileILi112ELi112ELi16ELi2ELb0EEvPKcS1_S1_S1_S1_PKiPfP15HIP_vector_typeIfLj2EEffffjfiS5_IjLj3EEiiiiiiiiiiiliiliiiiil.has_recursion, 0
	.set _ZL15flash_attn_tileILi112ELi112ELi16ELi2ELb0EEvPKcS1_S1_S1_S1_PKiPfP15HIP_vector_typeIfLj2EEffffjfiS5_IjLj3EEiiiiiiiiiiiliiliiiiil.has_indirect_call, 0
	.section	.AMDGPU.csdata,"",@progbits
; Kernel info:
; codeLenInByte = 14504
; TotalNumSgprs: 76
; NumVgprs: 128
; ScratchSize: 132
; MemoryBound: 0
; FloatMode: 240
; IeeeMode: 1
; LDSByteSize: 13376 bytes/workgroup (compile time only)
; SGPRBlocks: 12
; VGPRBlocks: 31
; NumSGPRsForWavesPerEU: 102
; NumVGPRsForWavesPerEU: 128
; Occupancy: 2
; WaveLimiterHint : 1
; COMPUTE_PGM_RSRC2:SCRATCH_EN: 1
; COMPUTE_PGM_RSRC2:USER_SGPR: 6
; COMPUTE_PGM_RSRC2:TRAP_HANDLER: 0
; COMPUTE_PGM_RSRC2:TGID_X_EN: 1
; COMPUTE_PGM_RSRC2:TGID_Y_EN: 1
; COMPUTE_PGM_RSRC2:TGID_Z_EN: 1
; COMPUTE_PGM_RSRC2:TIDIG_COMP_CNT: 1
	.section	.text._ZL33flash_attn_stream_k_fixup_uniformILi112ELi16ELi2EEvPfPK15HIP_vector_typeIfLj2EEiiiiiiS1_IjLj3EES5_S5_,"axG",@progbits,_ZL33flash_attn_stream_k_fixup_uniformILi112ELi16ELi2EEvPfPK15HIP_vector_typeIfLj2EEiiiiiiS1_IjLj3EES5_S5_,comdat
	.globl	_ZL33flash_attn_stream_k_fixup_uniformILi112ELi16ELi2EEvPfPK15HIP_vector_typeIfLj2EEiiiiiiS1_IjLj3EES5_S5_ ; -- Begin function _ZL33flash_attn_stream_k_fixup_uniformILi112ELi16ELi2EEvPfPK15HIP_vector_typeIfLj2EEiiiiiiS1_IjLj3EES5_S5_
	.p2align	8
	.type	_ZL33flash_attn_stream_k_fixup_uniformILi112ELi16ELi2EEvPfPK15HIP_vector_typeIfLj2EEiiiiiiS1_IjLj3EES5_S5_,@function
_ZL33flash_attn_stream_k_fixup_uniformILi112ELi16ELi2EEvPfPK15HIP_vector_typeIfLj2EEiiiiiiS1_IjLj3EES5_S5_: ; @_ZL33flash_attn_stream_k_fixup_uniformILi112ELi16ELi2EEvPfPK15HIP_vector_typeIfLj2EEiiiiiiS1_IjLj3EES5_S5_
; %bb.0:
	s_load_dwordx8 s[12:19], s[4:5], 0x1c
	s_load_dwordx2 s[10:11], s[4:5], 0x10
	s_load_dwordx4 s[0:3], s[4:5], 0x3c
	s_waitcnt lgkmcnt(0)
	s_mul_hi_u32 s9, s15, s6
	s_add_i32 s9, s6, s9
	s_lshr_b32 s9, s9, s16
	s_mul_i32 s15, s9, s17
	s_sub_i32 s16, s6, s15
	s_mul_hi_u32 s15, s16, s18
	s_add_i32 s15, s16, s15
	s_lshr_b32 s15, s15, s19
	s_mul_i32 s0, s15, s0
	s_sub_i32 s0, s16, s0
	;; [unrolled: 5-line block ×3, first 2 shown]
	s_lshl_b32 s0, s16, 4
	s_lshl_b32 s17, s1, 1
	s_add_i32 s0, s0, s7
	s_cmp_lt_i32 s0, s10
	s_cselect_b64 s[0:1], -1, 0
	s_add_i32 s17, s17, s8
	s_cmp_lt_i32 s17, s13
	s_cselect_b64 s[2:3], -1, 0
	s_and_b64 s[0:1], s[0:1], s[2:3]
	s_andn2_b64 vcc, exec, s[0:1]
	s_cbranch_vccnz .LBB38_6
; %bb.1:
	s_load_dwordx4 s[0:3], s[4:5], 0x0
	s_mul_i32 s4, s9, s10
	s_mul_i32 s15, s15, s13
	s_add_i32 s4, s4, s7
	s_mul_i32 s4, s4, s11
	s_add_i32 s9, s17, s15
	;; [unrolled: 2-line block ×3, first 2 shown]
	s_mulk_i32 s5, 0x700
	s_mulk_i32 s4, 0x70
	s_add_i32 s4, s4, s5
	v_add_u32_e32 v1, s4, v0
	v_ashrrev_i32_e32 v2, 31, v1
	v_lshlrev_b64 v[1:2], 2, v[1:2]
	s_waitcnt lgkmcnt(0)
	v_mov_b32_e32 v3, s1
	v_add_co_u32_e32 v1, vcc, s0, v1
	v_addc_co_u32_e32 v2, vcc, v3, v2, vcc
	global_load_dword v8, v[1:2], off
	s_mul_i32 s9, s14, s6
	s_lshl_b32 s4, s7, 1
	s_add_i32 s11, s9, s14
	s_add_i32 s0, s4, s8
	s_lshl_b32 s1, s11, 5
	s_add_i32 s0, s0, s1
	s_sub_i32 s0, s0, 32
	s_ashr_i32 s1, s0, 31
	s_lshl_b64 s[0:1], s[0:1], 3
	s_add_u32 s0, s2, s0
	s_addc_u32 s1, s3, s1
	s_load_dword s5, s[0:1], 0x4
	s_add_i32 s10, s11, -2
	s_cmp_lt_i32 s10, s9
	s_cbranch_scc1 .LBB38_4
; %bb.2:
	s_lshl_b32 s16, s12, 7
	s_ashr_i32 s17, s16, 31
	s_lshl_b64 s[16:17], s[16:17], 2
	s_add_u32 s10, s2, s16
	s_addc_u32 s13, s3, s17
	s_add_i32 s6, s6, 1
	s_load_dword s0, s[0:1], 0x0
	s_mul_i32 s1, s14, s6
	s_lshl_b32 s6, s1, 5
	s_add_i32 s6, s8, s6
	s_lshl_b32 s12, s12, 5
	s_add_i32 s6, s6, s12
	s_add_i32 s6, s6, s4
	s_sub_i32 s4, s6, 64
	s_mulk_i32 s7, 0xe0
	s_mul_i32 s6, s8, 0x70
	s_mulk_i32 s1, 0xe00
	s_add_i32 s6, s6, s7
	s_add_i32 s6, s6, s1
	v_add_u32_e32 v0, s6, v0
	s_add_i32 s11, s11, -1
	v_add_u32_e32 v3, 0xffffe400, v0
	s_waitcnt lgkmcnt(0)
	v_mov_b32_e32 v7, s5
	v_mov_b32_e32 v6, s0
	;; [unrolled: 1-line block ×3, first 2 shown]
	s_mov_b32 s6, 0x3fb8aa3b
	s_mov_b32 s7, 0xc2ce8ed0
	;; [unrolled: 1-line block ×3, first 2 shown]
	v_mov_b32_e32 v5, 0x7f800000
	s_mov_b32 s12, 0xc1a00000
.LBB38_3:                               ; =>This Inner Loop Header: Depth=1
	v_ashrrev_i32_e32 v4, 31, v3
	v_lshlrev_b64 v[9:10], 2, v[3:4]
	s_ashr_i32 s5, s4, 31
	v_add_co_u32_e32 v9, vcc, s10, v9
	v_addc_co_u32_e32 v10, vcc, v0, v10, vcc
	global_load_dword v4, v[9:10], off
	s_lshl_b64 s[0:1], s[4:5], 3
	s_add_u32 s0, s2, s0
	s_addc_u32 s1, s3, s1
	s_load_dwordx2 s[14:15], s[0:1], 0x0
	s_waitcnt vmcnt(1)
	v_mov_b32_e32 v9, v8
	v_max_f32_e32 v8, v6, v6
	v_mov_b32_e32 v10, v7
	s_add_i32 s11, s11, -1
	s_waitcnt lgkmcnt(0)
	v_max_f32_e64 v7, s14, s14
	v_max_f32_e32 v7, v8, v7
	v_sub_f32_e32 v11, s14, v7
	v_sub_f32_e32 v8, v6, v7
	v_mul_f32_e32 v12, 0x3fb8aa3b, v11
	v_mov_b32_e32 v6, v7
	v_mul_f32_e32 v7, 0x3fb8aa3b, v8
	v_fma_f32 v15, v11, s6, -v12
	v_rndne_f32_e32 v16, v12
	v_fma_f32 v13, v8, s6, -v7
	v_rndne_f32_e32 v14, v7
	v_fmac_f32_e32 v15, 0x32a5705f, v11
	v_sub_f32_e32 v12, v12, v16
	v_fmac_f32_e32 v13, 0x32a5705f, v8
	v_sub_f32_e32 v7, v7, v14
	v_add_f32_e32 v12, v12, v15
	v_cvt_i32_f32_e32 v16, v16
	v_add_f32_e32 v7, v7, v13
	v_exp_f32_e32 v12, v12
	v_cvt_i32_f32_e32 v14, v14
	v_exp_f32_e32 v7, v7
	v_cmp_ngt_f32_e32 vcc, s7, v11
	v_ldexp_f32 v12, v12, v16
	v_cmp_ngt_f32_e64 s[0:1], s7, v8
	v_ldexp_f32 v7, v7, v14
	v_cndmask_b32_e32 v12, 0, v12, vcc
	v_cmp_nlt_f32_e32 vcc, s8, v11
	v_cndmask_b32_e64 v7, 0, v7, s[0:1]
	v_cmp_nlt_f32_e64 s[0:1], s8, v8
	v_cndmask_b32_e32 v12, v5, v12, vcc
	v_cmp_le_f32_e32 vcc, s12, v11
	v_cndmask_b32_e64 v7, v5, v7, s[0:1]
	v_cmp_le_f32_e64 s[0:1], s12, v8
	v_cndmask_b32_e32 v8, 0, v12, vcc
	s_sub_i32 s4, s4, 32
	v_cndmask_b32_e64 v11, 0, v7, s[0:1]
	v_mul_f32_e32 v7, s15, v8
	v_add_u32_e32 v3, 0xfffff200, v3
	s_cmp_le_i32 s11, s9
	v_fmac_f32_e32 v7, v10, v11
	s_waitcnt vmcnt(0)
	v_mul_f32_e32 v8, v4, v8
	v_fmac_f32_e32 v8, v9, v11
	s_cbranch_scc0 .LBB38_3
	s_branch .LBB38_5
.LBB38_4:
	s_waitcnt lgkmcnt(0)
	v_mov_b32_e32 v7, s5
.LBB38_5:
	s_waitcnt vmcnt(0)
	v_div_scale_f32 v0, s[0:1], v7, v7, v8
	v_div_scale_f32 v3, vcc, v8, v7, v8
	v_rcp_f32_e32 v4, v0
	v_fma_f32 v5, -v0, v4, 1.0
	v_fmac_f32_e32 v4, v5, v4
	v_mul_f32_e32 v5, v3, v4
	v_fma_f32 v6, -v0, v5, v3
	v_fmac_f32_e32 v5, v6, v4
	v_fma_f32 v0, -v0, v5, v3
	v_div_fmas_f32 v0, v0, v4, v5
	v_div_fixup_f32 v0, v0, v7, v8
	global_store_dword v[1:2], v0, off
.LBB38_6:
	s_endpgm
	.section	.rodata,"a",@progbits
	.p2align	6, 0x0
	.amdhsa_kernel _ZL33flash_attn_stream_k_fixup_uniformILi112ELi16ELi2EEvPfPK15HIP_vector_typeIfLj2EEiiiiiiS1_IjLj3EES5_S5_
		.amdhsa_group_segment_fixed_size 0
		.amdhsa_private_segment_fixed_size 0
		.amdhsa_kernarg_size 76
		.amdhsa_user_sgpr_count 6
		.amdhsa_user_sgpr_private_segment_buffer 1
		.amdhsa_user_sgpr_dispatch_ptr 0
		.amdhsa_user_sgpr_queue_ptr 0
		.amdhsa_user_sgpr_kernarg_segment_ptr 1
		.amdhsa_user_sgpr_dispatch_id 0
		.amdhsa_user_sgpr_flat_scratch_init 0
		.amdhsa_user_sgpr_private_segment_size 0
		.amdhsa_uses_dynamic_stack 0
		.amdhsa_system_sgpr_private_segment_wavefront_offset 0
		.amdhsa_system_sgpr_workgroup_id_x 1
		.amdhsa_system_sgpr_workgroup_id_y 1
		.amdhsa_system_sgpr_workgroup_id_z 1
		.amdhsa_system_sgpr_workgroup_info 0
		.amdhsa_system_vgpr_workitem_id 0
		.amdhsa_next_free_vgpr 17
		.amdhsa_next_free_sgpr 20
		.amdhsa_reserve_vcc 1
		.amdhsa_reserve_flat_scratch 0
		.amdhsa_float_round_mode_32 0
		.amdhsa_float_round_mode_16_64 0
		.amdhsa_float_denorm_mode_32 3
		.amdhsa_float_denorm_mode_16_64 3
		.amdhsa_dx10_clamp 1
		.amdhsa_ieee_mode 1
		.amdhsa_fp16_overflow 0
		.amdhsa_exception_fp_ieee_invalid_op 0
		.amdhsa_exception_fp_denorm_src 0
		.amdhsa_exception_fp_ieee_div_zero 0
		.amdhsa_exception_fp_ieee_overflow 0
		.amdhsa_exception_fp_ieee_underflow 0
		.amdhsa_exception_fp_ieee_inexact 0
		.amdhsa_exception_int_div_zero 0
	.end_amdhsa_kernel
	.section	.text._ZL33flash_attn_stream_k_fixup_uniformILi112ELi16ELi2EEvPfPK15HIP_vector_typeIfLj2EEiiiiiiS1_IjLj3EES5_S5_,"axG",@progbits,_ZL33flash_attn_stream_k_fixup_uniformILi112ELi16ELi2EEvPfPK15HIP_vector_typeIfLj2EEiiiiiiS1_IjLj3EES5_S5_,comdat
.Lfunc_end38:
	.size	_ZL33flash_attn_stream_k_fixup_uniformILi112ELi16ELi2EEvPfPK15HIP_vector_typeIfLj2EEiiiiiiS1_IjLj3EES5_S5_, .Lfunc_end38-_ZL33flash_attn_stream_k_fixup_uniformILi112ELi16ELi2EEvPfPK15HIP_vector_typeIfLj2EEiiiiiiS1_IjLj3EES5_S5_
                                        ; -- End function
	.set _ZL33flash_attn_stream_k_fixup_uniformILi112ELi16ELi2EEvPfPK15HIP_vector_typeIfLj2EEiiiiiiS1_IjLj3EES5_S5_.num_vgpr, 17
	.set _ZL33flash_attn_stream_k_fixup_uniformILi112ELi16ELi2EEvPfPK15HIP_vector_typeIfLj2EEiiiiiiS1_IjLj3EES5_S5_.num_agpr, 0
	.set _ZL33flash_attn_stream_k_fixup_uniformILi112ELi16ELi2EEvPfPK15HIP_vector_typeIfLj2EEiiiiiiS1_IjLj3EES5_S5_.numbered_sgpr, 20
	.set _ZL33flash_attn_stream_k_fixup_uniformILi112ELi16ELi2EEvPfPK15HIP_vector_typeIfLj2EEiiiiiiS1_IjLj3EES5_S5_.num_named_barrier, 0
	.set _ZL33flash_attn_stream_k_fixup_uniformILi112ELi16ELi2EEvPfPK15HIP_vector_typeIfLj2EEiiiiiiS1_IjLj3EES5_S5_.private_seg_size, 0
	.set _ZL33flash_attn_stream_k_fixup_uniformILi112ELi16ELi2EEvPfPK15HIP_vector_typeIfLj2EEiiiiiiS1_IjLj3EES5_S5_.uses_vcc, 1
	.set _ZL33flash_attn_stream_k_fixup_uniformILi112ELi16ELi2EEvPfPK15HIP_vector_typeIfLj2EEiiiiiiS1_IjLj3EES5_S5_.uses_flat_scratch, 0
	.set _ZL33flash_attn_stream_k_fixup_uniformILi112ELi16ELi2EEvPfPK15HIP_vector_typeIfLj2EEiiiiiiS1_IjLj3EES5_S5_.has_dyn_sized_stack, 0
	.set _ZL33flash_attn_stream_k_fixup_uniformILi112ELi16ELi2EEvPfPK15HIP_vector_typeIfLj2EEiiiiiiS1_IjLj3EES5_S5_.has_recursion, 0
	.set _ZL33flash_attn_stream_k_fixup_uniformILi112ELi16ELi2EEvPfPK15HIP_vector_typeIfLj2EEiiiiiiS1_IjLj3EES5_S5_.has_indirect_call, 0
	.section	.AMDGPU.csdata,"",@progbits
; Kernel info:
; codeLenInByte = 856
; TotalNumSgprs: 24
; NumVgprs: 17
; ScratchSize: 0
; MemoryBound: 0
; FloatMode: 240
; IeeeMode: 1
; LDSByteSize: 0 bytes/workgroup (compile time only)
; SGPRBlocks: 2
; VGPRBlocks: 4
; NumSGPRsForWavesPerEU: 24
; NumVGPRsForWavesPerEU: 17
; Occupancy: 10
; WaveLimiterHint : 0
; COMPUTE_PGM_RSRC2:SCRATCH_EN: 0
; COMPUTE_PGM_RSRC2:USER_SGPR: 6
; COMPUTE_PGM_RSRC2:TRAP_HANDLER: 0
; COMPUTE_PGM_RSRC2:TGID_X_EN: 1
; COMPUTE_PGM_RSRC2:TGID_Y_EN: 1
; COMPUTE_PGM_RSRC2:TGID_Z_EN: 1
; COMPUTE_PGM_RSRC2:TIDIG_COMP_CNT: 0
	.section	.text._ZL33flash_attn_stream_k_fixup_generalILi112ELi16ELi2EEvPfPK15HIP_vector_typeIfLj2EEiiiiS1_IjLj3EES5_S5_S5_,"axG",@progbits,_ZL33flash_attn_stream_k_fixup_generalILi112ELi16ELi2EEvPfPK15HIP_vector_typeIfLj2EEiiiiS1_IjLj3EES5_S5_S5_,comdat
	.globl	_ZL33flash_attn_stream_k_fixup_generalILi112ELi16ELi2EEvPfPK15HIP_vector_typeIfLj2EEiiiiS1_IjLj3EES5_S5_S5_ ; -- Begin function _ZL33flash_attn_stream_k_fixup_generalILi112ELi16ELi2EEvPfPK15HIP_vector_typeIfLj2EEiiiiS1_IjLj3EES5_S5_S5_
	.p2align	8
	.type	_ZL33flash_attn_stream_k_fixup_generalILi112ELi16ELi2EEvPfPK15HIP_vector_typeIfLj2EEiiiiS1_IjLj3EES5_S5_S5_,@function
_ZL33flash_attn_stream_k_fixup_generalILi112ELi16ELi2EEvPfPK15HIP_vector_typeIfLj2EEiiiiS1_IjLj3EES5_S5_S5_: ; @_ZL33flash_attn_stream_k_fixup_generalILi112ELi16ELi2EEvPfPK15HIP_vector_typeIfLj2EEiiiiS1_IjLj3EES5_S5_S5_
; %bb.0:
	s_load_dwordx4 s[0:3], s[4:5], 0x10
	s_load_dword s22, s[4:5], 0x50
	s_mov_b32 s12, 0
	s_waitcnt lgkmcnt(0)
	s_mul_hi_i32 s13, s3, s6
	s_cmp_lg_u64 s[12:13], 0
	s_mul_i32 s9, s3, s6
	s_cbranch_scc0 .LBB39_20
; %bb.1:
	s_add_u32 s10, s22, 0
	s_addc_u32 s11, 0, 0
	s_xor_b64 s[10:11], s[10:11], 0
	v_cvt_f32_u32_e32 v1, s10
	v_cvt_f32_u32_e32 v2, s11
	s_sub_u32 s12, 0, s10
	s_subb_u32 s18, 0, s11
	v_madmk_f32 v1, v2, 0x4f800000, v1
	v_rcp_f32_e32 v1, v1
	v_mul_f32_e32 v1, 0x5f7ffffc, v1
	v_mul_f32_e32 v2, 0x2f800000, v1
	v_trunc_f32_e32 v2, v2
	v_madmk_f32 v1, v2, 0xcf800000, v1
	v_cvt_u32_f32_e32 v2, v2
	v_cvt_u32_f32_e32 v1, v1
	v_readfirstlane_b32 s19, v2
	v_readfirstlane_b32 s14, v1
	s_mul_i32 s15, s12, s19
	s_mul_hi_u32 s21, s12, s14
	s_mul_i32 s20, s18, s14
	s_add_i32 s15, s21, s15
	s_add_i32 s15, s15, s20
	s_mul_i32 s23, s12, s14
	s_mul_i32 s21, s14, s15
	s_mul_hi_u32 s24, s14, s23
	s_mul_hi_u32 s20, s14, s15
	s_add_u32 s21, s24, s21
	s_addc_u32 s20, 0, s20
	s_mul_hi_u32 s25, s19, s23
	s_mul_i32 s23, s19, s23
	s_add_u32 s21, s21, s23
	s_mul_hi_u32 s24, s19, s15
	s_addc_u32 s20, s20, s25
	s_addc_u32 s21, s24, 0
	s_mul_i32 s15, s19, s15
	s_add_u32 s15, s20, s15
	s_addc_u32 s20, 0, s21
	s_add_u32 s21, s14, s15
	s_cselect_b64 s[14:15], -1, 0
	s_cmp_lg_u64 s[14:15], 0
	s_addc_u32 s19, s19, s20
	s_mul_i32 s14, s12, s19
	s_mul_hi_u32 s15, s12, s21
	s_add_i32 s14, s15, s14
	s_mul_i32 s18, s18, s21
	s_add_i32 s14, s14, s18
	s_mul_i32 s12, s12, s21
	s_mul_hi_u32 s18, s19, s12
	s_mul_i32 s20, s19, s12
	s_mul_i32 s24, s21, s14
	s_mul_hi_u32 s12, s21, s12
	s_mul_hi_u32 s23, s21, s14
	s_add_u32 s12, s12, s24
	s_addc_u32 s23, 0, s23
	s_add_u32 s12, s12, s20
	s_mul_hi_u32 s15, s19, s14
	s_addc_u32 s12, s23, s18
	s_addc_u32 s15, s15, 0
	s_mul_i32 s14, s19, s14
	s_add_u32 s12, s12, s14
	s_addc_u32 s18, 0, s15
	s_add_u32 s20, s21, s12
	s_cselect_b64 s[14:15], -1, 0
	s_cmp_lg_u64 s[14:15], 0
	s_addc_u32 s18, s19, s18
	s_ashr_i32 s14, s13, 31
	s_add_u32 s12, s9, s14
	s_mov_b32 s15, s14
	s_addc_u32 s13, s13, s14
	s_xor_b64 s[12:13], s[12:13], s[14:15]
	s_mul_i32 s21, s12, s18
	s_mul_hi_u32 s23, s12, s20
	s_mul_hi_u32 s19, s12, s18
	s_add_u32 s21, s23, s21
	s_addc_u32 s19, 0, s19
	s_mul_hi_u32 s24, s13, s20
	s_mul_i32 s20, s13, s20
	s_add_u32 s20, s21, s20
	s_mul_hi_u32 s23, s13, s18
	s_addc_u32 s19, s19, s24
	s_addc_u32 s20, s23, 0
	s_mul_i32 s18, s13, s18
	s_add_u32 s23, s19, s18
	s_addc_u32 s24, 0, s20
	s_mul_i32 s18, s10, s24
	s_mul_hi_u32 s19, s10, s23
	s_add_i32 s18, s19, s18
	s_mul_i32 s19, s11, s23
	s_add_i32 s25, s18, s19
	s_sub_i32 s20, s13, s25
	s_mul_i32 s18, s10, s23
	s_sub_u32 s12, s12, s18
	s_cselect_b64 s[18:19], -1, 0
	s_cmp_lg_u64 s[18:19], 0
	s_subb_u32 s26, s20, s11
	s_sub_u32 s27, s12, s10
	s_cselect_b64 s[20:21], -1, 0
	s_cmp_lg_u64 s[20:21], 0
	s_subb_u32 s20, s26, 0
	s_cmp_ge_u32 s20, s11
	s_cselect_b32 s21, -1, 0
	s_cmp_ge_u32 s27, s10
	s_cselect_b32 s26, -1, 0
	s_cmp_eq_u32 s20, s11
	s_cselect_b32 s20, s26, s21
	s_add_u32 s21, s23, 1
	s_addc_u32 s26, s24, 0
	s_add_u32 s27, s23, 2
	s_addc_u32 s28, s24, 0
	s_cmp_lg_u32 s20, 0
	s_cselect_b32 s20, s27, s21
	s_cselect_b32 s21, s28, s26
	s_cmp_lg_u64 s[18:19], 0
	s_subb_u32 s13, s13, s25
	s_cmp_ge_u32 s13, s11
	s_cselect_b32 s18, -1, 0
	s_cmp_ge_u32 s12, s10
	s_cselect_b32 s10, -1, 0
	s_cmp_eq_u32 s13, s11
	s_cselect_b32 s10, s10, s18
	s_cmp_lg_u32 s10, 0
	s_cselect_b32 s11, s21, s24
	s_cselect_b32 s10, s20, s23
	s_xor_b64 s[12:13], s[14:15], 0
	s_xor_b64 s[10:11], s[10:11], s[12:13]
	s_sub_u32 s10, s10, s12
	s_load_dwordx4 s[12:15], s[4:5], 0x44
	s_cbranch_execnz .LBB39_3
.LBB39_2:
	v_cvt_f32_u32_e32 v1, s22
	s_sub_i32 s10, 0, s22
	v_rcp_iflag_f32_e32 v1, v1
	v_mul_f32_e32 v1, 0x4f7ffffe, v1
	v_cvt_u32_f32_e32 v1, v1
	v_readfirstlane_b32 s11, v1
	s_mul_i32 s10, s10, s11
	s_mul_hi_u32 s10, s11, s10
	s_add_i32 s11, s11, s10
	s_mul_hi_u32 s10, s9, s11
	s_waitcnt lgkmcnt(0)
	s_mul_i32 s15, s10, s22
	s_sub_i32 s9, s9, s15
	s_add_i32 s11, s10, 1
	s_sub_i32 s15, s9, s22
	s_cmp_ge_u32 s9, s22
	s_cselect_b32 s10, s11, s10
	s_cselect_b32 s9, s15, s9
	s_add_i32 s11, s10, 1
	s_cmp_ge_u32 s9, s22
	s_cselect_b32 s10, s11, s10
.LBB39_3:
	s_add_i32 s9, s6, 1
	s_mul_hi_i32 s21, s3, s9
	s_mov_b32 s20, 0
	s_cmp_lg_u64 s[20:21], 0
	s_mul_i32 s9, s3, s9
	s_cbranch_scc0 .LBB39_21
; %bb.4:
	s_add_u32 s16, s22, 0
	s_addc_u32 s17, 0, 0
	s_xor_b64 s[18:19], s[16:17], 0
	v_cvt_f32_u32_e32 v1, s18
	v_cvt_f32_u32_e32 v2, s19
	s_sub_u32 s11, 0, s18
	s_waitcnt lgkmcnt(0)
	s_subb_u32 s15, 0, s19
	v_madmk_f32 v1, v2, 0x4f800000, v1
	v_rcp_f32_e32 v1, v1
	v_mul_f32_e32 v1, 0x5f7ffffc, v1
	v_mul_f32_e32 v2, 0x2f800000, v1
	v_trunc_f32_e32 v2, v2
	v_madmk_f32 v1, v2, 0xcf800000, v1
	v_cvt_u32_f32_e32 v2, v2
	v_cvt_u32_f32_e32 v1, v1
	v_readfirstlane_b32 s20, v2
	v_readfirstlane_b32 s23, v1
	s_mul_i32 s24, s11, s20
	s_mul_hi_u32 s26, s11, s23
	s_mul_i32 s25, s15, s23
	s_add_i32 s24, s26, s24
	s_add_i32 s24, s24, s25
	s_mul_i32 s27, s11, s23
	s_mul_i32 s26, s23, s24
	s_mul_hi_u32 s28, s23, s27
	s_mul_hi_u32 s25, s23, s24
	s_add_u32 s26, s28, s26
	s_addc_u32 s25, 0, s25
	s_mul_hi_u32 s29, s20, s27
	s_mul_i32 s27, s20, s27
	s_add_u32 s26, s26, s27
	s_mul_hi_u32 s28, s20, s24
	s_addc_u32 s25, s25, s29
	s_addc_u32 s26, s28, 0
	s_mul_i32 s24, s20, s24
	s_add_u32 s24, s25, s24
	s_addc_u32 s26, 0, s26
	s_add_u32 s23, s23, s24
	s_cselect_b64 s[24:25], -1, 0
	s_cmp_lg_u64 s[24:25], 0
	s_addc_u32 s20, s20, s26
	s_mul_i32 s24, s11, s20
	s_mul_hi_u32 s25, s11, s23
	s_add_i32 s24, s25, s24
	s_mul_i32 s15, s15, s23
	s_add_i32 s24, s24, s15
	s_mul_i32 s11, s11, s23
	s_mul_hi_u32 s25, s20, s11
	s_mul_i32 s26, s20, s11
	s_mul_i32 s28, s23, s24
	s_mul_hi_u32 s11, s23, s11
	s_mul_hi_u32 s27, s23, s24
	s_add_u32 s11, s11, s28
	s_addc_u32 s27, 0, s27
	s_add_u32 s11, s11, s26
	s_mul_hi_u32 s15, s20, s24
	s_addc_u32 s11, s27, s25
	s_addc_u32 s15, s15, 0
	s_mul_i32 s24, s20, s24
	s_add_u32 s11, s11, s24
	s_addc_u32 s15, 0, s15
	s_add_u32 s11, s23, s11
	s_cselect_b64 s[24:25], -1, 0
	s_cmp_lg_u64 s[24:25], 0
	s_addc_u32 s15, s20, s15
	s_ashr_i32 s24, s21, 31
	s_add_u32 s20, s9, s24
	s_mov_b32 s25, s24
	s_addc_u32 s21, s21, s24
	s_xor_b64 s[20:21], s[20:21], s[24:25]
	s_mul_i32 s26, s20, s15
	s_mul_hi_u32 s27, s20, s11
	s_mul_hi_u32 s23, s20, s15
	s_add_u32 s26, s27, s26
	s_addc_u32 s23, 0, s23
	s_mul_hi_u32 s28, s21, s11
	s_mul_i32 s11, s21, s11
	s_add_u32 s11, s26, s11
	s_mul_hi_u32 s27, s21, s15
	s_addc_u32 s11, s23, s28
	s_addc_u32 s23, s27, 0
	s_mul_i32 s15, s21, s15
	s_add_u32 s11, s11, s15
	s_addc_u32 s15, 0, s23
	s_mul_i32 s23, s18, s15
	s_mul_hi_u32 s26, s18, s11
	s_add_i32 s23, s26, s23
	s_mul_i32 s26, s19, s11
	s_add_i32 s23, s23, s26
	s_sub_i32 s28, s21, s23
	s_mul_i32 s26, s18, s11
	s_sub_u32 s20, s20, s26
	s_cselect_b64 s[26:27], -1, 0
	s_cmp_lg_u64 s[26:27], 0
	s_subb_u32 s30, s28, s19
	s_sub_u32 s31, s20, s18
	s_cselect_b64 s[28:29], -1, 0
	s_cmp_lg_u64 s[28:29], 0
	s_subb_u32 s28, s30, 0
	s_cmp_ge_u32 s28, s19
	s_cselect_b32 s29, -1, 0
	s_cmp_ge_u32 s31, s18
	s_cselect_b32 s30, -1, 0
	s_cmp_eq_u32 s28, s19
	s_cselect_b32 s28, s30, s29
	s_add_u32 s29, s11, 1
	s_addc_u32 s30, s15, 0
	s_add_u32 s31, s11, 2
	s_addc_u32 s33, s15, 0
	s_cmp_lg_u32 s28, 0
	s_cselect_b32 s28, s31, s29
	s_cselect_b32 s29, s33, s30
	s_cmp_lg_u64 s[26:27], 0
	s_subb_u32 s21, s21, s23
	s_cmp_ge_u32 s21, s19
	s_cselect_b32 s23, -1, 0
	s_cmp_ge_u32 s20, s18
	s_cselect_b32 s18, -1, 0
	s_cmp_eq_u32 s21, s19
	s_cselect_b32 s18, s18, s23
	s_cmp_lg_u32 s18, 0
	s_cselect_b32 s19, s29, s15
	s_cselect_b32 s18, s28, s11
	s_xor_b64 s[20:21], s[24:25], 0
	s_xor_b64 s[18:19], s[18:19], s[20:21]
	s_sub_u32 s18, s18, s20
	s_cbranch_execnz .LBB39_6
.LBB39_5:
	v_cvt_f32_u32_e32 v1, s22
	s_sub_i32 s11, 0, s22
	v_rcp_iflag_f32_e32 v1, v1
	v_mul_f32_e32 v1, 0x4f7ffffe, v1
	v_cvt_u32_f32_e32 v1, v1
	s_waitcnt lgkmcnt(0)
	v_readfirstlane_b32 s15, v1
	s_mul_i32 s11, s11, s15
	s_mul_hi_u32 s11, s15, s11
	s_add_i32 s15, s15, s11
	s_mul_hi_u32 s11, s9, s15
	s_mul_i32 s16, s11, s22
	s_sub_i32 s9, s9, s16
	s_add_i32 s15, s11, 1
	s_sub_i32 s16, s9, s22
	s_cmp_ge_u32 s9, s22
	s_cselect_b32 s11, s15, s11
	s_cselect_b32 s9, s16, s9
	s_add_i32 s15, s11, 1
	s_cmp_ge_u32 s9, s22
	s_cselect_b32 s18, s15, s11
.LBB39_6:
	s_cmp_eq_u32 s10, s18
	s_waitcnt lgkmcnt(0)
	s_mul_hi_u32 s9, s10, s12
	s_cselect_b64 s[16:17], -1, 0
	s_add_i32 s9, s9, s10
	s_lshr_b32 s11, s9, s13
	s_mul_i32 s9, s11, s14
	s_cmp_eq_u32 s9, s10
	s_mul_hi_u32 s9, s18, s12
	s_cselect_b64 s[20:21], -1, 0
	s_add_i32 s9, s9, s18
	s_lshr_b32 s9, s9, s13
	s_cmp_eq_u32 s11, s9
	s_mul_i32 s9, s9, s14
	s_cselect_b64 s[24:25], -1, 0
	s_cmp_lg_u32 s9, s18
	s_cselect_b64 s[18:19], -1, 0
	s_and_b64 s[18:19], s[24:25], s[18:19]
	s_or_b64 s[16:17], s[16:17], s[20:21]
	s_or_b64 s[16:17], s[16:17], s[18:19]
	s_and_b64 vcc, exec, s[16:17]
	s_cbranch_vccnz .LBB39_23
; %bb.7:
	s_load_dwordx8 s[24:31], s[4:5], 0x20
	s_load_dword s15, s[4:5], 0x40
	s_waitcnt lgkmcnt(0)
	s_mul_hi_u32 s9, s10, s24
	s_add_i32 s9, s9, s10
	s_lshr_b32 s9, s9, s25
	s_mul_i32 s16, s9, s26
	s_sub_i32 s16, s10, s16
	s_mul_hi_u32 s17, s16, s27
	s_add_i32 s17, s16, s17
	s_lshr_b32 s23, s17, s28
	s_mul_i32 s17, s23, s29
	s_sub_i32 s16, s16, s17
	;; [unrolled: 5-line block ×3, first 2 shown]
	s_mul_hi_u32 s16, s15, s12
	s_add_i32 s15, s15, s16
	s_lshr_b32 s24, s15, s13
	s_lshl_b32 s15, s24, 4
	s_lshl_b32 s25, s17, 1
	s_add_i32 s15, s15, s7
	s_cmp_lt_i32 s15, s0
	s_cselect_b64 s[16:17], -1, 0
	s_add_i32 s25, s25, s8
	s_cmp_lt_i32 s25, s2
	s_cselect_b64 s[18:19], -1, 0
	s_and_b64 s[16:17], s[16:17], s[18:19]
	s_andn2_b64 vcc, exec, s[16:17]
	s_cbranch_vccnz .LBB39_23
; %bb.8:
	s_load_dwordx4 s[16:19], s[4:5], 0x0
	s_mov_b32 s4, 0
	s_lshl_b32 s15, s7, 1
	s_lshl_b32 s20, s22, 7
	s_mov_b32 s21, s4
	s_add_i32 s15, s15, s8
	s_lshl_b64 s[20:21], s[20:21], 2
	s_waitcnt lgkmcnt(0)
	s_add_u32 s20, s18, s20
	s_mul_i32 s0, s9, s0
	s_addc_u32 s21, s19, s21
	s_mul_i32 s23, s23, s2
	s_add_i32 s0, s0, s7
	s_mul_i32 s2, s1, s24
	s_mul_i32 s0, s0, s1
	s_add_i32 s1, s25, s23
	s_add_i32 s0, s1, s0
	s_mulk_i32 s2, 0x700
	s_mulk_i32 s0, 0x70
	s_add_i32 s2, s2, s0
	v_add_u32_e32 v1, s2, v0
	v_ashrrev_i32_e32 v2, 31, v1
	v_lshlrev_b64 v[1:2], 2, v[1:2]
	v_mov_b32_e32 v3, s17
	v_add_co_u32_e32 v1, vcc, s16, v1
	v_addc_co_u32_e32 v2, vcc, v3, v2, vcc
	global_load_dword v3, v[1:2], off
	v_cvt_f32_u32_e32 v4, s22
	s_lshl_b32 s0, s6, 5
	s_add_i32 s0, s15, s0
	s_ashr_i32 s1, s0, 31
	s_lshl_b64 s[0:1], s[0:1], 3
	v_rcp_iflag_f32_e32 v4, v4
	s_add_u32 s0, s18, s0
	s_addc_u32 s1, s19, s1
	s_load_dwordx2 s[0:1], s[0:1], 0x0
	v_mul_f32_e32 v4, 0x4f7ffffe, v4
	v_cvt_u32_f32_e32 v4, v4
	s_mul_i32 s2, s15, 0x70
	s_add_i32 s24, s6, -1
	v_add_u32_e32 v0, s2, v0
	s_waitcnt lgkmcnt(0)
	v_mov_b32_e32 v6, s1
	v_mov_b32_e32 v7, s0
	s_mov_b32 s2, 0x3fb8aa3b
	s_mov_b32 s16, 0xc2ce8ed0
	;; [unrolled: 1-line block ×4, first 2 shown]
	v_mov_b32_e32 v5, 0x7f800000
	s_mul_hi_i32 s5, s24, s3
	s_cmp_lg_u64 s[4:5], 0
	s_mul_i32 s8, s24, s3
	s_cbranch_scc0 .LBB39_19
.LBB39_9:
	s_add_u32 s0, s22, 0
	s_addc_u32 s1, 0, 0
	s_xor_b64 s[0:1], s[0:1], 0
	v_cvt_f32_u32_e32 v8, s0
	v_cvt_f32_u32_e32 v9, s1
	s_sub_u32 s9, 0, s0
	s_subb_u32 s25, 0, s1
	v_mac_f32_e32 v8, 0x4f800000, v9
	v_rcp_f32_e32 v8, v8
	v_mul_f32_e32 v8, 0x5f7ffffc, v8
	v_mul_f32_e32 v9, 0x2f800000, v8
	v_trunc_f32_e32 v9, v9
	v_mac_f32_e32 v8, 0xcf800000, v9
	v_cvt_u32_f32_e32 v9, v9
	v_cvt_u32_f32_e32 v8, v8
	v_readfirstlane_b32 s26, v9
	v_readfirstlane_b32 s6, v8
	s_mul_i32 s7, s9, s26
	s_mul_hi_u32 s28, s9, s6
	s_mul_i32 s27, s25, s6
	s_add_i32 s7, s28, s7
	s_mul_i32 s29, s9, s6
	s_add_i32 s7, s7, s27
	s_mul_i32 s28, s6, s7
	s_mul_hi_u32 s30, s6, s29
	s_mul_hi_u32 s27, s6, s7
	s_add_u32 s28, s30, s28
	s_addc_u32 s27, 0, s27
	s_mul_hi_u32 s31, s26, s29
	s_mul_i32 s29, s26, s29
	s_add_u32 s28, s28, s29
	s_mul_hi_u32 s30, s26, s7
	s_addc_u32 s27, s27, s31
	s_addc_u32 s28, s30, 0
	s_mul_i32 s7, s26, s7
	s_add_u32 s7, s27, s7
	s_addc_u32 s27, 0, s28
	s_add_u32 s28, s6, s7
	s_cselect_b64 s[6:7], -1, 0
	s_cmp_lg_u64 s[6:7], 0
	s_addc_u32 s26, s26, s27
	s_mul_i32 s6, s9, s26
	s_mul_hi_u32 s7, s9, s28
	s_add_i32 s6, s7, s6
	s_mul_i32 s25, s25, s28
	s_add_i32 s6, s6, s25
	s_mul_i32 s9, s9, s28
	s_mul_hi_u32 s25, s26, s9
	s_mul_i32 s27, s26, s9
	s_mul_i32 s30, s28, s6
	s_mul_hi_u32 s9, s28, s9
	s_mul_hi_u32 s29, s28, s6
	s_add_u32 s9, s9, s30
	s_addc_u32 s29, 0, s29
	s_add_u32 s9, s9, s27
	s_mul_hi_u32 s7, s26, s6
	s_addc_u32 s9, s29, s25
	s_addc_u32 s7, s7, 0
	s_mul_i32 s6, s26, s6
	s_add_u32 s6, s9, s6
	s_addc_u32 s9, 0, s7
	s_add_u32 s25, s28, s6
	s_cselect_b64 s[6:7], -1, 0
	s_cmp_lg_u64 s[6:7], 0
	s_addc_u32 s9, s26, s9
	s_ashr_i32 s6, s5, 31
	s_add_u32 s26, s8, s6
	s_mov_b32 s7, s6
	s_addc_u32 s27, s5, s6
	s_xor_b64 s[26:27], s[26:27], s[6:7]
	s_mul_i32 s28, s26, s9
	s_mul_hi_u32 s29, s26, s25
	s_mul_hi_u32 s5, s26, s9
	s_add_u32 s28, s29, s28
	s_addc_u32 s5, 0, s5
	s_mul_hi_u32 s30, s27, s25
	s_mul_i32 s25, s27, s25
	s_add_u32 s25, s28, s25
	s_mul_hi_u32 s29, s27, s9
	s_addc_u32 s5, s5, s30
	s_addc_u32 s25, s29, 0
	s_mul_i32 s9, s27, s9
	s_add_u32 s5, s5, s9
	s_addc_u32 s9, 0, s25
	s_mul_i32 s25, s0, s9
	s_mul_hi_u32 s28, s0, s5
	s_add_i32 s25, s28, s25
	s_mul_i32 s28, s1, s5
	s_add_i32 s25, s25, s28
	s_sub_i32 s30, s27, s25
	s_mul_i32 s28, s0, s5
	s_sub_u32 s26, s26, s28
	s_cselect_b64 s[28:29], -1, 0
	s_cmp_lg_u64 s[28:29], 0
	s_subb_u32 s33, s30, s1
	s_sub_u32 s34, s26, s0
	s_cselect_b64 s[30:31], -1, 0
	s_cmp_lg_u64 s[30:31], 0
	s_subb_u32 s30, s33, 0
	s_cmp_ge_u32 s30, s1
	s_cselect_b32 s31, -1, 0
	s_cmp_ge_u32 s34, s0
	s_cselect_b32 s33, -1, 0
	s_cmp_eq_u32 s30, s1
	s_cselect_b32 s30, s33, s31
	s_add_u32 s31, s5, 1
	s_addc_u32 s33, s9, 0
	s_add_u32 s34, s5, 2
	s_addc_u32 s35, s9, 0
	s_cmp_lg_u32 s30, 0
	s_cselect_b32 s30, s34, s31
	s_cselect_b32 s31, s35, s33
	s_cmp_lg_u64 s[28:29], 0
	s_subb_u32 s25, s27, s25
	s_cmp_ge_u32 s25, s1
	s_cselect_b32 s27, -1, 0
	s_cmp_ge_u32 s26, s0
	s_cselect_b32 s0, -1, 0
	s_cmp_eq_u32 s25, s1
	s_cselect_b32 s0, s0, s27
	s_cmp_lg_u32 s0, 0
	s_cselect_b32 s1, s31, s9
	s_cselect_b32 s0, s30, s5
	s_xor_b64 s[6:7], s[6:7], 0
	s_xor_b64 s[0:1], s[0:1], s[6:7]
	s_sub_u32 s6, s0, s6
	s_cbranch_execnz .LBB39_11
.LBB39_10:
	s_sub_i32 s0, 0, s22
	v_readfirstlane_b32 s1, v4
	s_mul_i32 s0, s0, s1
	s_mul_hi_u32 s0, s1, s0
	s_add_i32 s1, s1, s0
	s_mul_hi_u32 s0, s8, s1
	s_mul_i32 s5, s0, s22
	s_sub_i32 s5, s8, s5
	s_add_i32 s1, s0, 1
	s_sub_i32 s6, s5, s22
	s_cmp_ge_u32 s5, s22
	s_cselect_b32 s0, s1, s0
	s_cselect_b32 s5, s6, s5
	s_add_i32 s1, s0, 1
	s_cmp_ge_u32 s5, s22
	s_cselect_b32 s6, s1, s0
.LBB39_11:
	s_cmp_lg_u32 s10, s6
	s_mov_b64 s[8:9], -1
                                        ; implicit-def: $sgpr0_sgpr1
                                        ; implicit-def: $vgpr10
                                        ; implicit-def: $vgpr8
                                        ; implicit-def: $vgpr9
                                        ; implicit-def: $sgpr5
                                        ; implicit-def: $sgpr7
	s_cbranch_scc1 .LBB39_14
; %bb.12:
	s_andn2_b64 vcc, exec, s[8:9]
	s_cbranch_vccz .LBB39_17
.LBB39_13:
	s_andn2_b64 vcc, exec, s[0:1]
	s_cbranch_vccnz .LBB39_18
	s_branch .LBB39_22
.LBB39_14:
	s_add_i32 s0, s24, s22
	s_lshl_b32 s0, s0, 5
	s_add_i32 s0, s0, s15
	s_mov_b32 s1, s4
	s_lshl_b64 s[0:1], s[0:1], 3
	s_add_u32 s8, s18, s0
	s_mul_hi_u32 s0, s6, s12
	s_addc_u32 s9, s19, s1
	s_add_i32 s0, s0, s6
	s_lshr_b32 s5, s0, s13
	s_mul_i32 s0, s5, s14
	s_cmp_eq_u32 s0, s6
	s_cselect_b64 s[0:1], -1, 0
	s_cmp_lt_u32 s5, s11
	s_cselect_b64 s[26:27], -1, 0
	s_or_b64 s[26:27], s[26:27], s[0:1]
	s_mov_b64 s[0:1], -1
	s_and_b64 vcc, exec, s[26:27]
	s_mov_b32 s5, s24
	s_mov_b32 s7, s10
	s_cbranch_vccnz .LBB39_16
; %bb.15:
	s_add_i32 s5, s24, -1
	s_mov_b64 s[0:1], 0
	s_mov_b32 s7, s6
.LBB39_16:
	s_mul_i32 s6, s24, 0xe00
	v_add_u32_e32 v8, s6, v0
	v_ashrrev_i32_e32 v9, 31, v8
	v_lshlrev_b64 v[8:9], 2, v[8:9]
	v_mov_b32_e32 v10, s21
	v_add_co_u32_e32 v8, vcc, s20, v8
	v_addc_co_u32_e32 v9, vcc, v10, v9, vcc
	global_load_dword v10, v[8:9], off
	s_load_dwordx2 s[8:9], s[8:9], 0x0
	v_max_f32_e32 v8, v7, v7
	s_waitcnt lgkmcnt(0)
	v_max_f32_e64 v9, s8, s8
	v_max_f32_e32 v8, v8, v9
	v_sub_f32_e32 v9, v7, v8
	v_sub_f32_e32 v11, s8, v8
	v_mul_f32_e32 v12, 0x3fb8aa3b, v9
	v_mul_f32_e32 v13, 0x3fb8aa3b, v11
	v_fma_f32 v14, v9, s2, -v12
	v_rndne_f32_e32 v15, v12
	v_fma_f32 v16, v11, s2, -v13
	v_rndne_f32_e32 v17, v13
	v_fmac_f32_e32 v14, 0x32a5705f, v9
	v_sub_f32_e32 v12, v12, v15
	v_fmac_f32_e32 v16, 0x32a5705f, v11
	v_sub_f32_e32 v13, v13, v17
	v_add_f32_e32 v12, v12, v14
	v_cvt_i32_f32_e32 v15, v15
	v_add_f32_e32 v13, v13, v16
	v_exp_f32_e32 v12, v12
	v_cvt_i32_f32_e32 v17, v17
	v_exp_f32_e32 v13, v13
	v_cmp_ngt_f32_e32 vcc, s16, v9
	v_ldexp_f32 v12, v12, v15
	v_cndmask_b32_e32 v12, 0, v12, vcc
	v_ldexp_f32 v13, v13, v17
	v_cmp_ngt_f32_e32 vcc, s16, v11
	v_cndmask_b32_e32 v13, 0, v13, vcc
	v_cmp_nlt_f32_e32 vcc, s17, v9
	v_cndmask_b32_e32 v12, v5, v12, vcc
	v_cmp_nlt_f32_e32 vcc, s17, v11
	v_cndmask_b32_e32 v13, v5, v13, vcc
	v_cmp_le_f32_e32 vcc, s23, v9
	v_cndmask_b32_e32 v12, 0, v12, vcc
	v_cmp_le_f32_e32 vcc, s23, v11
	v_cndmask_b32_e32 v11, 0, v13, vcc
	v_mul_f32_e32 v9, s9, v11
	v_fmac_f32_e32 v9, v6, v12
	s_waitcnt vmcnt(0)
	v_mul_f32_e32 v10, v10, v11
	v_fmac_f32_e32 v10, v3, v12
	s_cbranch_execnz .LBB39_13
.LBB39_17:
	s_add_i32 s5, s24, -1
	s_mov_b32 s7, s10
	v_mov_b32_e32 v9, v6
	v_mov_b32_e32 v8, v7
	s_waitcnt vmcnt(0)
	v_mov_b32_e32 v10, v3
	s_cbranch_execz .LBB39_22
.LBB39_18:
	s_mov_b32 s10, s7
	s_mov_b32 s24, s5
	v_mov_b32_e32 v6, v9
	v_mov_b32_e32 v7, v8
	s_waitcnt vmcnt(0)
	v_mov_b32_e32 v3, v10
	s_mul_hi_i32 s5, s24, s3
	s_cmp_lg_u64 s[4:5], 0
	s_mul_i32 s8, s24, s3
	s_cbranch_scc1 .LBB39_9
.LBB39_19:
                                        ; implicit-def: $sgpr6_sgpr7
	s_branch .LBB39_10
.LBB39_20:
                                        ; implicit-def: $sgpr10_sgpr11
	s_load_dwordx4 s[12:15], s[4:5], 0x44
	s_branch .LBB39_2
.LBB39_21:
                                        ; implicit-def: $sgpr18_sgpr19
	s_branch .LBB39_5
.LBB39_22:
	v_div_scale_f32 v0, s[0:1], v9, v9, v10
	s_waitcnt vmcnt(0)
	v_div_scale_f32 v3, vcc, v10, v9, v10
	v_rcp_f32_e32 v4, v0
	v_fma_f32 v5, -v0, v4, 1.0
	v_fmac_f32_e32 v4, v5, v4
	v_mul_f32_e32 v5, v3, v4
	v_fma_f32 v6, -v0, v5, v3
	v_fmac_f32_e32 v5, v6, v4
	v_fma_f32 v0, -v0, v5, v3
	v_div_fmas_f32 v0, v0, v4, v5
	v_div_fixup_f32 v0, v0, v9, v10
	global_store_dword v[1:2], v0, off
.LBB39_23:
	s_endpgm
	.section	.rodata,"a",@progbits
	.p2align	6, 0x0
	.amdhsa_kernel _ZL33flash_attn_stream_k_fixup_generalILi112ELi16ELi2EEvPfPK15HIP_vector_typeIfLj2EEiiiiS1_IjLj3EES5_S5_S5_
		.amdhsa_group_segment_fixed_size 0
		.amdhsa_private_segment_fixed_size 0
		.amdhsa_kernarg_size 336
		.amdhsa_user_sgpr_count 6
		.amdhsa_user_sgpr_private_segment_buffer 1
		.amdhsa_user_sgpr_dispatch_ptr 0
		.amdhsa_user_sgpr_queue_ptr 0
		.amdhsa_user_sgpr_kernarg_segment_ptr 1
		.amdhsa_user_sgpr_dispatch_id 0
		.amdhsa_user_sgpr_flat_scratch_init 0
		.amdhsa_user_sgpr_private_segment_size 0
		.amdhsa_uses_dynamic_stack 0
		.amdhsa_system_sgpr_private_segment_wavefront_offset 0
		.amdhsa_system_sgpr_workgroup_id_x 1
		.amdhsa_system_sgpr_workgroup_id_y 1
		.amdhsa_system_sgpr_workgroup_id_z 1
		.amdhsa_system_sgpr_workgroup_info 0
		.amdhsa_system_vgpr_workitem_id 0
		.amdhsa_next_free_vgpr 18
		.amdhsa_next_free_sgpr 36
		.amdhsa_reserve_vcc 1
		.amdhsa_reserve_flat_scratch 0
		.amdhsa_float_round_mode_32 0
		.amdhsa_float_round_mode_16_64 0
		.amdhsa_float_denorm_mode_32 3
		.amdhsa_float_denorm_mode_16_64 3
		.amdhsa_dx10_clamp 1
		.amdhsa_ieee_mode 1
		.amdhsa_fp16_overflow 0
		.amdhsa_exception_fp_ieee_invalid_op 0
		.amdhsa_exception_fp_denorm_src 0
		.amdhsa_exception_fp_ieee_div_zero 0
		.amdhsa_exception_fp_ieee_overflow 0
		.amdhsa_exception_fp_ieee_underflow 0
		.amdhsa_exception_fp_ieee_inexact 0
		.amdhsa_exception_int_div_zero 0
	.end_amdhsa_kernel
	.section	.text._ZL33flash_attn_stream_k_fixup_generalILi112ELi16ELi2EEvPfPK15HIP_vector_typeIfLj2EEiiiiS1_IjLj3EES5_S5_S5_,"axG",@progbits,_ZL33flash_attn_stream_k_fixup_generalILi112ELi16ELi2EEvPfPK15HIP_vector_typeIfLj2EEiiiiS1_IjLj3EES5_S5_S5_,comdat
.Lfunc_end39:
	.size	_ZL33flash_attn_stream_k_fixup_generalILi112ELi16ELi2EEvPfPK15HIP_vector_typeIfLj2EEiiiiS1_IjLj3EES5_S5_S5_, .Lfunc_end39-_ZL33flash_attn_stream_k_fixup_generalILi112ELi16ELi2EEvPfPK15HIP_vector_typeIfLj2EEiiiiS1_IjLj3EES5_S5_S5_
                                        ; -- End function
	.set _ZL33flash_attn_stream_k_fixup_generalILi112ELi16ELi2EEvPfPK15HIP_vector_typeIfLj2EEiiiiS1_IjLj3EES5_S5_S5_.num_vgpr, 18
	.set _ZL33flash_attn_stream_k_fixup_generalILi112ELi16ELi2EEvPfPK15HIP_vector_typeIfLj2EEiiiiS1_IjLj3EES5_S5_S5_.num_agpr, 0
	.set _ZL33flash_attn_stream_k_fixup_generalILi112ELi16ELi2EEvPfPK15HIP_vector_typeIfLj2EEiiiiS1_IjLj3EES5_S5_S5_.numbered_sgpr, 36
	.set _ZL33flash_attn_stream_k_fixup_generalILi112ELi16ELi2EEvPfPK15HIP_vector_typeIfLj2EEiiiiS1_IjLj3EES5_S5_S5_.num_named_barrier, 0
	.set _ZL33flash_attn_stream_k_fixup_generalILi112ELi16ELi2EEvPfPK15HIP_vector_typeIfLj2EEiiiiS1_IjLj3EES5_S5_S5_.private_seg_size, 0
	.set _ZL33flash_attn_stream_k_fixup_generalILi112ELi16ELi2EEvPfPK15HIP_vector_typeIfLj2EEiiiiS1_IjLj3EES5_S5_S5_.uses_vcc, 1
	.set _ZL33flash_attn_stream_k_fixup_generalILi112ELi16ELi2EEvPfPK15HIP_vector_typeIfLj2EEiiiiS1_IjLj3EES5_S5_S5_.uses_flat_scratch, 0
	.set _ZL33flash_attn_stream_k_fixup_generalILi112ELi16ELi2EEvPfPK15HIP_vector_typeIfLj2EEiiiiS1_IjLj3EES5_S5_S5_.has_dyn_sized_stack, 0
	.set _ZL33flash_attn_stream_k_fixup_generalILi112ELi16ELi2EEvPfPK15HIP_vector_typeIfLj2EEiiiiS1_IjLj3EES5_S5_S5_.has_recursion, 0
	.set _ZL33flash_attn_stream_k_fixup_generalILi112ELi16ELi2EEvPfPK15HIP_vector_typeIfLj2EEiiiiS1_IjLj3EES5_S5_S5_.has_indirect_call, 0
	.section	.AMDGPU.csdata,"",@progbits
; Kernel info:
; codeLenInByte = 2944
; TotalNumSgprs: 40
; NumVgprs: 18
; ScratchSize: 0
; MemoryBound: 0
; FloatMode: 240
; IeeeMode: 1
; LDSByteSize: 0 bytes/workgroup (compile time only)
; SGPRBlocks: 4
; VGPRBlocks: 4
; NumSGPRsForWavesPerEU: 40
; NumVGPRsForWavesPerEU: 18
; Occupancy: 10
; WaveLimiterHint : 0
; COMPUTE_PGM_RSRC2:SCRATCH_EN: 0
; COMPUTE_PGM_RSRC2:USER_SGPR: 6
; COMPUTE_PGM_RSRC2:TRAP_HANDLER: 0
; COMPUTE_PGM_RSRC2:TGID_X_EN: 1
; COMPUTE_PGM_RSRC2:TGID_Y_EN: 1
; COMPUTE_PGM_RSRC2:TGID_Z_EN: 1
; COMPUTE_PGM_RSRC2:TIDIG_COMP_CNT: 0
	.section	.text._ZL15flash_attn_tileILi112ELi112ELi8ELi2ELb0EEvPKcS1_S1_S1_S1_PKiPfP15HIP_vector_typeIfLj2EEffffjfiS5_IjLj3EEiiiiiiiiiiiliiliiiiil,"axG",@progbits,_ZL15flash_attn_tileILi112ELi112ELi8ELi2ELb0EEvPKcS1_S1_S1_S1_PKiPfP15HIP_vector_typeIfLj2EEffffjfiS5_IjLj3EEiiiiiiiiiiiliiliiiiil,comdat
	.globl	_ZL15flash_attn_tileILi112ELi112ELi8ELi2ELb0EEvPKcS1_S1_S1_S1_PKiPfP15HIP_vector_typeIfLj2EEffffjfiS5_IjLj3EEiiiiiiiiiiiliiliiiiil ; -- Begin function _ZL15flash_attn_tileILi112ELi112ELi8ELi2ELb0EEvPKcS1_S1_S1_S1_PKiPfP15HIP_vector_typeIfLj2EEffffjfiS5_IjLj3EEiiiiiiiiiiiliiliiiiil
	.p2align	8
	.type	_ZL15flash_attn_tileILi112ELi112ELi8ELi2ELb0EEvPKcS1_S1_S1_S1_PKiPfP15HIP_vector_typeIfLj2EEffffjfiS5_IjLj3EEiiiiiiiiiiiliiliiiiil,@function
_ZL15flash_attn_tileILi112ELi112ELi8ELi2ELb0EEvPKcS1_S1_S1_S1_PKiPfP15HIP_vector_typeIfLj2EEffffjfiS5_IjLj3EEiiiiiiiiiiiliiliiiiil: ; @_ZL15flash_attn_tileILi112ELi112ELi8ELi2ELb0EEvPKcS1_S1_S1_S1_PKiPfP15HIP_vector_typeIfLj2EEffffjfiS5_IjLj3EEiiiiiiiiiiiliiliiiiil
; %bb.0:
	s_load_dwordx4 s[24:27], s[4:5], 0x5c
	s_load_dwordx2 s[30:31], s[4:5], 0x80
	s_load_dwordx16 s[36:51], s[4:5], 0x0
	s_mov_b64 s[34:35], 0
	s_waitcnt lgkmcnt(0)
	s_lshr_b32 s0, s27, 31
	s_add_i32 s0, s27, s0
	s_ashr_i32 s0, s0, 1
	v_cvt_f32_u32_e32 v2, s0
	s_sub_i32 s1, 0, s0
	v_rcp_iflag_f32_e32 v2, v2
	v_mul_f32_e32 v2, 0x4f7ffffe, v2
	v_cvt_u32_f32_e32 v2, v2
	v_readfirstlane_b32 s2, v2
	s_mul_i32 s1, s1, s2
	s_mul_hi_u32 s1, s2, s1
	s_add_i32 s2, s2, s1
	s_mul_hi_u32 s1, s8, s2
	s_mul_i32 s2, s1, s0
	s_sub_i32 s2, s8, s2
	s_add_i32 s3, s1, 1
	s_sub_i32 s9, s2, s0
	s_cmp_ge_u32 s2, s0
	s_cselect_b32 s1, s3, s1
	s_cselect_b32 s2, s9, s2
	s_add_i32 s3, s1, 1
	s_cmp_ge_u32 s2, s0
	s_cselect_b32 s33, s3, s1
	s_abs_i32 s1, s31
	v_cvt_f32_u32_e32 v2, s1
	s_lshl_b32 s0, s8, 1
	s_sub_i32 s8, 0, s1
	s_abs_i32 s3, s27
	v_rcp_iflag_f32_e32 v2, v2
	s_xor_b32 s2, s27, s31
	s_ashr_i32 s2, s2, 31
	v_mul_f32_e32 v2, 0x4f7ffffe, v2
	v_cvt_u32_f32_e32 v2, v2
	v_readfirstlane_b32 s9, v2
	s_mul_i32 s8, s8, s9
	s_mul_hi_u32 s8, s9, s8
	s_add_i32 s9, s9, s8
	s_mul_hi_u32 s8, s3, s9
	s_mul_i32 s9, s8, s1
	s_sub_i32 s3, s3, s9
	s_add_i32 s10, s8, 1
	s_sub_i32 s9, s3, s1
	s_cmp_ge_u32 s3, s1
	s_cselect_b32 s8, s10, s8
	s_cselect_b32 s3, s9, s3
	s_add_i32 s9, s8, 1
	s_cmp_ge_u32 s3, s1
	s_cselect_b32 s1, s9, s8
	s_xor_b32 s1, s1, s2
	s_sub_i32 s15, s1, s2
	s_abs_i32 s14, s15
	v_cvt_f32_u32_e32 v2, s14
	s_load_dwordx2 s[2:3], s[4:5], 0xb8
	s_mul_i32 s1, s33, s27
	s_cmp_eq_u64 s[42:43], 0
	v_rcp_iflag_f32_e32 v2, v2
	v_mul_f32_e32 v2, 0x4f7ffffe, v2
	v_cvt_u32_f32_e32 v2, v2
	v_readfirstlane_b32 s16, v2
	s_cbranch_scc1 .LBB40_2
; %bb.1:
	s_waitcnt lgkmcnt(0)
	s_abs_i32 s2, s2
	v_cvt_f32_u32_e32 v2, s2
	s_sub_i32 s12, 0, s2
	s_abs_i32 s11, s33
	s_ashr_i32 s10, s33, 31
	v_rcp_iflag_f32_e32 v2, v2
	s_load_dwordx2 s[8:9], s[4:5], 0xc8
	v_mul_f32_e32 v2, 0x4f7ffffe, v2
	v_cvt_u32_f32_e32 v2, v2
	v_readfirstlane_b32 s13, v2
	s_mul_i32 s12, s12, s13
	s_mul_hi_u32 s12, s13, s12
	s_add_i32 s13, s13, s12
	s_mul_hi_u32 s12, s11, s13
	s_mul_i32 s12, s12, s2
	s_sub_i32 s11, s11, s12
	s_sub_i32 s12, s11, s2
	s_cmp_ge_u32 s11, s2
	s_cselect_b32 s11, s12, s11
	s_sub_i32 s12, s11, s2
	s_cmp_ge_u32 s11, s2
	s_cselect_b32 s2, s12, s11
	s_xor_b32 s2, s2, s10
	s_sub_i32 s2, s2, s10
	s_ashr_i32 s10, s2, 31
	s_waitcnt lgkmcnt(0)
	s_mul_hi_u32 s11, s8, s2
	s_mul_i32 s10, s8, s10
	s_mul_i32 s9, s9, s2
	s_add_i32 s10, s11, s10
	s_add_i32 s10, s10, s9
	s_mul_i32 s2, s8, s2
	s_add_u32 s34, s42, s2
	s_addc_u32 s35, s43, s10
.LBB40_2:
	v_lshl_add_u32 v65, s6, 3, v1
	v_mul_hi_u32 v2, s24, v65
	s_sub_i32 s28, s0, s1
	v_cmp_gt_u32_e64 s[0:1], 28, v0
	v_lshlrev_b32_e32 v49, 2, v0
	v_add_u32_e32 v2, v65, v2
	v_lshrrev_b32_e32 v2, s25, v2
	v_mul_lo_u32 v2, v2, s26
	v_lshlrev_b32_e32 v66, 3, v0
	v_sub_u32_e32 v2, v65, v2
	s_and_saveexec_b64 s[12:13], s[0:1]
	s_cbranch_execz .LBB40_4
; %bb.3:
	s_load_dwordx4 s[8:11], s[4:5], 0x70
	s_waitcnt lgkmcnt(0)
	s_mul_i32 s2, s33, s10
	s_ashr_i32 s17, s2, 31
	s_mul_i32 s11, s28, s9
	s_add_u32 s2, s36, s2
	s_addc_u32 s17, s37, s17
	s_ashr_i32 s18, s11, 31
	s_add_u32 s2, s2, s11
	s_mov_b32 s10, s8
	s_addc_u32 s17, s17, s18
	s_ashr_i32 s11, s8, 31
	s_lshr_b64 s[18:19], s[10:11], 2
	v_mad_u64_u32 v[3:4], s[18:19], s18, v2, 0
	s_lshr_b32 s8, s11, 2
	v_mad_u64_u32 v[4:5], s[10:11], s8, v2, v[4:5]
	v_mov_b32_e32 v5, s17
	s_and_b32 s8, s9, -4
	v_lshlrev_b64 v[3:4], 2, v[3:4]
	v_add_co_u32_e32 v3, vcc, s2, v3
	v_addc_co_u32_e32 v4, vcc, v5, v4, vcc
	v_lshlrev_b32_e32 v5, 2, v49
	v_add_co_u32_e32 v7, vcc, v3, v5
	v_addc_co_u32_e32 v8, vcc, 0, v4, vcc
	s_ashr_i32 s2, s9, 31
	global_load_dwordx4 v[3:6], v[7:8], off
	v_mov_b32_e32 v9, s2
	v_add_co_u32_e32 v7, vcc, s8, v7
	v_addc_co_u32_e32 v8, vcc, v8, v9, vcc
	global_load_dwordx4 v[7:10], v[7:8], off
	s_load_dword s2, s[4:5], 0x40
	s_movk_i32 s8, 0x1c0
	v_mad_u32_u24 v11, v1, s8, v66
	s_waitcnt vmcnt(1) lgkmcnt(0)
	v_fma_mixlo_f16 v3, s2, v3, 0
	v_fma_mixlo_f16 v4, s2, v4, 0
	;; [unrolled: 1-line block ×4, first 2 shown]
	v_lshlrev_b32_e32 v4, 16, v4
	v_and_b32_e32 v3, 0xffff, v3
	v_lshlrev_b32_e32 v6, 16, v6
	v_and_b32_e32 v5, 0xffff, v5
	s_waitcnt vmcnt(0)
	v_fma_mixlo_f16 v7, s2, v7, 0
	v_fma_mixlo_f16 v8, s2, v8, 0
	;; [unrolled: 1-line block ×4, first 2 shown]
	v_or_b32_e32 v3, v4, v3
	v_or3_b32 v4, v6, v5, 0
	v_lshlrev_b32_e32 v5, 16, v8
	v_and_b32_e32 v6, 0xffff, v7
	v_lshlrev_b32_e32 v7, 16, v10
	v_and_b32_e32 v8, 0xffff, v9
	v_or_b32_e32 v5, v5, v6
	v_or3_b32 v3, 0, 0, v3
	v_or3_b32 v6, v7, v8, 0
	;; [unrolled: 1-line block ×3, first 2 shown]
	v_add_u32_e32 v7, 0x1000, v11
	ds_write2_b64 v7, v[3:4], v[5:6] offset0:8 offset1:36
.LBB40_4:
	s_or_b64 exec, exec, s[12:13]
	s_cmp_eq_u64 s[46:47], 0
	s_waitcnt lgkmcnt(0)
	s_barrier
	s_cbranch_scc1 .LBB40_6
; %bb.5:
	s_load_dword s2, s[4:5], 0xd0
	s_mov_b32 s9, 0
	s_waitcnt lgkmcnt(0)
	s_mul_i32 s2, s2, s33
	s_add_i32 s8, s2, s6
	s_lshl_b64 s[8:9], s[8:9], 2
	s_add_u32 s8, s46, s8
	s_addc_u32 s9, s47, s9
	s_load_dword s30, s[8:9], 0x0
.LBB40_6:
	s_lshl_b32 s6, s7, 5
	s_waitcnt lgkmcnt(0)
	s_cmp_lt_i32 s6, s30
	v_mbcnt_lo_u32_b32 v3, -1, 0
	s_cbranch_scc1 .LBB40_12
; %bb.7:
	v_mbcnt_hi_u32_b32 v71, -1, v3
	v_and_b32_e32 v4, 0x60, v71
	v_add_u32_e32 v92, 32, v4
	v_xor_b32_e32 v91, 16, v71
	v_xor_b32_e32 v90, 8, v71
	;; [unrolled: 1-line block ×5, first 2 shown]
	s_cbranch_execz .LBB40_13
; %bb.8:
	v_mov_b32_e32 v69, 0
	v_mov_b32_e32 v93, 0
	;; [unrolled: 1-line block ×8, first 2 shown]
.LBB40_9:
	v_cmp_lt_i32_e32 vcc, v91, v92
	v_cndmask_b32_e32 v1, v71, v91, vcc
	v_lshlrev_b32_e32 v1, 2, v1
	ds_bpermute_b32 v2, v1, v94
	ds_bpermute_b32 v1, v1, v93
	v_cmp_lt_i32_e32 vcc, v90, v92
	v_cndmask_b32_e32 v3, v71, v90, vcc
	v_lshlrev_b32_e32 v3, 2, v3
	s_waitcnt lgkmcnt(1)
	v_add_f32_e32 v2, v94, v2
	s_waitcnt lgkmcnt(0)
	v_add_f32_e32 v1, v93, v1
	ds_bpermute_b32 v4, v3, v2
	ds_bpermute_b32 v3, v3, v1
	v_cmp_lt_i32_e32 vcc, v89, v92
	v_cndmask_b32_e32 v5, v71, v89, vcc
	v_lshlrev_b32_e32 v5, 2, v5
	s_waitcnt lgkmcnt(1)
	v_add_f32_e32 v2, v2, v4
	s_waitcnt lgkmcnt(0)
	v_add_f32_e32 v1, v1, v3
	;; [unrolled: 9-line block ×4, first 2 shown]
	ds_bpermute_b32 v4, v5, v2
	ds_bpermute_b32 v5, v5, v3
	s_cmp_lg_u64 s[44:45], 0
	s_cselect_b64 s[2:3], -1, 0
	s_cmp_eq_u32 s7, 0
	s_cselect_b64 s[8:9], -1, 0
	s_and_b64 s[2:3], s[8:9], s[2:3]
	s_waitcnt lgkmcnt(1)
	v_add_f32_e32 v1, v2, v4
	s_waitcnt lgkmcnt(0)
	v_add_f32_e32 v2, v3, v5
	s_and_b64 vcc, exec, s[2:3]
	s_cbranch_vccz .LBB40_40
; %bb.10:
	s_ashr_i32 s29, s28, 31
	s_lshl_b64 s[2:3], s[28:29], 2
	s_add_u32 s2, s44, s2
	s_addc_u32 s3, s45, s3
	v_mov_b32_e32 v3, 0
	global_load_dwordx2 v[3:4], v3, s[2:3]
	v_max_f32_e32 v5, v63, v63
	v_max_f32_e32 v6, v64, v64
	s_mov_b32 s2, 0x3fb8aa3b
	s_mov_b32 s3, 0xc2ce8ed0
	;; [unrolled: 1-line block ×3, first 2 shown]
	v_mov_b32_e32 v7, 0x7f800000
	s_waitcnt vmcnt(0)
	v_max_f32_e32 v8, v3, v3
	v_max_f32_e32 v9, v4, v4
	v_max_f32_e32 v5, v5, v8
	v_max_f32_e32 v6, v6, v9
	v_sub_f32_e32 v8, v63, v5
	v_sub_f32_e32 v9, v64, v6
	v_mov_b32_e32 v64, v6
	v_sub_f32_e32 v3, v3, v5
	v_mov_b32_e32 v63, v5
	v_mul_f32_e32 v5, 0x3fb8aa3b, v8
	v_sub_f32_e32 v4, v4, v6
	v_mul_f32_e32 v6, 0x3fb8aa3b, v3
	v_fma_f32 v12, v8, s2, -v5
	v_rndne_f32_e32 v13, v5
	v_mul_f32_e32 v10, 0x3fb8aa3b, v9
	v_fma_f32 v14, v3, s2, -v6
	v_rndne_f32_e32 v15, v6
	v_fmac_f32_e32 v12, 0x32a5705f, v8
	v_sub_f32_e32 v5, v5, v13
	v_mul_f32_e32 v11, 0x3fb8aa3b, v4
	v_fma_f32 v16, v9, s2, -v10
	v_rndne_f32_e32 v17, v10
	v_fmac_f32_e32 v14, 0x32a5705f, v3
	v_sub_f32_e32 v6, v6, v15
	v_add_f32_e32 v5, v5, v12
	v_fma_f32 v18, v4, s2, -v11
	v_rndne_f32_e32 v19, v11
	v_cvt_i32_f32_e32 v13, v13
	v_fmac_f32_e32 v16, 0x32a5705f, v9
	v_sub_f32_e32 v10, v10, v17
	v_add_f32_e32 v6, v6, v14
	v_exp_f32_e32 v5, v5
	v_cvt_i32_f32_e32 v15, v15
	v_fmac_f32_e32 v18, 0x32a5705f, v4
	v_sub_f32_e32 v11, v11, v19
	v_add_f32_e32 v10, v10, v16
	v_exp_f32_e32 v6, v6
	v_cvt_i32_f32_e32 v17, v17
	v_add_f32_e32 v11, v11, v18
	v_exp_f32_e32 v10, v10
	v_cvt_i32_f32_e32 v19, v19
	v_exp_f32_e32 v11, v11
	v_ldexp_f32 v5, v5, v13
	v_cmp_ngt_f32_e32 vcc, s3, v8
	v_ldexp_f32 v6, v6, v15
	v_cndmask_b32_e32 v5, 0, v5, vcc
	v_cmp_ngt_f32_e32 vcc, s3, v3
	v_ldexp_f32 v10, v10, v17
	v_cndmask_b32_e32 v6, 0, v6, vcc
	v_cmp_ngt_f32_e32 vcc, s3, v9
	v_ldexp_f32 v11, v11, v19
	v_cndmask_b32_e32 v10, 0, v10, vcc
	v_cmp_ngt_f32_e32 vcc, s3, v4
	v_cndmask_b32_e32 v11, 0, v11, vcc
	v_cmp_nlt_f32_e32 vcc, s6, v8
	v_cndmask_b32_e32 v5, v7, v5, vcc
	v_cmp_nlt_f32_e32 vcc, s6, v3
	;; [unrolled: 2-line block ×4, first 2 shown]
	v_cndmask_b32_e32 v4, v7, v11, vcc
	v_fmac_f32_e32 v3, v1, v5
	v_cvt_f16_f32_e32 v5, v5
	v_cvt_f16_f32_e32 v7, v6
	v_fmac_f32_e32 v4, v2, v6
	v_mov_b32_e32 v1, v3
	v_mul_u32_u24_e32 v2, 0x10001, v5
	v_mul_u32_u24_e32 v5, 0x10001, v7
	v_pk_mul_f16 v69, v69, v2
	v_pk_mul_f16 v70, v70, v2
	;; [unrolled: 1-line block ×4, first 2 shown]
	v_mov_b32_e32 v2, v4
	v_cmp_gt_i32_e32 vcc, s26, v65
	s_and_saveexec_b64 s[2:3], vcc
	s_cbranch_execnz .LBB40_41
.LBB40_11:
	s_endpgm
.LBB40_12:
                                        ; implicit-def: $vgpr71
                                        ; implicit-def: $vgpr92
                                        ; implicit-def: $vgpr91
                                        ; implicit-def: $vgpr90
                                        ; implicit-def: $vgpr89
                                        ; implicit-def: $vgpr88
                                        ; implicit-def: $vgpr87
.LBB40_13:
	s_load_dwordx2 s[12:13], s[4:5], 0x8c
	s_load_dwordx4 s[8:11], s[4:5], 0x98
	s_sub_i32 s2, 0, s14
	s_mul_i32 s2, s2, s16
	s_mul_hi_u32 s2, s16, s2
	s_waitcnt lgkmcnt(0)
	s_ashr_i32 s31, s12, 2
	s_ashr_i32 s29, s10, 2
	;; [unrolled: 1-line block ×4, first 2 shown]
	s_mul_hi_u32 s12, s8, s33
	s_mul_i32 s20, s8, s3
	s_add_i32 s12, s12, s20
	s_mul_i32 s9, s9, s33
	s_abs_i32 s18, s28
	s_add_i32 s16, s16, s2
	s_ashr_i32 s19, s28, 31
	s_ashr_i32 s15, s15, 31
	s_add_i32 s12, s12, s9
	s_mul_i32 s8, s8, s33
	s_mul_hi_u32 s2, s18, s16
	s_add_u32 s8, s38, s8
	s_addc_u32 s9, s39, s12
	s_xor_b32 s12, s19, s15
	s_mul_i32 s15, s2, s14
	s_sub_i32 s15, s18, s15
	s_add_i32 s18, s2, 1
	s_sub_i32 s19, s15, s14
	s_cmp_ge_u32 s15, s14
	s_cselect_b32 s2, s18, s2
	s_cselect_b32 s15, s19, s15
	s_add_i32 s18, s2, 1
	s_cmp_ge_u32 s15, s14
	s_load_dwordx2 s[16:17], s[4:5], 0xa8
	s_cselect_b32 s2, s18, s2
	s_xor_b32 s2, s2, s12
	s_sub_i32 s2, s2, s12
	s_mul_i32 s12, s2, s13
	s_ashr_i32 s13, s12, 31
	s_add_u32 s42, s8, s12
	s_waitcnt lgkmcnt(0)
	s_mul_hi_u32 s8, s16, s33
	s_mul_i32 s3, s16, s3
	s_addc_u32 s43, s9, s13
	s_add_i32 s3, s8, s3
	s_mul_i32 s8, s17, s33
	s_add_i32 s3, s3, s8
	s_mul_i32 s8, s16, s33
	s_add_u32 s8, s40, s8
	s_mul_i32 s2, s2, s11
	s_addc_u32 s3, s41, s3
	s_ashr_i32 s9, s2, 31
	s_add_u32 s40, s8, s2
	s_movk_i32 s8, 0x1c0
	v_mov_b32_e32 v16, 0x1040
	s_addc_u32 s41, s3, s9
	v_lshrrev_b32_e32 v5, 1, v0
	v_mad_u32_u24 v76, v1, s8, v16
	v_mad_u64_u32 v[50:51], s[8:9], v2, s10, v[0:1]
	v_mov_b32_e32 v2, 0x1e40
	v_lshl_add_u32 v10, v1, 4, v5
	v_lshrrev_b32_e32 v5, 2, v0
	v_and_b32_e32 v14, 4, v49
	v_lshl_add_u32 v77, v1, 7, v2
	v_lshrrev_b32_e32 v2, 3, v0
	v_lshl_add_u32 v4, v1, 5, v0
	v_lshl_add_u32 v11, v1, 3, v5
	v_lshlrev_b32_e32 v12, 2, v14
	v_and_b32_e32 v15, 12, v49
	v_lshl_add_u32 v2, v1, 2, v2
	v_mul_u32_u24_e32 v1, 0xe0, v10
	v_cmp_gt_u32_e64 s[2:3], 32, v10
	v_mul_lo_u32 v6, s31, v10
	v_lshlrev_b32_e32 v7, 7, v10
	v_lshlrev_b32_e32 v13, 2, v15
	v_cmp_gt_u32_e64 s[8:9], 16, v10
	v_or_b32_e32 v16, v1, v12
	v_mul_lo_u32 v1, s29, v10
	v_mul_u32_u24_e32 v10, 0xe0, v11
	s_movk_i32 s15, 0x80
	v_cmp_gt_u32_e32 vcc, 32, v4
	v_mul_lo_u32 v4, s31, v4
	v_or3_b32 v74, v7, v12, 64
	v_mul_lo_u32 v8, s31, v11
	v_add3_u32 v78, v10, v13, s15
	v_mul_lo_u32 v10, s29, v11
	v_mul_lo_u32 v12, s29, v2
	v_and_b32_e32 v79, 28, v49
	v_cmp_gt_u32_e64 s[22:23], 32, v11
	v_lshl_or_b32 v75, v11, 7, v13
	v_cmp_gt_u32_e64 s[10:11], 16, v11
	s_movk_i32 s14, 0xe0
	v_lshlrev_b32_e32 v11, 2, v79
	v_ashrrev_i32_e32 v5, 31, v4
	v_ashrrev_i32_e32 v7, 31, v6
	;; [unrolled: 1-line block ×3, first 2 shown]
	v_cmp_gt_u32_e64 s[12:13], 16, v2
	v_mad_u32_u24 v80, v2, s14, v11
	v_ashrrev_i32_e32 v2, 31, v1
	v_ashrrev_i32_e32 v11, 31, v10
	;; [unrolled: 1-line block ×3, first 2 shown]
	v_lshlrev_b32_e32 v72, 7, v0
	s_add_u32 s36, s4, 0xd0
	v_lshlrev_b64 v[51:52], 2, v[4:5]
	v_lshlrev_b64 v[53:54], 2, v[6:7]
	;; [unrolled: 1-line block ×6, first 2 shown]
	v_or_b32_e32 v73, 0x60, v72
	v_mov_b32_e32 v67, 0
	v_add_u32_e32 v81, 0xc0, v16
	s_addc_u32 s37, s5, 0
	s_mov_b32 s46, 0x3fb8aa3b
	s_mov_b32 s47, 0xc2ce8ed0
	;; [unrolled: 1-line block ×4, first 2 shown]
	v_lshlrev_b32_e32 v82, 2, v14
	v_lshlrev_b32_e32 v83, 2, v15
	v_mbcnt_hi_u32_b32 v71, -1, v3
	v_mov_b32_e32 v2, 0xfeffffff
	v_mov_b32_e32 v84, 0x7f800000
	;; [unrolled: 1-line block ×8, first 2 shown]
.LBB40_14:                              ; =>This Inner Loop Header: Depth=1
	s_mul_hi_i32 s15, s6, s31
	s_mul_i32 s14, s6, s31
	s_lshl_b64 s[14:15], s[14:15], 2
	s_add_u32 s18, s42, s14
	s_addc_u32 s19, s43, s15
	s_and_saveexec_b64 s[16:17], vcc
	s_cbranch_execnz .LBB40_32
; %bb.15:                               ;   in Loop: Header=BB40_14 Depth=1
	s_or_b64 exec, exec, s[16:17]
	s_and_saveexec_b64 s[16:17], s[2:3]
	s_cbranch_execnz .LBB40_33
.LBB40_16:                              ;   in Loop: Header=BB40_14 Depth=1
	s_or_b64 exec, exec, s[16:17]
	s_and_saveexec_b64 s[16:17], s[22:23]
	s_cbranch_execz .LBB40_18
.LBB40_17:                              ;   in Loop: Header=BB40_14 Depth=1
	v_mov_b32_e32 v3, s19
	v_add_co_u32_e64 v4, s[14:15], s18, v55
	v_addc_co_u32_e64 v5, s[14:15], v3, v56, s[14:15]
	v_add_co_u32_e64 v3, s[14:15], v4, v83
	v_addc_co_u32_e64 v4, s[14:15], 0, v5, s[14:15]
	global_load_dwordx4 v[3:6], v[3:4], off
	s_waitcnt vmcnt(0)
	ds_write_b128 v75, v[3:6]
.LBB40_18:                              ;   in Loop: Header=BB40_14 Depth=1
	s_or_b64 exec, exec, s[16:17]
	s_waitcnt lgkmcnt(0)
	s_barrier
	ds_read_b128 v[5:8], v72
	ds_read_b128 v[9:12], v76
	ds_read_b128 v[13:16], v76 offset:224
	v_mov_b32_e32 v3, 0
	s_waitcnt lgkmcnt(1)
	;;#ASMSTART
	v_dot2_f32_f16 v3, v5, v9, v3
	;;#ASMEND
	;;#ASMSTART
	v_dot2_f32_f16 v3, v6, v10, v3
	;;#ASMEND
	;; [unrolled: 3-line block ×3, first 2 shown]
	v_mov_b32_e32 v4, 0
	;;#ASMSTART
	v_dot2_f32_f16 v3, v8, v12, v3
	;;#ASMEND
	s_waitcnt lgkmcnt(0)
	;;#ASMSTART
	v_dot2_f32_f16 v4, v5, v13, v4
	;;#ASMEND
	;;#ASMSTART
	v_dot2_f32_f16 v4, v6, v14, v4
	;;#ASMEND
	;;#ASMSTART
	v_dot2_f32_f16 v4, v7, v15, v4
	;;#ASMEND
	;;#ASMSTART
	v_dot2_f32_f16 v4, v8, v16, v4
	;;#ASMEND
	ds_read_b128 v[5:8], v72 offset:16
	ds_read_b128 v[9:12], v76 offset:16
	ds_read_b128 v[13:16], v76 offset:240
	s_waitcnt lgkmcnt(1)
	;;#ASMSTART
	v_dot2_f32_f16 v3, v5, v9, v3
	;;#ASMEND
	;;#ASMSTART
	v_dot2_f32_f16 v3, v6, v10, v3
	;;#ASMEND
	;;#ASMSTART
	v_dot2_f32_f16 v3, v7, v11, v3
	;;#ASMEND
	;;#ASMSTART
	v_dot2_f32_f16 v3, v8, v12, v3
	;;#ASMEND
	s_waitcnt lgkmcnt(0)
	;;#ASMSTART
	v_dot2_f32_f16 v4, v5, v13, v4
	;;#ASMEND
	;;#ASMSTART
	v_dot2_f32_f16 v4, v6, v14, v4
	;;#ASMEND
	;;#ASMSTART
	v_dot2_f32_f16 v4, v7, v15, v4
	;;#ASMEND
	;;#ASMSTART
	v_dot2_f32_f16 v4, v8, v16, v4
	;;#ASMEND
	ds_read_b128 v[5:8], v72 offset:32
	ds_read_b128 v[9:12], v76 offset:32
	ds_read_b128 v[13:16], v76 offset:256
	s_waitcnt lgkmcnt(1)
	;;#ASMSTART
	v_dot2_f32_f16 v3, v5, v9, v3
	;;#ASMEND
	;;#ASMSTART
	v_dot2_f32_f16 v3, v6, v10, v3
	;;#ASMEND
	;;#ASMSTART
	v_dot2_f32_f16 v3, v7, v11, v3
	;;#ASMEND
	;; [unrolled: 29-line block ×6, first 2 shown]
	;;#ASMSTART
	v_dot2_f32_f16 v3, v8, v12, v3
	;;#ASMEND
	s_waitcnt lgkmcnt(0)
	;;#ASMSTART
	v_dot2_f32_f16 v4, v5, v13, v4
	;;#ASMEND
	;;#ASMSTART
	v_dot2_f32_f16 v4, v6, v14, v4
	;;#ASMEND
	;; [unrolled: 3-line block ×4, first 2 shown]
	s_barrier
	s_and_saveexec_b64 s[16:17], vcc
	s_cbranch_execnz .LBB40_34
; %bb.19:                               ;   in Loop: Header=BB40_14 Depth=1
	s_or_b64 exec, exec, s[16:17]
	s_and_saveexec_b64 s[16:17], s[2:3]
	s_cbranch_execnz .LBB40_35
.LBB40_20:                              ;   in Loop: Header=BB40_14 Depth=1
	s_or_b64 exec, exec, s[16:17]
	s_and_saveexec_b64 s[16:17], s[22:23]
	s_cbranch_execz .LBB40_22
.LBB40_21:                              ;   in Loop: Header=BB40_14 Depth=1
	v_mov_b32_e32 v5, s19
	v_add_co_u32_e64 v6, s[14:15], s18, v55
	v_addc_co_u32_e64 v7, s[14:15], v5, v56, s[14:15]
	v_add_co_u32_e64 v5, s[14:15], v6, v83
	v_addc_co_u32_e64 v6, s[14:15], 0, v7, s[14:15]
	global_load_dwordx4 v[5:8], v[5:6], off offset:112
	s_waitcnt vmcnt(0)
	ds_write_b128 v75, v[5:8]
.LBB40_22:                              ;   in Loop: Header=BB40_14 Depth=1
	s_or_b64 exec, exec, s[16:17]
	s_waitcnt lgkmcnt(0)
	s_barrier
	ds_read_b128 v[5:8], v72
	ds_read_b128 v[9:12], v76 offset:112
	ds_read_b128 v[13:16], v76 offset:336
	s_waitcnt lgkmcnt(1)
	;;#ASMSTART
	v_dot2_f32_f16 v3, v5, v9, v3
	;;#ASMEND
	;;#ASMSTART
	v_dot2_f32_f16 v3, v6, v10, v3
	;;#ASMEND
	;;#ASMSTART
	v_dot2_f32_f16 v3, v7, v11, v3
	;;#ASMEND
	;;#ASMSTART
	v_dot2_f32_f16 v3, v8, v12, v3
	;;#ASMEND
	s_waitcnt lgkmcnt(0)
	;;#ASMSTART
	v_dot2_f32_f16 v4, v5, v13, v4
	;;#ASMEND
	;;#ASMSTART
	v_dot2_f32_f16 v4, v6, v14, v4
	;;#ASMEND
	;;#ASMSTART
	v_dot2_f32_f16 v4, v7, v15, v4
	;;#ASMEND
	;;#ASMSTART
	v_dot2_f32_f16 v4, v8, v16, v4
	;;#ASMEND
	ds_read_b128 v[5:8], v72 offset:16
	ds_read_b128 v[9:12], v76 offset:128
	ds_read_b128 v[13:16], v76 offset:352
	s_waitcnt lgkmcnt(1)
	;;#ASMSTART
	v_dot2_f32_f16 v3, v5, v9, v3
	;;#ASMEND
	;;#ASMSTART
	v_dot2_f32_f16 v3, v6, v10, v3
	;;#ASMEND
	;;#ASMSTART
	v_dot2_f32_f16 v3, v7, v11, v3
	;;#ASMEND
	;;#ASMSTART
	v_dot2_f32_f16 v3, v8, v12, v3
	;;#ASMEND
	s_waitcnt lgkmcnt(0)
	;;#ASMSTART
	v_dot2_f32_f16 v4, v5, v13, v4
	;;#ASMEND
	;;#ASMSTART
	v_dot2_f32_f16 v4, v6, v14, v4
	;;#ASMEND
	;;#ASMSTART
	v_dot2_f32_f16 v4, v7, v15, v4
	;;#ASMEND
	;;#ASMSTART
	v_dot2_f32_f16 v4, v8, v16, v4
	;;#ASMEND
	ds_read_b128 v[5:8], v72 offset:32
	ds_read_b128 v[9:12], v76 offset:144
	ds_read_b128 v[13:16], v76 offset:368
	s_waitcnt lgkmcnt(1)
	;;#ASMSTART
	v_dot2_f32_f16 v3, v5, v9, v3
	;;#ASMEND
	;;#ASMSTART
	v_dot2_f32_f16 v3, v6, v10, v3
	;;#ASMEND
	;;#ASMSTART
	v_dot2_f32_f16 v3, v7, v11, v3
	;;#ASMEND
	;;#ASMSTART
	v_dot2_f32_f16 v3, v8, v12, v3
	;;#ASMEND
	s_waitcnt lgkmcnt(0)
	;;#ASMSTART
	v_dot2_f32_f16 v4, v5, v13, v4
	;;#ASMEND
	;;#ASMSTART
	v_dot2_f32_f16 v4, v6, v14, v4
	;;#ASMEND
	;;#ASMSTART
	v_dot2_f32_f16 v4, v7, v15, v4
	;;#ASMEND
	;;#ASMSTART
	v_dot2_f32_f16 v4, v8, v16, v4
	;;#ASMEND
	ds_read_b128 v[5:8], v72 offset:48
	ds_read_b128 v[9:12], v76 offset:160
	ds_read_b128 v[13:16], v76 offset:384
	s_waitcnt lgkmcnt(1)
	;;#ASMSTART
	v_dot2_f32_f16 v3, v5, v9, v3
	;;#ASMEND
	;;#ASMSTART
	v_dot2_f32_f16 v3, v6, v10, v3
	;;#ASMEND
	;;#ASMSTART
	v_dot2_f32_f16 v3, v7, v11, v3
	;;#ASMEND
	;;#ASMSTART
	v_dot2_f32_f16 v3, v8, v12, v3
	;;#ASMEND
	s_waitcnt lgkmcnt(0)
	;;#ASMSTART
	v_dot2_f32_f16 v4, v5, v13, v4
	;;#ASMEND
	;;#ASMSTART
	v_dot2_f32_f16 v4, v6, v14, v4
	;;#ASMEND
	;;#ASMSTART
	v_dot2_f32_f16 v4, v7, v15, v4
	;;#ASMEND
	;;#ASMSTART
	v_dot2_f32_f16 v4, v8, v16, v4
	;;#ASMEND
	ds_read_b128 v[5:8], v72 offset:64
	ds_read_b128 v[9:12], v76 offset:176
	ds_read_b128 v[13:16], v76 offset:400
	s_waitcnt lgkmcnt(1)
	;;#ASMSTART
	v_dot2_f32_f16 v3, v5, v9, v3
	;;#ASMEND
	;;#ASMSTART
	v_dot2_f32_f16 v3, v6, v10, v3
	;;#ASMEND
	;;#ASMSTART
	v_dot2_f32_f16 v3, v7, v11, v3
	;;#ASMEND
	;;#ASMSTART
	v_dot2_f32_f16 v3, v8, v12, v3
	;;#ASMEND
	s_waitcnt lgkmcnt(0)
	;;#ASMSTART
	v_dot2_f32_f16 v4, v5, v13, v4
	;;#ASMEND
	;;#ASMSTART
	v_dot2_f32_f16 v4, v6, v14, v4
	;;#ASMEND
	;;#ASMSTART
	v_dot2_f32_f16 v4, v7, v15, v4
	;;#ASMEND
	;;#ASMSTART
	v_dot2_f32_f16 v4, v8, v16, v4
	;;#ASMEND
	ds_read_b128 v[5:8], v72 offset:80
	ds_read_b128 v[9:12], v76 offset:192
	ds_read_b128 v[13:16], v76 offset:416
	s_waitcnt lgkmcnt(1)
	;;#ASMSTART
	v_dot2_f32_f16 v3, v5, v9, v3
	;;#ASMEND
	;;#ASMSTART
	v_dot2_f32_f16 v3, v6, v10, v3
	;;#ASMEND
	;;#ASMSTART
	v_dot2_f32_f16 v3, v7, v11, v3
	;;#ASMEND
	;;#ASMSTART
	v_dot2_f32_f16 v3, v8, v12, v3
	;;#ASMEND
	s_waitcnt lgkmcnt(0)
	;;#ASMSTART
	v_dot2_f32_f16 v4, v5, v13, v4
	;;#ASMEND
	;;#ASMSTART
	v_dot2_f32_f16 v4, v6, v14, v4
	;;#ASMEND
	;;#ASMSTART
	v_dot2_f32_f16 v4, v7, v15, v4
	;;#ASMEND
	;;#ASMSTART
	v_dot2_f32_f16 v4, v8, v16, v4
	;;#ASMEND
	ds_read_b128 v[5:8], v72 offset:96
	ds_read_b128 v[9:12], v76 offset:208
	ds_read_b128 v[13:16], v76 offset:432
	s_waitcnt lgkmcnt(1)
	;;#ASMSTART
	v_dot2_f32_f16 v3, v5, v9, v3
	;;#ASMEND
	;;#ASMSTART
	v_dot2_f32_f16 v3, v6, v10, v3
	;;#ASMEND
	;; [unrolled: 3-line block ×4, first 2 shown]
	s_waitcnt lgkmcnt(0)
	;;#ASMSTART
	v_dot2_f32_f16 v4, v5, v13, v4
	;;#ASMEND
	v_add_u32_e32 v5, s6, v50
	;;#ASMSTART
	v_dot2_f32_f16 v4, v6, v14, v4
	;;#ASMEND
	v_ashrrev_i32_e32 v6, 31, v5
	v_lshlrev_b64 v[5:6], 1, v[5:6]
	;;#ASMSTART
	v_dot2_f32_f16 v4, v7, v15, v4
	;;#ASMEND
	v_mov_b32_e32 v7, s35
	v_add_co_u32_e64 v5, s[14:15], s34, v5
	v_addc_co_u32_e64 v6, s[14:15], v7, v6, s[14:15]
	;;#ASMSTART
	v_dot2_f32_f16 v4, v8, v16, v4
	;;#ASMEND
	global_load_ushort v5, v[5:6], off
	v_and_b32_e32 v6, 0x60, v71
	v_xor_b32_e32 v91, 16, v71
	s_mul_hi_i32 s15, s6, s29
	s_mul_i32 s14, s6, s29
	v_add_u32_e32 v92, 32, v6
	s_lshl_b64 s[24:25], s[14:15], 2
	v_cmp_lt_i32_e64 s[14:15], v91, v92
	v_max_f32_e32 v7, v2, v2
	v_cndmask_b32_e64 v6, v71, v91, s[14:15]
	v_max_f32_e32 v8, v1, v1
	v_lshlrev_b32_e32 v6, 2, v6
	v_xor_b32_e32 v90, 8, v71
	v_cmp_lt_i32_e64 s[14:15], v90, v92
	v_xor_b32_e32 v89, 4, v71
	v_xor_b32_e32 v88, 2, v71
	;; [unrolled: 1-line block ×3, first 2 shown]
	s_add_u32 s54, s40, s24
	v_add_u32_e32 v9, v77, v49
	s_addc_u32 s55, s41, s25
	s_waitcnt vmcnt(0)
	s_barrier
	v_cvt_f32_f16_e32 v5, v5
	v_add_f32_e32 v3, v3, v5
	v_add_f32_e32 v4, v4, v5
	;; [unrolled: 1-line block ×4, first 2 shown]
	v_max_f32_e32 v5, v7, v5
	v_max_f32_e32 v7, v8, v10
	ds_bpermute_b32 v8, v6, v5
	ds_bpermute_b32 v6, v6, v7
	v_cndmask_b32_e64 v10, v71, v90, s[14:15]
	v_lshlrev_b32_e32 v10, 2, v10
	v_cmp_lt_i32_e64 s[14:15], v89, v92
	s_waitcnt lgkmcnt(1)
	v_max_f32_e32 v8, v8, v8
	s_waitcnt lgkmcnt(0)
	v_max_f32_e32 v6, v6, v6
	v_max_f32_e32 v5, v5, v8
	v_max_f32_e32 v6, v7, v6
	ds_bpermute_b32 v7, v10, v5
	ds_bpermute_b32 v8, v10, v6
	v_cndmask_b32_e64 v10, v71, v89, s[14:15]
	v_lshlrev_b32_e32 v10, 2, v10
	v_cmp_lt_i32_e64 s[14:15], v88, v92
	s_waitcnt lgkmcnt(1)
	v_max_f32_e32 v7, v7, v7
	s_waitcnt lgkmcnt(0)
	v_max_f32_e32 v8, v8, v8
	v_max_f32_e32 v5, v5, v7
	v_max_f32_e32 v6, v6, v8
	ds_bpermute_b32 v7, v10, v5
	ds_bpermute_b32 v8, v10, v6
	v_cndmask_b32_e64 v10, v71, v88, s[14:15]
	v_lshlrev_b32_e32 v10, 2, v10
	v_cmp_lt_i32_e64 s[14:15], v87, v92
	s_waitcnt lgkmcnt(1)
	v_max_f32_e32 v7, v7, v7
	s_waitcnt lgkmcnt(0)
	v_max_f32_e32 v8, v8, v8
	v_max_f32_e32 v5, v5, v7
	v_max_f32_e32 v6, v6, v8
	ds_bpermute_b32 v7, v10, v5
	ds_bpermute_b32 v8, v10, v6
	v_cndmask_b32_e64 v10, v71, v87, s[14:15]
	v_lshlrev_b32_e32 v10, 2, v10
	s_waitcnt lgkmcnt(1)
	v_max_f32_e32 v7, v7, v7
	s_waitcnt lgkmcnt(0)
	v_max_f32_e32 v8, v8, v8
	v_max_f32_e32 v5, v5, v7
	;; [unrolled: 1-line block ×3, first 2 shown]
	ds_bpermute_b32 v7, v10, v5
	ds_bpermute_b32 v8, v10, v6
	s_waitcnt lgkmcnt(1)
	v_max_f32_e32 v7, v7, v7
	s_waitcnt lgkmcnt(0)
	v_max_f32_e32 v8, v8, v8
	v_max_f32_e32 v63, v5, v7
	;; [unrolled: 1-line block ×3, first 2 shown]
	v_sub_f32_e32 v96, v2, v63
	v_sub_f32_e32 v2, v3, v63
	;; [unrolled: 1-line block ×3, first 2 shown]
	v_mul_f32_e32 v4, 0x3fb8aa3b, v2
	v_mul_f32_e32 v5, 0x3fb8aa3b, v3
	v_fma_f32 v6, v2, s46, -v4
	v_rndne_f32_e32 v7, v4
	v_fma_f32 v8, v3, s46, -v5
	v_rndne_f32_e32 v10, v5
	v_fmac_f32_e32 v6, 0x32a5705f, v2
	v_sub_f32_e32 v4, v4, v7
	v_fmac_f32_e32 v8, 0x32a5705f, v3
	v_sub_f32_e32 v5, v5, v10
	v_add_f32_e32 v4, v4, v6
	v_cvt_i32_f32_e32 v7, v7
	v_add_f32_e32 v5, v5, v8
	v_exp_f32_e32 v4, v4
	v_cvt_i32_f32_e32 v10, v10
	v_exp_f32_e32 v5, v5
	v_sub_f32_e32 v97, v1, v64
	v_ldexp_f32 v1, v4, v7
	v_cmp_ngt_f32_e64 s[16:17], s47, v2
	v_ldexp_f32 v4, v5, v10
	v_cndmask_b32_e64 v1, 0, v1, s[16:17]
	v_cmp_ngt_f32_e64 s[16:17], s47, v3
	v_cndmask_b32_e64 v4, 0, v4, s[16:17]
	v_cmp_nlt_f32_e64 s[16:17], s52, v2
	v_cndmask_b32_e64 v94, v84, v1, s[16:17]
	v_cmp_nlt_f32_e64 s[16:17], s52, v3
	v_cndmask_b32_e64 v93, v84, v4, s[16:17]
	v_cvt_f16_f32_e32 v1, v94
	v_cvt_f16_f32_e32 v2, v93
	v_cmp_ngt_f32_e64 s[14:15], s47, v96
	v_cmp_nlt_f32_e64 s[20:21], s52, v96
	v_cmp_ngt_f32_e64 s[16:17], s47, v97
	v_cmp_nlt_f32_e64 s[18:19], s52, v97
	v_pack_b32_f16 v1, v1, v2
	ds_write_b32 v9, v1
	s_and_saveexec_b64 s[38:39], s[8:9]
	s_cbranch_execnz .LBB40_36
; %bb.23:                               ;   in Loop: Header=BB40_14 Depth=1
	s_or_b64 exec, exec, s[38:39]
	s_and_saveexec_b64 s[38:39], s[10:11]
	s_cbranch_execnz .LBB40_37
.LBB40_24:                              ;   in Loop: Header=BB40_14 Depth=1
	s_or_b64 exec, exec, s[38:39]
	v_lshlrev_b32_e32 v98, 2, v79
	s_and_saveexec_b64 s[38:39], s[12:13]
	s_cbranch_execz .LBB40_26
.LBB40_25:                              ;   in Loop: Header=BB40_14 Depth=1
	v_mov_b32_e32 v1, s55
	v_add_co_u32_e64 v2, s[24:25], s54, v61
	v_addc_co_u32_e64 v3, s[24:25], v1, v62, s[24:25]
	v_add_co_u32_e64 v1, s[24:25], v2, v98
	v_addc_co_u32_e64 v2, s[24:25], 0, v3, s[24:25]
	global_load_dwordx4 v[1:4], v[1:2], off
	s_waitcnt vmcnt(0)
	ds_write_b128 v80, v[1:4]
.LBB40_26:                              ;   in Loop: Header=BB40_14 Depth=1
	s_or_b64 exec, exec, s[38:39]
	s_waitcnt lgkmcnt(0)
	s_barrier
	ds_read2_b64 v[29:32], v66 offset1:28
	ds_read_b128 v[45:48], v77
	ds_read_b128 v[41:44], v77 offset:16
	ds_read_b128 v[37:40], v77 offset:32
	;; [unrolled: 1-line block ×3, first 2 shown]
	ds_read2_b64 v[25:28], v66 offset0:56 offset1:84
	ds_read2_b64 v[21:24], v66 offset0:112 offset1:140
	;; [unrolled: 1-line block ×4, first 2 shown]
	v_add_u32_e32 v95, 0x800, v66
	ds_read2_b64 v[9:12], v95 offset0:24 offset1:52
	ds_read2_b64 v[5:8], v95 offset0:80 offset1:108
	ds_read2_b64 v[1:4], v95 offset0:136 offset1:164
	s_or_b32 s24, s6, 16
	s_mul_hi_i32 s25, s24, s29
	s_mul_i32 s24, s24, s29
	s_lshl_b64 s[24:25], s[24:25], 2
	s_add_u32 s54, s40, s24
	s_addc_u32 s55, s41, s25
	s_waitcnt lgkmcnt(0)
	s_barrier
	s_and_saveexec_b64 s[38:39], s[8:9]
	s_cbranch_execnz .LBB40_38
; %bb.27:                               ;   in Loop: Header=BB40_14 Depth=1
	s_or_b64 exec, exec, s[38:39]
	s_and_saveexec_b64 s[38:39], s[10:11]
	s_cbranch_execnz .LBB40_39
.LBB40_28:                              ;   in Loop: Header=BB40_14 Depth=1
	s_or_b64 exec, exec, s[38:39]
	s_and_saveexec_b64 s[38:39], s[12:13]
	s_cbranch_execz .LBB40_30
.LBB40_29:                              ;   in Loop: Header=BB40_14 Depth=1
	v_mov_b32_e32 v99, s55
	v_add_co_u32_e64 v100, s[24:25], s54, v61
	v_addc_co_u32_e64 v99, s[24:25], v99, v62, s[24:25]
	v_add_co_u32_e64 v98, s[24:25], v100, v98
	v_addc_co_u32_e64 v99, s[24:25], 0, v99, s[24:25]
	global_load_dwordx4 v[98:101], v[98:99], off
	s_waitcnt vmcnt(0)
	ds_write_b128 v80, v[98:101]
.LBB40_30:                              ;   in Loop: Header=BB40_14 Depth=1
	s_or_b64 exec, exec, s[38:39]
	v_mul_f32_e32 v98, 0x3fb8aa3b, v96
	v_fma_f32 v99, v96, s46, -v98
	v_fmac_f32_e32 v99, 0x32a5705f, v96
	v_rndne_f32_e32 v96, v98
	v_sub_f32_e32 v98, v98, v96
	v_add_f32_e32 v98, v98, v99
	v_mul_f32_e32 v99, 0x3fb8aa3b, v97
	v_fma_f32 v100, v97, s46, -v99
	v_fmac_f32_e32 v100, 0x32a5705f, v97
	v_rndne_f32_e32 v97, v99
	v_sub_f32_e32 v99, v99, v97
	v_add_f32_e32 v99, v99, v100
	v_exp_f32_e32 v98, v98
	v_cvt_i32_f32_e32 v96, v96
	v_exp_f32_e32 v99, v99
	v_cvt_i32_f32_e32 v97, v97
	v_mul_u32_u24_sdwa v100, v41, s53 dst_sel:DWORD dst_unused:UNUSED_PAD src0_sel:WORD_0 src1_sel:DWORD
	v_ldexp_f32 v96, v98, v96
	v_cndmask_b32_e64 v96, 0, v96, s[14:15]
	v_ldexp_f32 v97, v99, v97
	v_cndmask_b32_e64 v97, 0, v97, s[16:17]
	v_cndmask_b32_e64 v96, v84, v96, s[20:21]
	;; [unrolled: 1-line block ×3, first 2 shown]
	v_cvt_f16_f32_e32 v98, v96
	v_cvt_f16_f32_e32 v99, v97
	v_fmac_f32_e32 v94, v85, v96
	v_fmac_f32_e32 v93, v86, v97
	v_mul_u32_u24_e32 v85, 0x10001, v98
	v_mul_u32_u24_e32 v86, 0x10001, v99
	v_mul_u32_u24_sdwa v96, v45, s53 dst_sel:DWORD dst_unused:UNUSED_PAD src0_sel:WORD_0 src1_sel:DWORD
	v_mul_u32_u24_sdwa v45, v45, s53 dst_sel:DWORD dst_unused:UNUSED_PAD src0_sel:WORD_1 src1_sel:DWORD
	v_pk_mul_f16 v70, v70, v85
	v_pk_mul_f16 v67, v67, v86
	;; [unrolled: 1-line block ×4, first 2 shown]
	v_mul_u32_u24_sdwa v97, v46, s53 dst_sel:DWORD dst_unused:UNUSED_PAD src0_sel:WORD_0 src1_sel:DWORD
	v_mul_u32_u24_sdwa v46, v46, s53 dst_sel:DWORD dst_unused:UNUSED_PAD src0_sel:WORD_1 src1_sel:DWORD
	v_pk_fma_f16 v69, v69, v85, v112
	v_pk_fma_f16 v29, v68, v86, v29
	v_pk_fma_f16 v68, v30, v96, v70
	v_pk_fma_f16 v30, v30, v45, v67
	v_mul_u32_u24_sdwa v98, v47, s53 dst_sel:DWORD dst_unused:UNUSED_PAD src0_sel:WORD_0 src1_sel:DWORD
	v_mul_u32_u24_sdwa v47, v47, s53 dst_sel:DWORD dst_unused:UNUSED_PAD src0_sel:WORD_1 src1_sel:DWORD
	v_pk_fma_f16 v45, v31, v97, v69
	v_pk_fma_f16 v29, v31, v46, v29
	v_pk_fma_f16 v31, v32, v97, v68
	v_pk_fma_f16 v30, v32, v46, v30
	;; [unrolled: 6-line block ×3, first 2 shown]
	v_mul_u32_u24_sdwa v41, v41, s53 dst_sel:DWORD dst_unused:UNUSED_PAD src0_sel:WORD_1 src1_sel:DWORD
	v_pk_fma_f16 v30, v27, v99, v32
	v_pk_fma_f16 v25, v27, v48, v25
	v_pk_fma_f16 v27, v28, v99, v29
	v_pk_fma_f16 v26, v28, v48, v26
	v_mul_u32_u24_sdwa v101, v42, s53 dst_sel:DWORD dst_unused:UNUSED_PAD src0_sel:WORD_0 src1_sel:DWORD
	v_mul_u32_u24_sdwa v42, v42, s53 dst_sel:DWORD dst_unused:UNUSED_PAD src0_sel:WORD_1 src1_sel:DWORD
	v_pk_fma_f16 v28, v21, v100, v30
	v_pk_fma_f16 v21, v21, v41, v25
	v_pk_fma_f16 v25, v22, v100, v27
	v_pk_fma_f16 v22, v22, v41, v26
	v_mul_u32_u24_sdwa v102, v43, s53 dst_sel:DWORD dst_unused:UNUSED_PAD src0_sel:WORD_0 src1_sel:DWORD
	;; [unrolled: 6-line block ×11, first 2 shown]
	v_mul_u32_u24_sdwa v36, v36, s53 dst_sel:DWORD dst_unused:UNUSED_PAD src0_sel:WORD_1 src1_sel:DWORD
	v_pk_fma_f16 v8, v1, v110, v10
	v_pk_fma_f16 v1, v1, v35, v5
	;; [unrolled: 1-line block ×8, first 2 shown]
	s_waitcnt lgkmcnt(0)
	s_barrier
	ds_read_b128 v[1:4], v77 offset:64
	ds_read2_b64 v[5:8], v66 offset1:28
	ds_read_b128 v[9:12], v77 offset:80
	ds_read_b128 v[13:16], v77 offset:96
	;; [unrolled: 1-line block ×3, first 2 shown]
	s_waitcnt lgkmcnt(4)
	v_mul_u32_u24_sdwa v25, v1, s53 dst_sel:DWORD dst_unused:UNUSED_PAD src0_sel:WORD_0 src1_sel:DWORD
	v_mul_u32_u24_sdwa v1, v1, s53 dst_sel:DWORD dst_unused:UNUSED_PAD src0_sel:WORD_1 src1_sel:DWORD
	s_waitcnt lgkmcnt(3)
	v_pk_fma_f16 v21, v5, v25, v21
	v_pk_fma_f16 v5, v5, v1, v22
	;; [unrolled: 1-line block ×4, first 2 shown]
	v_mul_u32_u24_sdwa v6, v2, s53 dst_sel:DWORD dst_unused:UNUSED_PAD src0_sel:WORD_0 src1_sel:DWORD
	v_pk_fma_f16 v26, v7, v6, v21
	ds_read2_b64 v[21:24], v66 offset0:56 offset1:84
	v_mul_u32_u24_sdwa v2, v2, s53 dst_sel:DWORD dst_unused:UNUSED_PAD src0_sel:WORD_1 src1_sel:DWORD
	v_pk_fma_f16 v5, v7, v2, v5
	v_pk_fma_f16 v6, v8, v6, v25
	;; [unrolled: 1-line block ×3, first 2 shown]
	v_mul_u32_u24_sdwa v2, v3, s53 dst_sel:DWORD dst_unused:UNUSED_PAD src0_sel:WORD_0 src1_sel:DWORD
	v_mul_u32_u24_sdwa v3, v3, s53 dst_sel:DWORD dst_unused:UNUSED_PAD src0_sel:WORD_1 src1_sel:DWORD
	s_waitcnt lgkmcnt(0)
	v_pk_fma_f16 v7, v21, v2, v26
	v_pk_fma_f16 v5, v21, v3, v5
	;; [unrolled: 1-line block ×4, first 2 shown]
	v_mul_u32_u24_sdwa v21, v4, s53 dst_sel:DWORD dst_unused:UNUSED_PAD src0_sel:WORD_0 src1_sel:DWORD
	v_mul_u32_u24_sdwa v22, v4, s53 dst_sel:DWORD dst_unused:UNUSED_PAD src0_sel:WORD_1 src1_sel:DWORD
	ds_read2_b64 v[1:4], v66 offset0:112 offset1:140
	v_pk_fma_f16 v7, v23, v21, v7
	v_pk_fma_f16 v5, v23, v22, v5
	;; [unrolled: 1-line block ×4, first 2 shown]
	v_mul_u32_u24_sdwa v21, v9, s53 dst_sel:DWORD dst_unused:UNUSED_PAD src0_sel:WORD_0 src1_sel:DWORD
	v_mul_u32_u24_sdwa v9, v9, s53 dst_sel:DWORD dst_unused:UNUSED_PAD src0_sel:WORD_1 src1_sel:DWORD
	s_waitcnt lgkmcnt(0)
	v_pk_fma_f16 v7, v1, v21, v7
	v_pk_fma_f16 v1, v1, v9, v5
	;; [unrolled: 1-line block ×4, first 2 shown]
	v_mul_u32_u24_sdwa v9, v10, s53 dst_sel:DWORD dst_unused:UNUSED_PAD src0_sel:WORD_0 src1_sel:DWORD
	v_pk_fma_f16 v22, v3, v9, v7
	ds_read2_b64 v[5:8], v66 offset0:168 offset1:196
	v_mul_u32_u24_sdwa v10, v10, s53 dst_sel:DWORD dst_unused:UNUSED_PAD src0_sel:WORD_1 src1_sel:DWORD
	v_pk_fma_f16 v1, v3, v10, v1
	v_pk_fma_f16 v3, v4, v9, v21
	;; [unrolled: 1-line block ×3, first 2 shown]
	v_mul_u32_u24_sdwa v4, v11, s53 dst_sel:DWORD dst_unused:UNUSED_PAD src0_sel:WORD_0 src1_sel:DWORD
	v_mul_u32_u24_sdwa v9, v11, s53 dst_sel:DWORD dst_unused:UNUSED_PAD src0_sel:WORD_1 src1_sel:DWORD
	s_waitcnt lgkmcnt(0)
	v_pk_fma_f16 v10, v5, v4, v22
	v_pk_fma_f16 v1, v5, v9, v1
	;; [unrolled: 1-line block ×4, first 2 shown]
	v_mul_u32_u24_sdwa v9, v12, s53 dst_sel:DWORD dst_unused:UNUSED_PAD src0_sel:WORD_0 src1_sel:DWORD
	v_mul_u32_u24_sdwa v11, v12, s53 dst_sel:DWORD dst_unused:UNUSED_PAD src0_sel:WORD_1 src1_sel:DWORD
	v_pk_fma_f16 v10, v7, v9, v10
	v_pk_fma_f16 v7, v7, v11, v1
	ds_read2_b64 v[1:4], v66 offset0:224 offset1:252
	v_pk_fma_f16 v5, v8, v9, v5
	v_pk_fma_f16 v6, v8, v11, v6
	v_mul_u32_u24_sdwa v8, v13, s53 dst_sel:DWORD dst_unused:UNUSED_PAD src0_sel:WORD_0 src1_sel:DWORD
	v_mul_u32_u24_sdwa v9, v13, s53 dst_sel:DWORD dst_unused:UNUSED_PAD src0_sel:WORD_1 src1_sel:DWORD
	s_waitcnt lgkmcnt(0)
	v_pk_fma_f16 v10, v1, v8, v10
	v_pk_fma_f16 v1, v1, v9, v7
	;; [unrolled: 1-line block ×4, first 2 shown]
	ds_read2_b64 v[5:8], v95 offset0:24 offset1:52
	v_mul_u32_u24_sdwa v9, v14, s53 dst_sel:DWORD dst_unused:UNUSED_PAD src0_sel:WORD_0 src1_sel:DWORD
	v_mul_u32_u24_sdwa v12, v14, s53 dst_sel:DWORD dst_unused:UNUSED_PAD src0_sel:WORD_1 src1_sel:DWORD
	v_pk_fma_f16 v10, v3, v9, v10
	v_pk_fma_f16 v1, v3, v12, v1
	;; [unrolled: 1-line block ×4, first 2 shown]
	v_mul_u32_u24_sdwa v4, v15, s53 dst_sel:DWORD dst_unused:UNUSED_PAD src0_sel:WORD_0 src1_sel:DWORD
	v_mul_u32_u24_sdwa v9, v15, s53 dst_sel:DWORD dst_unused:UNUSED_PAD src0_sel:WORD_1 src1_sel:DWORD
	s_waitcnt lgkmcnt(0)
	v_pk_fma_f16 v10, v5, v4, v10
	v_pk_fma_f16 v1, v5, v9, v1
	;; [unrolled: 1-line block ×4, first 2 shown]
	v_mul_u32_u24_sdwa v9, v16, s53 dst_sel:DWORD dst_unused:UNUSED_PAD src0_sel:WORD_0 src1_sel:DWORD
	v_mul_u32_u24_sdwa v11, v16, s53 dst_sel:DWORD dst_unused:UNUSED_PAD src0_sel:WORD_1 src1_sel:DWORD
	v_pk_fma_f16 v10, v7, v9, v10
	v_pk_fma_f16 v7, v7, v11, v1
	ds_read2_b64 v[1:4], v95 offset0:80 offset1:108
	v_pk_fma_f16 v5, v8, v9, v5
	v_pk_fma_f16 v6, v8, v11, v6
	v_mul_u32_u24_sdwa v8, v17, s53 dst_sel:DWORD dst_unused:UNUSED_PAD src0_sel:WORD_0 src1_sel:DWORD
	v_mul_u32_u24_sdwa v9, v17, s53 dst_sel:DWORD dst_unused:UNUSED_PAD src0_sel:WORD_1 src1_sel:DWORD
	s_waitcnt lgkmcnt(0)
	v_pk_fma_f16 v10, v1, v8, v10
	v_pk_fma_f16 v1, v1, v9, v7
	;; [unrolled: 1-line block ×4, first 2 shown]
	ds_read2_b64 v[5:8], v95 offset0:136 offset1:164
	s_waitcnt lgkmcnt(0)
	s_barrier
	s_load_dword s14, s[36:37], 0x4
	v_mul_u32_u24_sdwa v9, v18, s53 dst_sel:DWORD dst_unused:UNUSED_PAD src0_sel:WORD_0 src1_sel:DWORD
	v_mul_u32_u24_sdwa v12, v18, s53 dst_sel:DWORD dst_unused:UNUSED_PAD src0_sel:WORD_1 src1_sel:DWORD
	v_pk_fma_f16 v10, v3, v9, v10
	v_pk_fma_f16 v1, v3, v12, v1
	;; [unrolled: 1-line block ×4, first 2 shown]
	v_mul_u32_u24_sdwa v4, v19, s53 dst_sel:DWORD dst_unused:UNUSED_PAD src0_sel:WORD_0 src1_sel:DWORD
	v_mul_u32_u24_sdwa v9, v19, s53 dst_sel:DWORD dst_unused:UNUSED_PAD src0_sel:WORD_1 src1_sel:DWORD
	s_waitcnt lgkmcnt(0)
	s_lshl_b32 s14, s14, 5
	v_pk_fma_f16 v10, v5, v4, v10
	v_pk_fma_f16 v1, v5, v9, v1
	;; [unrolled: 1-line block ×4, first 2 shown]
	v_mul_u32_u24_sdwa v4, v20, s53 dst_sel:DWORD dst_unused:UNUSED_PAD src0_sel:WORD_0 src1_sel:DWORD
	v_mul_u32_u24_sdwa v5, v20, s53 dst_sel:DWORD dst_unused:UNUSED_PAD src0_sel:WORD_1 src1_sel:DWORD
	s_add_i32 s6, s14, s6
	v_pk_fma_f16 v69, v7, v4, v10
	v_pk_fma_f16 v68, v7, v5, v1
	;; [unrolled: 1-line block ×3, first 2 shown]
	s_cmp_ge_i32 s6, s30
	v_pk_fma_f16 v67, v8, v5, v2
	s_cbranch_scc1 .LBB40_9
; %bb.31:                               ;   in Loop: Header=BB40_14 Depth=1
	v_mov_b32_e32 v2, v63
	v_mov_b32_e32 v1, v64
	;; [unrolled: 1-line block ×4, first 2 shown]
	s_branch .LBB40_14
.LBB40_32:                              ;   in Loop: Header=BB40_14 Depth=1
	v_mov_b32_e32 v4, s19
	v_add_co_u32_e64 v3, s[14:15], s18, v51
	v_addc_co_u32_e64 v4, s[14:15], v4, v52, s[14:15]
	global_load_dwordx4 v[3:6], v[3:4], off offset:96
	s_waitcnt vmcnt(0)
	ds_write_b128 v73, v[3:6]
	s_or_b64 exec, exec, s[16:17]
	s_and_saveexec_b64 s[16:17], s[2:3]
	s_cbranch_execz .LBB40_16
.LBB40_33:                              ;   in Loop: Header=BB40_14 Depth=1
	v_mov_b32_e32 v3, s19
	v_add_co_u32_e64 v4, s[14:15], s18, v53
	v_addc_co_u32_e64 v5, s[14:15], v3, v54, s[14:15]
	v_add_co_u32_e64 v3, s[14:15], v4, v82
	v_addc_co_u32_e64 v4, s[14:15], 0, v5, s[14:15]
	global_load_dwordx4 v[3:6], v[3:4], off offset:64
	s_waitcnt vmcnt(0)
	ds_write_b128 v74, v[3:6]
	s_or_b64 exec, exec, s[16:17]
	s_and_saveexec_b64 s[16:17], s[22:23]
	s_cbranch_execnz .LBB40_17
	s_branch .LBB40_18
.LBB40_34:                              ;   in Loop: Header=BB40_14 Depth=1
	v_mov_b32_e32 v6, s19
	v_add_co_u32_e64 v5, s[14:15], s18, v51
	v_addc_co_u32_e64 v6, s[14:15], v6, v52, s[14:15]
	global_load_dwordx4 v[5:8], v[5:6], off offset:208
	s_waitcnt vmcnt(0)
	ds_write_b128 v73, v[5:8]
	s_or_b64 exec, exec, s[16:17]
	s_and_saveexec_b64 s[16:17], s[2:3]
	s_cbranch_execz .LBB40_20
.LBB40_35:                              ;   in Loop: Header=BB40_14 Depth=1
	v_mov_b32_e32 v5, s19
	v_add_co_u32_e64 v6, s[14:15], s18, v53
	v_addc_co_u32_e64 v7, s[14:15], v5, v54, s[14:15]
	v_add_co_u32_e64 v5, s[14:15], v6, v82
	v_addc_co_u32_e64 v6, s[14:15], 0, v7, s[14:15]
	global_load_dwordx4 v[5:8], v[5:6], off offset:176
	s_waitcnt vmcnt(0)
	ds_write_b128 v74, v[5:8]
	s_or_b64 exec, exec, s[16:17]
	s_and_saveexec_b64 s[16:17], s[22:23]
	s_cbranch_execnz .LBB40_21
	s_branch .LBB40_22
.LBB40_36:                              ;   in Loop: Header=BB40_14 Depth=1
	v_mov_b32_e32 v1, s55
	v_add_co_u32_e64 v2, s[24:25], s54, v57
	v_addc_co_u32_e64 v3, s[24:25], v1, v58, s[24:25]
	v_add_co_u32_e64 v1, s[24:25], v2, v82
	v_addc_co_u32_e64 v2, s[24:25], 0, v3, s[24:25]
	global_load_dwordx4 v[1:4], v[1:2], off offset:192
	s_waitcnt vmcnt(0)
	ds_write_b128 v81, v[1:4]
	s_or_b64 exec, exec, s[38:39]
	s_and_saveexec_b64 s[38:39], s[10:11]
	s_cbranch_execz .LBB40_24
.LBB40_37:                              ;   in Loop: Header=BB40_14 Depth=1
	v_mov_b32_e32 v1, s55
	v_add_co_u32_e64 v2, s[24:25], s54, v59
	v_addc_co_u32_e64 v3, s[24:25], v1, v60, s[24:25]
	v_add_co_u32_e64 v1, s[24:25], v2, v83
	v_addc_co_u32_e64 v2, s[24:25], 0, v3, s[24:25]
	global_load_dwordx4 v[1:4], v[1:2], off offset:128
	s_waitcnt vmcnt(0)
	ds_write_b128 v78, v[1:4]
	s_or_b64 exec, exec, s[38:39]
	v_lshlrev_b32_e32 v98, 2, v79
	s_and_saveexec_b64 s[38:39], s[12:13]
	s_cbranch_execnz .LBB40_25
	s_branch .LBB40_26
.LBB40_38:                              ;   in Loop: Header=BB40_14 Depth=1
	v_mov_b32_e32 v99, s55
	v_add_co_u32_e64 v100, s[24:25], s54, v57
	v_addc_co_u32_e64 v101, s[24:25], v99, v58, s[24:25]
	v_add_co_u32_e64 v99, s[24:25], v100, v82
	v_addc_co_u32_e64 v100, s[24:25], 0, v101, s[24:25]
	global_load_dwordx4 v[99:102], v[99:100], off offset:192
	s_waitcnt vmcnt(0)
	ds_write_b128 v81, v[99:102]
	s_or_b64 exec, exec, s[38:39]
	s_and_saveexec_b64 s[38:39], s[10:11]
	s_cbranch_execz .LBB40_28
.LBB40_39:                              ;   in Loop: Header=BB40_14 Depth=1
	v_mov_b32_e32 v99, s55
	v_add_co_u32_e64 v100, s[24:25], s54, v59
	v_addc_co_u32_e64 v101, s[24:25], v99, v60, s[24:25]
	v_add_co_u32_e64 v99, s[24:25], v100, v83
	v_addc_co_u32_e64 v100, s[24:25], 0, v101, s[24:25]
	global_load_dwordx4 v[99:102], v[99:100], off offset:128
	s_waitcnt vmcnt(0)
	ds_write_b128 v78, v[99:102]
	s_or_b64 exec, exec, s[38:39]
	s_and_saveexec_b64 s[38:39], s[12:13]
	s_cbranch_execnz .LBB40_29
	s_branch .LBB40_30
.LBB40_40:
	v_mov_b32_e32 v4, v2
	v_mov_b32_e32 v3, v1
	v_cmp_gt_i32_e32 vcc, s26, v65
	s_and_saveexec_b64 s[2:3], vcc
	s_cbranch_execz .LBB40_11
.LBB40_41:
	s_load_dword s8, s[4:5], 0xd4
	v_mov_b32_e32 v6, 1.0
	s_waitcnt lgkmcnt(0)
	s_cmp_lg_u32 s8, 1
	s_cselect_b64 s[4:5], -1, 0
	s_cmp_eq_u32 s8, 1
	s_cselect_b64 s[2:3], -1, 0
	s_and_b64 vcc, exec, s[4:5]
	s_cbranch_vccnz .LBB40_43
; %bb.42:
	v_div_scale_f32 v5, s[10:11], v1, v1, 1.0
	v_div_scale_f32 v6, vcc, 1.0, v1, 1.0
	v_rcp_f32_e32 v7, v5
	v_fma_f32 v8, -v5, v7, 1.0
	v_fmac_f32_e32 v7, v8, v7
	v_mul_f32_e32 v8, v6, v7
	v_fma_f32 v9, -v5, v8, v6
	v_fmac_f32_e32 v8, v9, v7
	v_fma_f32 v5, -v5, v8, v6
	v_div_fmas_f32 v5, v5, v7, v8
	v_div_fixup_f32 v6, v5, v1, 1.0
.LBB40_43:
	s_mul_i32 s33, s33, s26
	v_add_u32_e32 v1, s33, v65
	v_mul_lo_u32 v1, v1, s27
	v_add_u32_e32 v1, s28, v1
	v_mul_lo_u32 v1, s8, v1
	v_add_u32_e32 v5, s7, v1
	s_and_saveexec_b64 s[6:7], s[0:1]
	s_cbranch_execz .LBB40_45
; %bb.44:
	s_movk_i32 s9, 0x70
	v_mad_u64_u32 v[7:8], s[10:11], v5, s9, v[49:50]
	v_mov_b32_e32 v8, 0
	v_mov_b32_e32 v1, s49
	v_lshlrev_b64 v[7:8], 2, v[7:8]
	v_cvt_f32_f16_sdwa v12, v69 dst_sel:DWORD dst_unused:UNUSED_PAD src0_sel:WORD_1
	v_add_co_u32_e32 v10, vcc, s48, v7
	v_addc_co_u32_e32 v11, vcc, v1, v8, vcc
	v_cvt_f32_f16_sdwa v1, v70 dst_sel:DWORD dst_unused:UNUSED_PAD src0_sel:WORD_1
	v_cvt_f32_f16_e32 v7, v70
	v_cvt_f32_f16_e32 v13, v69
	v_mul_f32_e32 v9, v6, v1
	v_mul_f32_e32 v8, v6, v7
	;; [unrolled: 1-line block ×4, first 2 shown]
	global_store_dwordx4 v[10:11], v[6:9], off
.LBB40_45:
	s_or_b64 exec, exec, s[6:7]
	v_cmp_eq_u32_e32 vcc, 0, v0
	s_and_b64 s[4:5], vcc, s[4:5]
	s_and_saveexec_b64 s[6:7], s[4:5]
	s_cbranch_execnz .LBB40_49
; %bb.46:
	s_or_b64 exec, exec, s[6:7]
	s_andn2_b64 vcc, exec, s[2:3]
	v_mov_b32_e32 v1, 1.0
	s_cbranch_vccz .LBB40_50
.LBB40_47:
	v_add_u32_e32 v0, s8, v5
	s_and_saveexec_b64 s[2:3], s[0:1]
	s_cbranch_execnz .LBB40_51
.LBB40_48:
	s_or_b64 exec, exec, s[2:3]
	s_and_b64 exec, exec, s[4:5]
	s_cbranch_execz .LBB40_11
	s_branch .LBB40_52
.LBB40_49:
	v_ashrrev_i32_e32 v6, 31, v5
	v_lshlrev_b64 v[0:1], 3, v[5:6]
	v_mov_b32_e32 v6, s51
	v_add_co_u32_e32 v0, vcc, s50, v0
	v_addc_co_u32_e32 v1, vcc, v6, v1, vcc
	v_mov_b32_e32 v6, v63
	v_mov_b32_e32 v7, v3
	global_store_dwordx2 v[0:1], v[6:7], off
	s_or_b64 exec, exec, s[6:7]
	s_andn2_b64 vcc, exec, s[2:3]
	v_mov_b32_e32 v1, 1.0
	s_cbranch_vccnz .LBB40_47
.LBB40_50:
	v_div_scale_f32 v0, s[2:3], v2, v2, 1.0
	v_div_scale_f32 v1, vcc, 1.0, v2, 1.0
	v_rcp_f32_e32 v3, v0
	v_fma_f32 v6, -v0, v3, 1.0
	v_fmac_f32_e32 v3, v6, v3
	v_mul_f32_e32 v6, v1, v3
	v_fma_f32 v7, -v0, v6, v1
	v_fmac_f32_e32 v6, v7, v3
	v_fma_f32 v0, -v0, v6, v1
	v_div_fmas_f32 v0, v0, v3, v6
	v_div_fixup_f32 v1, v0, v2, 1.0
	v_add_u32_e32 v0, s8, v5
	s_and_saveexec_b64 s[2:3], s[0:1]
	s_cbranch_execz .LBB40_48
.LBB40_51:
	s_movk_i32 s0, 0x70
	v_mad_u64_u32 v[2:3], s[0:1], v0, s0, v[49:50]
	v_mov_b32_e32 v3, 0
	v_mov_b32_e32 v5, s49
	v_lshlrev_b64 v[2:3], 2, v[2:3]
	v_cvt_f32_f16_e32 v6, v67
	v_add_co_u32_e32 v2, vcc, s48, v2
	v_addc_co_u32_e32 v3, vcc, v5, v3, vcc
	v_cvt_f32_f16_sdwa v5, v67 dst_sel:DWORD dst_unused:UNUSED_PAD src0_sel:WORD_1
	v_cvt_f32_f16_sdwa v9, v68 dst_sel:DWORD dst_unused:UNUSED_PAD src0_sel:WORD_1
	v_cvt_f32_f16_e32 v10, v68
	v_mul_f32_e32 v7, v1, v6
	v_mul_f32_e32 v8, v1, v5
	;; [unrolled: 1-line block ×4, first 2 shown]
	global_store_dwordx4 v[2:3], v[5:8], off
	s_or_b64 exec, exec, s[2:3]
	s_and_b64 exec, exec, s[4:5]
	s_cbranch_execz .LBB40_11
.LBB40_52:
	v_ashrrev_i32_e32 v1, 31, v0
	v_lshlrev_b64 v[0:1], 3, v[0:1]
	v_mov_b32_e32 v2, s51
	v_add_co_u32_e32 v0, vcc, s50, v0
	v_addc_co_u32_e32 v1, vcc, v2, v1, vcc
	v_mov_b32_e32 v3, v64
	global_store_dwordx2 v[0:1], v[3:4], off
	s_endpgm
	.section	.rodata,"a",@progbits
	.p2align	6, 0x0
	.amdhsa_kernel _ZL15flash_attn_tileILi112ELi112ELi8ELi2ELb0EEvPKcS1_S1_S1_S1_PKiPfP15HIP_vector_typeIfLj2EEffffjfiS5_IjLj3EEiiiiiiiiiiiliiliiiiil
		.amdhsa_group_segment_fixed_size 8768
		.amdhsa_private_segment_fixed_size 0
		.amdhsa_kernarg_size 464
		.amdhsa_user_sgpr_count 6
		.amdhsa_user_sgpr_private_segment_buffer 1
		.amdhsa_user_sgpr_dispatch_ptr 0
		.amdhsa_user_sgpr_queue_ptr 0
		.amdhsa_user_sgpr_kernarg_segment_ptr 1
		.amdhsa_user_sgpr_dispatch_id 0
		.amdhsa_user_sgpr_flat_scratch_init 0
		.amdhsa_user_sgpr_private_segment_size 0
		.amdhsa_uses_dynamic_stack 0
		.amdhsa_system_sgpr_private_segment_wavefront_offset 0
		.amdhsa_system_sgpr_workgroup_id_x 1
		.amdhsa_system_sgpr_workgroup_id_y 1
		.amdhsa_system_sgpr_workgroup_id_z 1
		.amdhsa_system_sgpr_workgroup_info 0
		.amdhsa_system_vgpr_workitem_id 1
		.amdhsa_next_free_vgpr 113
		.amdhsa_next_free_sgpr 77
		.amdhsa_reserve_vcc 1
		.amdhsa_reserve_flat_scratch 0
		.amdhsa_float_round_mode_32 0
		.amdhsa_float_round_mode_16_64 0
		.amdhsa_float_denorm_mode_32 3
		.amdhsa_float_denorm_mode_16_64 3
		.amdhsa_dx10_clamp 1
		.amdhsa_ieee_mode 1
		.amdhsa_fp16_overflow 0
		.amdhsa_exception_fp_ieee_invalid_op 0
		.amdhsa_exception_fp_denorm_src 0
		.amdhsa_exception_fp_ieee_div_zero 0
		.amdhsa_exception_fp_ieee_overflow 0
		.amdhsa_exception_fp_ieee_underflow 0
		.amdhsa_exception_fp_ieee_inexact 0
		.amdhsa_exception_int_div_zero 0
	.end_amdhsa_kernel
	.section	.text._ZL15flash_attn_tileILi112ELi112ELi8ELi2ELb0EEvPKcS1_S1_S1_S1_PKiPfP15HIP_vector_typeIfLj2EEffffjfiS5_IjLj3EEiiiiiiiiiiiliiliiiiil,"axG",@progbits,_ZL15flash_attn_tileILi112ELi112ELi8ELi2ELb0EEvPKcS1_S1_S1_S1_PKiPfP15HIP_vector_typeIfLj2EEffffjfiS5_IjLj3EEiiiiiiiiiiiliiliiiiil,comdat
.Lfunc_end40:
	.size	_ZL15flash_attn_tileILi112ELi112ELi8ELi2ELb0EEvPKcS1_S1_S1_S1_PKiPfP15HIP_vector_typeIfLj2EEffffjfiS5_IjLj3EEiiiiiiiiiiiliiliiiiil, .Lfunc_end40-_ZL15flash_attn_tileILi112ELi112ELi8ELi2ELb0EEvPKcS1_S1_S1_S1_PKiPfP15HIP_vector_typeIfLj2EEffffjfiS5_IjLj3EEiiiiiiiiiiiliiliiiiil
                                        ; -- End function
	.set _ZL15flash_attn_tileILi112ELi112ELi8ELi2ELb0EEvPKcS1_S1_S1_S1_PKiPfP15HIP_vector_typeIfLj2EEffffjfiS5_IjLj3EEiiiiiiiiiiiliiliiiiil.num_vgpr, 113
	.set _ZL15flash_attn_tileILi112ELi112ELi8ELi2ELb0EEvPKcS1_S1_S1_S1_PKiPfP15HIP_vector_typeIfLj2EEffffjfiS5_IjLj3EEiiiiiiiiiiiliiliiiiil.num_agpr, 0
	.set _ZL15flash_attn_tileILi112ELi112ELi8ELi2ELb0EEvPKcS1_S1_S1_S1_PKiPfP15HIP_vector_typeIfLj2EEffffjfiS5_IjLj3EEiiiiiiiiiiiliiliiiiil.numbered_sgpr, 56
	.set _ZL15flash_attn_tileILi112ELi112ELi8ELi2ELb0EEvPKcS1_S1_S1_S1_PKiPfP15HIP_vector_typeIfLj2EEffffjfiS5_IjLj3EEiiiiiiiiiiiliiliiiiil.num_named_barrier, 0
	.set _ZL15flash_attn_tileILi112ELi112ELi8ELi2ELb0EEvPKcS1_S1_S1_S1_PKiPfP15HIP_vector_typeIfLj2EEffffjfiS5_IjLj3EEiiiiiiiiiiiliiliiiiil.private_seg_size, 0
	.set _ZL15flash_attn_tileILi112ELi112ELi8ELi2ELb0EEvPKcS1_S1_S1_S1_PKiPfP15HIP_vector_typeIfLj2EEffffjfiS5_IjLj3EEiiiiiiiiiiiliiliiiiil.uses_vcc, 1
	.set _ZL15flash_attn_tileILi112ELi112ELi8ELi2ELb0EEvPKcS1_S1_S1_S1_PKiPfP15HIP_vector_typeIfLj2EEffffjfiS5_IjLj3EEiiiiiiiiiiiliiliiiiil.uses_flat_scratch, 0
	.set _ZL15flash_attn_tileILi112ELi112ELi8ELi2ELb0EEvPKcS1_S1_S1_S1_PKiPfP15HIP_vector_typeIfLj2EEffffjfiS5_IjLj3EEiiiiiiiiiiiliiliiiiil.has_dyn_sized_stack, 0
	.set _ZL15flash_attn_tileILi112ELi112ELi8ELi2ELb0EEvPKcS1_S1_S1_S1_PKiPfP15HIP_vector_typeIfLj2EEffffjfiS5_IjLj3EEiiiiiiiiiiiliiliiiiil.has_recursion, 0
	.set _ZL15flash_attn_tileILi112ELi112ELi8ELi2ELb0EEvPKcS1_S1_S1_S1_PKiPfP15HIP_vector_typeIfLj2EEffffjfiS5_IjLj3EEiiiiiiiiiiiliiliiiiil.has_indirect_call, 0
	.section	.AMDGPU.csdata,"",@progbits
; Kernel info:
; codeLenInByte = 8084
; TotalNumSgprs: 60
; NumVgprs: 113
; ScratchSize: 0
; MemoryBound: 0
; FloatMode: 240
; IeeeMode: 1
; LDSByteSize: 8768 bytes/workgroup (compile time only)
; SGPRBlocks: 10
; VGPRBlocks: 28
; NumSGPRsForWavesPerEU: 81
; NumVGPRsForWavesPerEU: 113
; Occupancy: 2
; WaveLimiterHint : 1
; COMPUTE_PGM_RSRC2:SCRATCH_EN: 0
; COMPUTE_PGM_RSRC2:USER_SGPR: 6
; COMPUTE_PGM_RSRC2:TRAP_HANDLER: 0
; COMPUTE_PGM_RSRC2:TGID_X_EN: 1
; COMPUTE_PGM_RSRC2:TGID_Y_EN: 1
; COMPUTE_PGM_RSRC2:TGID_Z_EN: 1
; COMPUTE_PGM_RSRC2:TIDIG_COMP_CNT: 1
	.section	.text._ZL33flash_attn_stream_k_fixup_uniformILi112ELi8ELi2EEvPfPK15HIP_vector_typeIfLj2EEiiiiiiS1_IjLj3EES5_S5_,"axG",@progbits,_ZL33flash_attn_stream_k_fixup_uniformILi112ELi8ELi2EEvPfPK15HIP_vector_typeIfLj2EEiiiiiiS1_IjLj3EES5_S5_,comdat
	.globl	_ZL33flash_attn_stream_k_fixup_uniformILi112ELi8ELi2EEvPfPK15HIP_vector_typeIfLj2EEiiiiiiS1_IjLj3EES5_S5_ ; -- Begin function _ZL33flash_attn_stream_k_fixup_uniformILi112ELi8ELi2EEvPfPK15HIP_vector_typeIfLj2EEiiiiiiS1_IjLj3EES5_S5_
	.p2align	8
	.type	_ZL33flash_attn_stream_k_fixup_uniformILi112ELi8ELi2EEvPfPK15HIP_vector_typeIfLj2EEiiiiiiS1_IjLj3EES5_S5_,@function
_ZL33flash_attn_stream_k_fixup_uniformILi112ELi8ELi2EEvPfPK15HIP_vector_typeIfLj2EEiiiiiiS1_IjLj3EES5_S5_: ; @_ZL33flash_attn_stream_k_fixup_uniformILi112ELi8ELi2EEvPfPK15HIP_vector_typeIfLj2EEiiiiiiS1_IjLj3EES5_S5_
; %bb.0:
	s_load_dwordx8 s[12:19], s[4:5], 0x1c
	s_load_dwordx2 s[10:11], s[4:5], 0x10
	s_load_dwordx4 s[0:3], s[4:5], 0x3c
	s_waitcnt lgkmcnt(0)
	s_mul_hi_u32 s9, s15, s6
	s_add_i32 s9, s6, s9
	s_lshr_b32 s9, s9, s16
	s_mul_i32 s15, s9, s17
	s_sub_i32 s16, s6, s15
	s_mul_hi_u32 s15, s16, s18
	s_add_i32 s15, s16, s15
	s_lshr_b32 s15, s15, s19
	s_mul_i32 s0, s15, s0
	s_sub_i32 s0, s16, s0
	;; [unrolled: 5-line block ×3, first 2 shown]
	s_lshl_b32 s0, s16, 3
	s_lshl_b32 s17, s1, 1
	s_add_i32 s0, s0, s7
	s_cmp_lt_i32 s0, s10
	s_cselect_b64 s[0:1], -1, 0
	s_add_i32 s17, s17, s8
	s_cmp_lt_i32 s17, s13
	s_cselect_b64 s[2:3], -1, 0
	s_and_b64 s[0:1], s[0:1], s[2:3]
	s_andn2_b64 vcc, exec, s[0:1]
	s_cbranch_vccnz .LBB41_6
; %bb.1:
	s_load_dwordx4 s[0:3], s[4:5], 0x0
	s_mul_i32 s4, s9, s10
	s_mul_i32 s15, s15, s13
	s_add_i32 s4, s4, s7
	s_mul_i32 s4, s4, s11
	s_add_i32 s9, s17, s15
	;; [unrolled: 2-line block ×3, first 2 shown]
	s_mulk_i32 s5, 0x380
	s_mulk_i32 s4, 0x70
	s_add_i32 s4, s4, s5
	v_add_u32_e32 v1, s4, v0
	v_ashrrev_i32_e32 v2, 31, v1
	v_lshlrev_b64 v[1:2], 2, v[1:2]
	s_waitcnt lgkmcnt(0)
	v_mov_b32_e32 v3, s1
	v_add_co_u32_e32 v1, vcc, s0, v1
	v_addc_co_u32_e32 v2, vcc, v3, v2, vcc
	global_load_dword v8, v[1:2], off
	s_mul_i32 s9, s14, s6
	s_lshl_b32 s4, s7, 1
	s_add_i32 s11, s9, s14
	s_add_i32 s0, s4, s8
	s_lshl_b32 s1, s11, 4
	s_add_i32 s0, s0, s1
	s_add_i32 s0, s0, -16
	s_ashr_i32 s1, s0, 31
	s_lshl_b64 s[0:1], s[0:1], 3
	s_add_u32 s0, s2, s0
	s_addc_u32 s1, s3, s1
	s_load_dword s5, s[0:1], 0x4
	s_add_i32 s10, s11, -2
	s_cmp_lt_i32 s10, s9
	s_cbranch_scc1 .LBB41_4
; %bb.2:
	s_lshl_b32 s16, s12, 6
	s_ashr_i32 s17, s16, 31
	s_lshl_b64 s[16:17], s[16:17], 2
	s_add_u32 s10, s2, s16
	s_addc_u32 s13, s3, s17
	s_add_i32 s6, s6, 1
	s_load_dword s0, s[0:1], 0x0
	s_mul_i32 s1, s14, s6
	s_lshl_b32 s6, s1, 4
	s_add_i32 s6, s8, s6
	s_lshl_b32 s12, s12, 4
	s_add_i32 s6, s6, s12
	s_add_i32 s6, s6, s4
	s_sub_i32 s4, s6, 32
	s_mulk_i32 s7, 0xe0
	s_mul_i32 s6, s8, 0x70
	s_mulk_i32 s1, 0x700
	s_add_i32 s6, s6, s7
	s_add_i32 s6, s6, s1
	v_add_u32_e32 v0, s6, v0
	s_add_i32 s11, s11, -1
	v_add_u32_e32 v3, 0xfffff200, v0
	s_waitcnt lgkmcnt(0)
	v_mov_b32_e32 v7, s5
	v_mov_b32_e32 v6, s0
	;; [unrolled: 1-line block ×3, first 2 shown]
	s_mov_b32 s6, 0x3fb8aa3b
	s_mov_b32 s7, 0xc2ce8ed0
	;; [unrolled: 1-line block ×3, first 2 shown]
	v_mov_b32_e32 v5, 0x7f800000
	s_mov_b32 s12, 0xc1a00000
.LBB41_3:                               ; =>This Inner Loop Header: Depth=1
	v_ashrrev_i32_e32 v4, 31, v3
	v_lshlrev_b64 v[9:10], 2, v[3:4]
	s_ashr_i32 s5, s4, 31
	v_add_co_u32_e32 v9, vcc, s10, v9
	v_addc_co_u32_e32 v10, vcc, v0, v10, vcc
	global_load_dword v4, v[9:10], off
	s_lshl_b64 s[0:1], s[4:5], 3
	s_add_u32 s0, s2, s0
	s_addc_u32 s1, s3, s1
	s_load_dwordx2 s[14:15], s[0:1], 0x0
	s_waitcnt vmcnt(1)
	v_mov_b32_e32 v9, v8
	v_max_f32_e32 v8, v6, v6
	v_mov_b32_e32 v10, v7
	s_add_i32 s11, s11, -1
	s_waitcnt lgkmcnt(0)
	v_max_f32_e64 v7, s14, s14
	v_max_f32_e32 v7, v8, v7
	v_sub_f32_e32 v11, s14, v7
	v_sub_f32_e32 v8, v6, v7
	v_mul_f32_e32 v12, 0x3fb8aa3b, v11
	v_mov_b32_e32 v6, v7
	v_mul_f32_e32 v7, 0x3fb8aa3b, v8
	v_fma_f32 v15, v11, s6, -v12
	v_rndne_f32_e32 v16, v12
	v_fma_f32 v13, v8, s6, -v7
	v_rndne_f32_e32 v14, v7
	v_fmac_f32_e32 v15, 0x32a5705f, v11
	v_sub_f32_e32 v12, v12, v16
	v_fmac_f32_e32 v13, 0x32a5705f, v8
	v_sub_f32_e32 v7, v7, v14
	v_add_f32_e32 v12, v12, v15
	v_cvt_i32_f32_e32 v16, v16
	v_add_f32_e32 v7, v7, v13
	v_exp_f32_e32 v12, v12
	v_cvt_i32_f32_e32 v14, v14
	v_exp_f32_e32 v7, v7
	v_cmp_ngt_f32_e32 vcc, s7, v11
	v_ldexp_f32 v12, v12, v16
	v_cmp_ngt_f32_e64 s[0:1], s7, v8
	v_ldexp_f32 v7, v7, v14
	v_cndmask_b32_e32 v12, 0, v12, vcc
	v_cmp_nlt_f32_e32 vcc, s8, v11
	v_cndmask_b32_e64 v7, 0, v7, s[0:1]
	v_cmp_nlt_f32_e64 s[0:1], s8, v8
	v_cndmask_b32_e32 v12, v5, v12, vcc
	v_cmp_le_f32_e32 vcc, s12, v11
	v_cndmask_b32_e64 v7, v5, v7, s[0:1]
	v_cmp_le_f32_e64 s[0:1], s12, v8
	v_cndmask_b32_e32 v8, 0, v12, vcc
	s_add_i32 s4, s4, -16
	v_cndmask_b32_e64 v11, 0, v7, s[0:1]
	v_mul_f32_e32 v7, s15, v8
	v_add_u32_e32 v3, 0xfffff900, v3
	s_cmp_le_i32 s11, s9
	v_fmac_f32_e32 v7, v10, v11
	s_waitcnt vmcnt(0)
	v_mul_f32_e32 v8, v4, v8
	v_fmac_f32_e32 v8, v9, v11
	s_cbranch_scc0 .LBB41_3
	s_branch .LBB41_5
.LBB41_4:
	s_waitcnt lgkmcnt(0)
	v_mov_b32_e32 v7, s5
.LBB41_5:
	s_waitcnt vmcnt(0)
	v_div_scale_f32 v0, s[0:1], v7, v7, v8
	v_div_scale_f32 v3, vcc, v8, v7, v8
	v_rcp_f32_e32 v4, v0
	v_fma_f32 v5, -v0, v4, 1.0
	v_fmac_f32_e32 v4, v5, v4
	v_mul_f32_e32 v5, v3, v4
	v_fma_f32 v6, -v0, v5, v3
	v_fmac_f32_e32 v5, v6, v4
	v_fma_f32 v0, -v0, v5, v3
	v_div_fmas_f32 v0, v0, v4, v5
	v_div_fixup_f32 v0, v0, v7, v8
	global_store_dword v[1:2], v0, off
.LBB41_6:
	s_endpgm
	.section	.rodata,"a",@progbits
	.p2align	6, 0x0
	.amdhsa_kernel _ZL33flash_attn_stream_k_fixup_uniformILi112ELi8ELi2EEvPfPK15HIP_vector_typeIfLj2EEiiiiiiS1_IjLj3EES5_S5_
		.amdhsa_group_segment_fixed_size 0
		.amdhsa_private_segment_fixed_size 0
		.amdhsa_kernarg_size 76
		.amdhsa_user_sgpr_count 6
		.amdhsa_user_sgpr_private_segment_buffer 1
		.amdhsa_user_sgpr_dispatch_ptr 0
		.amdhsa_user_sgpr_queue_ptr 0
		.amdhsa_user_sgpr_kernarg_segment_ptr 1
		.amdhsa_user_sgpr_dispatch_id 0
		.amdhsa_user_sgpr_flat_scratch_init 0
		.amdhsa_user_sgpr_private_segment_size 0
		.amdhsa_uses_dynamic_stack 0
		.amdhsa_system_sgpr_private_segment_wavefront_offset 0
		.amdhsa_system_sgpr_workgroup_id_x 1
		.amdhsa_system_sgpr_workgroup_id_y 1
		.amdhsa_system_sgpr_workgroup_id_z 1
		.amdhsa_system_sgpr_workgroup_info 0
		.amdhsa_system_vgpr_workitem_id 0
		.amdhsa_next_free_vgpr 17
		.amdhsa_next_free_sgpr 20
		.amdhsa_reserve_vcc 1
		.amdhsa_reserve_flat_scratch 0
		.amdhsa_float_round_mode_32 0
		.amdhsa_float_round_mode_16_64 0
		.amdhsa_float_denorm_mode_32 3
		.amdhsa_float_denorm_mode_16_64 3
		.amdhsa_dx10_clamp 1
		.amdhsa_ieee_mode 1
		.amdhsa_fp16_overflow 0
		.amdhsa_exception_fp_ieee_invalid_op 0
		.amdhsa_exception_fp_denorm_src 0
		.amdhsa_exception_fp_ieee_div_zero 0
		.amdhsa_exception_fp_ieee_overflow 0
		.amdhsa_exception_fp_ieee_underflow 0
		.amdhsa_exception_fp_ieee_inexact 0
		.amdhsa_exception_int_div_zero 0
	.end_amdhsa_kernel
	.section	.text._ZL33flash_attn_stream_k_fixup_uniformILi112ELi8ELi2EEvPfPK15HIP_vector_typeIfLj2EEiiiiiiS1_IjLj3EES5_S5_,"axG",@progbits,_ZL33flash_attn_stream_k_fixup_uniformILi112ELi8ELi2EEvPfPK15HIP_vector_typeIfLj2EEiiiiiiS1_IjLj3EES5_S5_,comdat
.Lfunc_end41:
	.size	_ZL33flash_attn_stream_k_fixup_uniformILi112ELi8ELi2EEvPfPK15HIP_vector_typeIfLj2EEiiiiiiS1_IjLj3EES5_S5_, .Lfunc_end41-_ZL33flash_attn_stream_k_fixup_uniformILi112ELi8ELi2EEvPfPK15HIP_vector_typeIfLj2EEiiiiiiS1_IjLj3EES5_S5_
                                        ; -- End function
	.set _ZL33flash_attn_stream_k_fixup_uniformILi112ELi8ELi2EEvPfPK15HIP_vector_typeIfLj2EEiiiiiiS1_IjLj3EES5_S5_.num_vgpr, 17
	.set _ZL33flash_attn_stream_k_fixup_uniformILi112ELi8ELi2EEvPfPK15HIP_vector_typeIfLj2EEiiiiiiS1_IjLj3EES5_S5_.num_agpr, 0
	.set _ZL33flash_attn_stream_k_fixup_uniformILi112ELi8ELi2EEvPfPK15HIP_vector_typeIfLj2EEiiiiiiS1_IjLj3EES5_S5_.numbered_sgpr, 20
	.set _ZL33flash_attn_stream_k_fixup_uniformILi112ELi8ELi2EEvPfPK15HIP_vector_typeIfLj2EEiiiiiiS1_IjLj3EES5_S5_.num_named_barrier, 0
	.set _ZL33flash_attn_stream_k_fixup_uniformILi112ELi8ELi2EEvPfPK15HIP_vector_typeIfLj2EEiiiiiiS1_IjLj3EES5_S5_.private_seg_size, 0
	.set _ZL33flash_attn_stream_k_fixup_uniformILi112ELi8ELi2EEvPfPK15HIP_vector_typeIfLj2EEiiiiiiS1_IjLj3EES5_S5_.uses_vcc, 1
	.set _ZL33flash_attn_stream_k_fixup_uniformILi112ELi8ELi2EEvPfPK15HIP_vector_typeIfLj2EEiiiiiiS1_IjLj3EES5_S5_.uses_flat_scratch, 0
	.set _ZL33flash_attn_stream_k_fixup_uniformILi112ELi8ELi2EEvPfPK15HIP_vector_typeIfLj2EEiiiiiiS1_IjLj3EES5_S5_.has_dyn_sized_stack, 0
	.set _ZL33flash_attn_stream_k_fixup_uniformILi112ELi8ELi2EEvPfPK15HIP_vector_typeIfLj2EEiiiiiiS1_IjLj3EES5_S5_.has_recursion, 0
	.set _ZL33flash_attn_stream_k_fixup_uniformILi112ELi8ELi2EEvPfPK15HIP_vector_typeIfLj2EEiiiiiiS1_IjLj3EES5_S5_.has_indirect_call, 0
	.section	.AMDGPU.csdata,"",@progbits
; Kernel info:
; codeLenInByte = 856
; TotalNumSgprs: 24
; NumVgprs: 17
; ScratchSize: 0
; MemoryBound: 0
; FloatMode: 240
; IeeeMode: 1
; LDSByteSize: 0 bytes/workgroup (compile time only)
; SGPRBlocks: 2
; VGPRBlocks: 4
; NumSGPRsForWavesPerEU: 24
; NumVGPRsForWavesPerEU: 17
; Occupancy: 10
; WaveLimiterHint : 0
; COMPUTE_PGM_RSRC2:SCRATCH_EN: 0
; COMPUTE_PGM_RSRC2:USER_SGPR: 6
; COMPUTE_PGM_RSRC2:TRAP_HANDLER: 0
; COMPUTE_PGM_RSRC2:TGID_X_EN: 1
; COMPUTE_PGM_RSRC2:TGID_Y_EN: 1
; COMPUTE_PGM_RSRC2:TGID_Z_EN: 1
; COMPUTE_PGM_RSRC2:TIDIG_COMP_CNT: 0
	.section	.text._ZL33flash_attn_stream_k_fixup_generalILi112ELi8ELi2EEvPfPK15HIP_vector_typeIfLj2EEiiiiS1_IjLj3EES5_S5_S5_,"axG",@progbits,_ZL33flash_attn_stream_k_fixup_generalILi112ELi8ELi2EEvPfPK15HIP_vector_typeIfLj2EEiiiiS1_IjLj3EES5_S5_S5_,comdat
	.globl	_ZL33flash_attn_stream_k_fixup_generalILi112ELi8ELi2EEvPfPK15HIP_vector_typeIfLj2EEiiiiS1_IjLj3EES5_S5_S5_ ; -- Begin function _ZL33flash_attn_stream_k_fixup_generalILi112ELi8ELi2EEvPfPK15HIP_vector_typeIfLj2EEiiiiS1_IjLj3EES5_S5_S5_
	.p2align	8
	.type	_ZL33flash_attn_stream_k_fixup_generalILi112ELi8ELi2EEvPfPK15HIP_vector_typeIfLj2EEiiiiS1_IjLj3EES5_S5_S5_,@function
_ZL33flash_attn_stream_k_fixup_generalILi112ELi8ELi2EEvPfPK15HIP_vector_typeIfLj2EEiiiiS1_IjLj3EES5_S5_S5_: ; @_ZL33flash_attn_stream_k_fixup_generalILi112ELi8ELi2EEvPfPK15HIP_vector_typeIfLj2EEiiiiS1_IjLj3EES5_S5_S5_
; %bb.0:
	s_load_dwordx4 s[0:3], s[4:5], 0x10
	s_load_dword s22, s[4:5], 0x50
	s_mov_b32 s12, 0
	s_waitcnt lgkmcnt(0)
	s_mul_hi_i32 s13, s3, s6
	s_cmp_lg_u64 s[12:13], 0
	s_mul_i32 s9, s3, s6
	s_cbranch_scc0 .LBB42_20
; %bb.1:
	s_add_u32 s10, s22, 0
	s_addc_u32 s11, 0, 0
	s_xor_b64 s[10:11], s[10:11], 0
	v_cvt_f32_u32_e32 v1, s10
	v_cvt_f32_u32_e32 v2, s11
	s_sub_u32 s12, 0, s10
	s_subb_u32 s18, 0, s11
	v_madmk_f32 v1, v2, 0x4f800000, v1
	v_rcp_f32_e32 v1, v1
	v_mul_f32_e32 v1, 0x5f7ffffc, v1
	v_mul_f32_e32 v2, 0x2f800000, v1
	v_trunc_f32_e32 v2, v2
	v_madmk_f32 v1, v2, 0xcf800000, v1
	v_cvt_u32_f32_e32 v2, v2
	v_cvt_u32_f32_e32 v1, v1
	v_readfirstlane_b32 s19, v2
	v_readfirstlane_b32 s14, v1
	s_mul_i32 s15, s12, s19
	s_mul_hi_u32 s21, s12, s14
	s_mul_i32 s20, s18, s14
	s_add_i32 s15, s21, s15
	s_add_i32 s15, s15, s20
	s_mul_i32 s23, s12, s14
	s_mul_i32 s21, s14, s15
	s_mul_hi_u32 s24, s14, s23
	s_mul_hi_u32 s20, s14, s15
	s_add_u32 s21, s24, s21
	s_addc_u32 s20, 0, s20
	s_mul_hi_u32 s25, s19, s23
	s_mul_i32 s23, s19, s23
	s_add_u32 s21, s21, s23
	s_mul_hi_u32 s24, s19, s15
	s_addc_u32 s20, s20, s25
	s_addc_u32 s21, s24, 0
	s_mul_i32 s15, s19, s15
	s_add_u32 s15, s20, s15
	s_addc_u32 s20, 0, s21
	s_add_u32 s21, s14, s15
	s_cselect_b64 s[14:15], -1, 0
	s_cmp_lg_u64 s[14:15], 0
	s_addc_u32 s19, s19, s20
	s_mul_i32 s14, s12, s19
	s_mul_hi_u32 s15, s12, s21
	s_add_i32 s14, s15, s14
	s_mul_i32 s18, s18, s21
	s_add_i32 s14, s14, s18
	s_mul_i32 s12, s12, s21
	s_mul_hi_u32 s18, s19, s12
	s_mul_i32 s20, s19, s12
	s_mul_i32 s24, s21, s14
	s_mul_hi_u32 s12, s21, s12
	s_mul_hi_u32 s23, s21, s14
	s_add_u32 s12, s12, s24
	s_addc_u32 s23, 0, s23
	s_add_u32 s12, s12, s20
	s_mul_hi_u32 s15, s19, s14
	s_addc_u32 s12, s23, s18
	s_addc_u32 s15, s15, 0
	s_mul_i32 s14, s19, s14
	s_add_u32 s12, s12, s14
	s_addc_u32 s18, 0, s15
	s_add_u32 s20, s21, s12
	s_cselect_b64 s[14:15], -1, 0
	s_cmp_lg_u64 s[14:15], 0
	s_addc_u32 s18, s19, s18
	s_ashr_i32 s14, s13, 31
	s_add_u32 s12, s9, s14
	s_mov_b32 s15, s14
	s_addc_u32 s13, s13, s14
	s_xor_b64 s[12:13], s[12:13], s[14:15]
	s_mul_i32 s21, s12, s18
	s_mul_hi_u32 s23, s12, s20
	s_mul_hi_u32 s19, s12, s18
	s_add_u32 s21, s23, s21
	s_addc_u32 s19, 0, s19
	s_mul_hi_u32 s24, s13, s20
	s_mul_i32 s20, s13, s20
	s_add_u32 s20, s21, s20
	s_mul_hi_u32 s23, s13, s18
	s_addc_u32 s19, s19, s24
	s_addc_u32 s20, s23, 0
	s_mul_i32 s18, s13, s18
	s_add_u32 s23, s19, s18
	s_addc_u32 s24, 0, s20
	s_mul_i32 s18, s10, s24
	s_mul_hi_u32 s19, s10, s23
	s_add_i32 s18, s19, s18
	s_mul_i32 s19, s11, s23
	s_add_i32 s25, s18, s19
	s_sub_i32 s20, s13, s25
	s_mul_i32 s18, s10, s23
	s_sub_u32 s12, s12, s18
	s_cselect_b64 s[18:19], -1, 0
	s_cmp_lg_u64 s[18:19], 0
	s_subb_u32 s26, s20, s11
	s_sub_u32 s27, s12, s10
	s_cselect_b64 s[20:21], -1, 0
	s_cmp_lg_u64 s[20:21], 0
	s_subb_u32 s20, s26, 0
	s_cmp_ge_u32 s20, s11
	s_cselect_b32 s21, -1, 0
	s_cmp_ge_u32 s27, s10
	s_cselect_b32 s26, -1, 0
	s_cmp_eq_u32 s20, s11
	s_cselect_b32 s20, s26, s21
	s_add_u32 s21, s23, 1
	s_addc_u32 s26, s24, 0
	s_add_u32 s27, s23, 2
	s_addc_u32 s28, s24, 0
	s_cmp_lg_u32 s20, 0
	s_cselect_b32 s20, s27, s21
	s_cselect_b32 s21, s28, s26
	s_cmp_lg_u64 s[18:19], 0
	s_subb_u32 s13, s13, s25
	s_cmp_ge_u32 s13, s11
	s_cselect_b32 s18, -1, 0
	s_cmp_ge_u32 s12, s10
	s_cselect_b32 s10, -1, 0
	s_cmp_eq_u32 s13, s11
	s_cselect_b32 s10, s10, s18
	s_cmp_lg_u32 s10, 0
	s_cselect_b32 s11, s21, s24
	s_cselect_b32 s10, s20, s23
	s_xor_b64 s[12:13], s[14:15], 0
	s_xor_b64 s[10:11], s[10:11], s[12:13]
	s_sub_u32 s10, s10, s12
	s_load_dwordx4 s[12:15], s[4:5], 0x44
	s_cbranch_execnz .LBB42_3
.LBB42_2:
	v_cvt_f32_u32_e32 v1, s22
	s_sub_i32 s10, 0, s22
	v_rcp_iflag_f32_e32 v1, v1
	v_mul_f32_e32 v1, 0x4f7ffffe, v1
	v_cvt_u32_f32_e32 v1, v1
	v_readfirstlane_b32 s11, v1
	s_mul_i32 s10, s10, s11
	s_mul_hi_u32 s10, s11, s10
	s_add_i32 s11, s11, s10
	s_mul_hi_u32 s10, s9, s11
	s_waitcnt lgkmcnt(0)
	s_mul_i32 s15, s10, s22
	s_sub_i32 s9, s9, s15
	s_add_i32 s11, s10, 1
	s_sub_i32 s15, s9, s22
	s_cmp_ge_u32 s9, s22
	s_cselect_b32 s10, s11, s10
	s_cselect_b32 s9, s15, s9
	s_add_i32 s11, s10, 1
	s_cmp_ge_u32 s9, s22
	s_cselect_b32 s10, s11, s10
.LBB42_3:
	s_add_i32 s9, s6, 1
	s_mul_hi_i32 s21, s3, s9
	s_mov_b32 s20, 0
	s_cmp_lg_u64 s[20:21], 0
	s_mul_i32 s9, s3, s9
	s_cbranch_scc0 .LBB42_21
; %bb.4:
	s_add_u32 s16, s22, 0
	s_addc_u32 s17, 0, 0
	s_xor_b64 s[18:19], s[16:17], 0
	v_cvt_f32_u32_e32 v1, s18
	v_cvt_f32_u32_e32 v2, s19
	s_sub_u32 s11, 0, s18
	s_waitcnt lgkmcnt(0)
	s_subb_u32 s15, 0, s19
	v_madmk_f32 v1, v2, 0x4f800000, v1
	v_rcp_f32_e32 v1, v1
	v_mul_f32_e32 v1, 0x5f7ffffc, v1
	v_mul_f32_e32 v2, 0x2f800000, v1
	v_trunc_f32_e32 v2, v2
	v_madmk_f32 v1, v2, 0xcf800000, v1
	v_cvt_u32_f32_e32 v2, v2
	v_cvt_u32_f32_e32 v1, v1
	v_readfirstlane_b32 s20, v2
	v_readfirstlane_b32 s23, v1
	s_mul_i32 s24, s11, s20
	s_mul_hi_u32 s26, s11, s23
	s_mul_i32 s25, s15, s23
	s_add_i32 s24, s26, s24
	s_add_i32 s24, s24, s25
	s_mul_i32 s27, s11, s23
	s_mul_i32 s26, s23, s24
	s_mul_hi_u32 s28, s23, s27
	s_mul_hi_u32 s25, s23, s24
	s_add_u32 s26, s28, s26
	s_addc_u32 s25, 0, s25
	s_mul_hi_u32 s29, s20, s27
	s_mul_i32 s27, s20, s27
	s_add_u32 s26, s26, s27
	s_mul_hi_u32 s28, s20, s24
	s_addc_u32 s25, s25, s29
	s_addc_u32 s26, s28, 0
	s_mul_i32 s24, s20, s24
	s_add_u32 s24, s25, s24
	s_addc_u32 s26, 0, s26
	s_add_u32 s23, s23, s24
	s_cselect_b64 s[24:25], -1, 0
	s_cmp_lg_u64 s[24:25], 0
	s_addc_u32 s20, s20, s26
	s_mul_i32 s24, s11, s20
	s_mul_hi_u32 s25, s11, s23
	s_add_i32 s24, s25, s24
	s_mul_i32 s15, s15, s23
	s_add_i32 s24, s24, s15
	s_mul_i32 s11, s11, s23
	s_mul_hi_u32 s25, s20, s11
	s_mul_i32 s26, s20, s11
	s_mul_i32 s28, s23, s24
	s_mul_hi_u32 s11, s23, s11
	s_mul_hi_u32 s27, s23, s24
	s_add_u32 s11, s11, s28
	s_addc_u32 s27, 0, s27
	s_add_u32 s11, s11, s26
	s_mul_hi_u32 s15, s20, s24
	s_addc_u32 s11, s27, s25
	s_addc_u32 s15, s15, 0
	s_mul_i32 s24, s20, s24
	s_add_u32 s11, s11, s24
	s_addc_u32 s15, 0, s15
	s_add_u32 s11, s23, s11
	s_cselect_b64 s[24:25], -1, 0
	s_cmp_lg_u64 s[24:25], 0
	s_addc_u32 s15, s20, s15
	s_ashr_i32 s24, s21, 31
	s_add_u32 s20, s9, s24
	s_mov_b32 s25, s24
	s_addc_u32 s21, s21, s24
	s_xor_b64 s[20:21], s[20:21], s[24:25]
	s_mul_i32 s26, s20, s15
	s_mul_hi_u32 s27, s20, s11
	s_mul_hi_u32 s23, s20, s15
	s_add_u32 s26, s27, s26
	s_addc_u32 s23, 0, s23
	s_mul_hi_u32 s28, s21, s11
	s_mul_i32 s11, s21, s11
	s_add_u32 s11, s26, s11
	s_mul_hi_u32 s27, s21, s15
	s_addc_u32 s11, s23, s28
	s_addc_u32 s23, s27, 0
	s_mul_i32 s15, s21, s15
	s_add_u32 s11, s11, s15
	s_addc_u32 s15, 0, s23
	s_mul_i32 s23, s18, s15
	s_mul_hi_u32 s26, s18, s11
	s_add_i32 s23, s26, s23
	s_mul_i32 s26, s19, s11
	s_add_i32 s23, s23, s26
	s_sub_i32 s28, s21, s23
	s_mul_i32 s26, s18, s11
	s_sub_u32 s20, s20, s26
	s_cselect_b64 s[26:27], -1, 0
	s_cmp_lg_u64 s[26:27], 0
	s_subb_u32 s30, s28, s19
	s_sub_u32 s31, s20, s18
	s_cselect_b64 s[28:29], -1, 0
	s_cmp_lg_u64 s[28:29], 0
	s_subb_u32 s28, s30, 0
	s_cmp_ge_u32 s28, s19
	s_cselect_b32 s29, -1, 0
	s_cmp_ge_u32 s31, s18
	s_cselect_b32 s30, -1, 0
	s_cmp_eq_u32 s28, s19
	s_cselect_b32 s28, s30, s29
	s_add_u32 s29, s11, 1
	s_addc_u32 s30, s15, 0
	s_add_u32 s31, s11, 2
	s_addc_u32 s33, s15, 0
	s_cmp_lg_u32 s28, 0
	s_cselect_b32 s28, s31, s29
	s_cselect_b32 s29, s33, s30
	s_cmp_lg_u64 s[26:27], 0
	s_subb_u32 s21, s21, s23
	s_cmp_ge_u32 s21, s19
	s_cselect_b32 s23, -1, 0
	s_cmp_ge_u32 s20, s18
	s_cselect_b32 s18, -1, 0
	s_cmp_eq_u32 s21, s19
	s_cselect_b32 s18, s18, s23
	s_cmp_lg_u32 s18, 0
	s_cselect_b32 s19, s29, s15
	s_cselect_b32 s18, s28, s11
	s_xor_b64 s[20:21], s[24:25], 0
	s_xor_b64 s[18:19], s[18:19], s[20:21]
	s_sub_u32 s18, s18, s20
	s_cbranch_execnz .LBB42_6
.LBB42_5:
	v_cvt_f32_u32_e32 v1, s22
	s_sub_i32 s11, 0, s22
	v_rcp_iflag_f32_e32 v1, v1
	v_mul_f32_e32 v1, 0x4f7ffffe, v1
	v_cvt_u32_f32_e32 v1, v1
	s_waitcnt lgkmcnt(0)
	v_readfirstlane_b32 s15, v1
	s_mul_i32 s11, s11, s15
	s_mul_hi_u32 s11, s15, s11
	s_add_i32 s15, s15, s11
	s_mul_hi_u32 s11, s9, s15
	s_mul_i32 s16, s11, s22
	s_sub_i32 s9, s9, s16
	s_add_i32 s15, s11, 1
	s_sub_i32 s16, s9, s22
	s_cmp_ge_u32 s9, s22
	s_cselect_b32 s11, s15, s11
	s_cselect_b32 s9, s16, s9
	s_add_i32 s15, s11, 1
	s_cmp_ge_u32 s9, s22
	s_cselect_b32 s18, s15, s11
.LBB42_6:
	s_cmp_eq_u32 s10, s18
	s_waitcnt lgkmcnt(0)
	s_mul_hi_u32 s9, s10, s12
	s_cselect_b64 s[16:17], -1, 0
	s_add_i32 s9, s9, s10
	s_lshr_b32 s11, s9, s13
	s_mul_i32 s9, s11, s14
	s_cmp_eq_u32 s9, s10
	s_mul_hi_u32 s9, s18, s12
	s_cselect_b64 s[20:21], -1, 0
	s_add_i32 s9, s9, s18
	s_lshr_b32 s9, s9, s13
	s_cmp_eq_u32 s11, s9
	s_mul_i32 s9, s9, s14
	s_cselect_b64 s[24:25], -1, 0
	s_cmp_lg_u32 s9, s18
	s_cselect_b64 s[18:19], -1, 0
	s_and_b64 s[18:19], s[24:25], s[18:19]
	s_or_b64 s[16:17], s[16:17], s[20:21]
	s_or_b64 s[16:17], s[16:17], s[18:19]
	s_and_b64 vcc, exec, s[16:17]
	s_cbranch_vccnz .LBB42_23
; %bb.7:
	s_load_dwordx8 s[24:31], s[4:5], 0x20
	s_load_dword s15, s[4:5], 0x40
	s_waitcnt lgkmcnt(0)
	s_mul_hi_u32 s9, s10, s24
	s_add_i32 s9, s9, s10
	s_lshr_b32 s9, s9, s25
	s_mul_i32 s16, s9, s26
	s_sub_i32 s16, s10, s16
	s_mul_hi_u32 s17, s16, s27
	s_add_i32 s17, s16, s17
	s_lshr_b32 s23, s17, s28
	s_mul_i32 s17, s23, s29
	s_sub_i32 s16, s16, s17
	;; [unrolled: 5-line block ×3, first 2 shown]
	s_mul_hi_u32 s16, s15, s12
	s_add_i32 s15, s15, s16
	s_lshr_b32 s24, s15, s13
	s_lshl_b32 s15, s24, 3
	s_lshl_b32 s25, s17, 1
	s_add_i32 s15, s15, s7
	s_cmp_lt_i32 s15, s0
	s_cselect_b64 s[16:17], -1, 0
	s_add_i32 s25, s25, s8
	s_cmp_lt_i32 s25, s2
	s_cselect_b64 s[18:19], -1, 0
	s_and_b64 s[16:17], s[16:17], s[18:19]
	s_andn2_b64 vcc, exec, s[16:17]
	s_cbranch_vccnz .LBB42_23
; %bb.8:
	s_load_dwordx4 s[16:19], s[4:5], 0x0
	s_mov_b32 s4, 0
	s_lshl_b32 s15, s7, 1
	s_lshl_b32 s20, s22, 6
	s_mov_b32 s21, s4
	s_add_i32 s15, s15, s8
	s_lshl_b64 s[20:21], s[20:21], 2
	s_waitcnt lgkmcnt(0)
	s_add_u32 s20, s18, s20
	s_mul_i32 s0, s9, s0
	s_addc_u32 s21, s19, s21
	s_mul_i32 s23, s23, s2
	s_add_i32 s0, s0, s7
	s_mul_i32 s2, s1, s24
	s_mul_i32 s0, s0, s1
	s_add_i32 s1, s25, s23
	s_add_i32 s0, s1, s0
	s_mulk_i32 s2, 0x380
	s_mulk_i32 s0, 0x70
	s_add_i32 s2, s2, s0
	v_add_u32_e32 v1, s2, v0
	v_ashrrev_i32_e32 v2, 31, v1
	v_lshlrev_b64 v[1:2], 2, v[1:2]
	v_mov_b32_e32 v3, s17
	v_add_co_u32_e32 v1, vcc, s16, v1
	v_addc_co_u32_e32 v2, vcc, v3, v2, vcc
	global_load_dword v3, v[1:2], off
	v_cvt_f32_u32_e32 v4, s22
	s_lshl_b32 s0, s6, 4
	s_add_i32 s0, s15, s0
	s_ashr_i32 s1, s0, 31
	s_lshl_b64 s[0:1], s[0:1], 3
	v_rcp_iflag_f32_e32 v4, v4
	s_add_u32 s0, s18, s0
	s_addc_u32 s1, s19, s1
	s_load_dwordx2 s[0:1], s[0:1], 0x0
	v_mul_f32_e32 v4, 0x4f7ffffe, v4
	v_cvt_u32_f32_e32 v4, v4
	s_mul_i32 s2, s15, 0x70
	s_add_i32 s24, s6, -1
	v_add_u32_e32 v0, s2, v0
	s_waitcnt lgkmcnt(0)
	v_mov_b32_e32 v6, s1
	v_mov_b32_e32 v7, s0
	s_mov_b32 s2, 0x3fb8aa3b
	s_mov_b32 s16, 0xc2ce8ed0
	;; [unrolled: 1-line block ×4, first 2 shown]
	v_mov_b32_e32 v5, 0x7f800000
	s_mul_hi_i32 s5, s24, s3
	s_cmp_lg_u64 s[4:5], 0
	s_mul_i32 s8, s24, s3
	s_cbranch_scc0 .LBB42_19
.LBB42_9:
	s_add_u32 s0, s22, 0
	s_addc_u32 s1, 0, 0
	s_xor_b64 s[0:1], s[0:1], 0
	v_cvt_f32_u32_e32 v8, s0
	v_cvt_f32_u32_e32 v9, s1
	s_sub_u32 s9, 0, s0
	s_subb_u32 s25, 0, s1
	v_mac_f32_e32 v8, 0x4f800000, v9
	v_rcp_f32_e32 v8, v8
	v_mul_f32_e32 v8, 0x5f7ffffc, v8
	v_mul_f32_e32 v9, 0x2f800000, v8
	v_trunc_f32_e32 v9, v9
	v_mac_f32_e32 v8, 0xcf800000, v9
	v_cvt_u32_f32_e32 v9, v9
	v_cvt_u32_f32_e32 v8, v8
	v_readfirstlane_b32 s26, v9
	v_readfirstlane_b32 s6, v8
	s_mul_i32 s7, s9, s26
	s_mul_hi_u32 s28, s9, s6
	s_mul_i32 s27, s25, s6
	s_add_i32 s7, s28, s7
	s_mul_i32 s29, s9, s6
	s_add_i32 s7, s7, s27
	s_mul_i32 s28, s6, s7
	s_mul_hi_u32 s30, s6, s29
	s_mul_hi_u32 s27, s6, s7
	s_add_u32 s28, s30, s28
	s_addc_u32 s27, 0, s27
	s_mul_hi_u32 s31, s26, s29
	s_mul_i32 s29, s26, s29
	s_add_u32 s28, s28, s29
	s_mul_hi_u32 s30, s26, s7
	s_addc_u32 s27, s27, s31
	s_addc_u32 s28, s30, 0
	s_mul_i32 s7, s26, s7
	s_add_u32 s7, s27, s7
	s_addc_u32 s27, 0, s28
	s_add_u32 s28, s6, s7
	s_cselect_b64 s[6:7], -1, 0
	s_cmp_lg_u64 s[6:7], 0
	s_addc_u32 s26, s26, s27
	s_mul_i32 s6, s9, s26
	s_mul_hi_u32 s7, s9, s28
	s_add_i32 s6, s7, s6
	s_mul_i32 s25, s25, s28
	s_add_i32 s6, s6, s25
	s_mul_i32 s9, s9, s28
	s_mul_hi_u32 s25, s26, s9
	s_mul_i32 s27, s26, s9
	s_mul_i32 s30, s28, s6
	s_mul_hi_u32 s9, s28, s9
	s_mul_hi_u32 s29, s28, s6
	s_add_u32 s9, s9, s30
	s_addc_u32 s29, 0, s29
	s_add_u32 s9, s9, s27
	s_mul_hi_u32 s7, s26, s6
	s_addc_u32 s9, s29, s25
	s_addc_u32 s7, s7, 0
	s_mul_i32 s6, s26, s6
	s_add_u32 s6, s9, s6
	s_addc_u32 s9, 0, s7
	s_add_u32 s25, s28, s6
	s_cselect_b64 s[6:7], -1, 0
	s_cmp_lg_u64 s[6:7], 0
	s_addc_u32 s9, s26, s9
	s_ashr_i32 s6, s5, 31
	s_add_u32 s26, s8, s6
	s_mov_b32 s7, s6
	s_addc_u32 s27, s5, s6
	s_xor_b64 s[26:27], s[26:27], s[6:7]
	s_mul_i32 s28, s26, s9
	s_mul_hi_u32 s29, s26, s25
	s_mul_hi_u32 s5, s26, s9
	s_add_u32 s28, s29, s28
	s_addc_u32 s5, 0, s5
	s_mul_hi_u32 s30, s27, s25
	s_mul_i32 s25, s27, s25
	s_add_u32 s25, s28, s25
	s_mul_hi_u32 s29, s27, s9
	s_addc_u32 s5, s5, s30
	s_addc_u32 s25, s29, 0
	s_mul_i32 s9, s27, s9
	s_add_u32 s5, s5, s9
	s_addc_u32 s9, 0, s25
	s_mul_i32 s25, s0, s9
	s_mul_hi_u32 s28, s0, s5
	s_add_i32 s25, s28, s25
	s_mul_i32 s28, s1, s5
	s_add_i32 s25, s25, s28
	s_sub_i32 s30, s27, s25
	s_mul_i32 s28, s0, s5
	s_sub_u32 s26, s26, s28
	s_cselect_b64 s[28:29], -1, 0
	s_cmp_lg_u64 s[28:29], 0
	s_subb_u32 s33, s30, s1
	s_sub_u32 s34, s26, s0
	s_cselect_b64 s[30:31], -1, 0
	s_cmp_lg_u64 s[30:31], 0
	s_subb_u32 s30, s33, 0
	s_cmp_ge_u32 s30, s1
	s_cselect_b32 s31, -1, 0
	s_cmp_ge_u32 s34, s0
	s_cselect_b32 s33, -1, 0
	s_cmp_eq_u32 s30, s1
	s_cselect_b32 s30, s33, s31
	s_add_u32 s31, s5, 1
	s_addc_u32 s33, s9, 0
	s_add_u32 s34, s5, 2
	s_addc_u32 s35, s9, 0
	s_cmp_lg_u32 s30, 0
	s_cselect_b32 s30, s34, s31
	s_cselect_b32 s31, s35, s33
	s_cmp_lg_u64 s[28:29], 0
	s_subb_u32 s25, s27, s25
	s_cmp_ge_u32 s25, s1
	s_cselect_b32 s27, -1, 0
	s_cmp_ge_u32 s26, s0
	s_cselect_b32 s0, -1, 0
	s_cmp_eq_u32 s25, s1
	s_cselect_b32 s0, s0, s27
	s_cmp_lg_u32 s0, 0
	s_cselect_b32 s1, s31, s9
	s_cselect_b32 s0, s30, s5
	s_xor_b64 s[6:7], s[6:7], 0
	s_xor_b64 s[0:1], s[0:1], s[6:7]
	s_sub_u32 s6, s0, s6
	s_cbranch_execnz .LBB42_11
.LBB42_10:
	s_sub_i32 s0, 0, s22
	v_readfirstlane_b32 s1, v4
	s_mul_i32 s0, s0, s1
	s_mul_hi_u32 s0, s1, s0
	s_add_i32 s1, s1, s0
	s_mul_hi_u32 s0, s8, s1
	s_mul_i32 s5, s0, s22
	s_sub_i32 s5, s8, s5
	s_add_i32 s1, s0, 1
	s_sub_i32 s6, s5, s22
	s_cmp_ge_u32 s5, s22
	s_cselect_b32 s0, s1, s0
	s_cselect_b32 s5, s6, s5
	s_add_i32 s1, s0, 1
	s_cmp_ge_u32 s5, s22
	s_cselect_b32 s6, s1, s0
.LBB42_11:
	s_cmp_lg_u32 s10, s6
	s_mov_b64 s[8:9], -1
                                        ; implicit-def: $sgpr0_sgpr1
                                        ; implicit-def: $vgpr10
                                        ; implicit-def: $vgpr8
                                        ; implicit-def: $vgpr9
                                        ; implicit-def: $sgpr5
                                        ; implicit-def: $sgpr7
	s_cbranch_scc1 .LBB42_14
; %bb.12:
	s_andn2_b64 vcc, exec, s[8:9]
	s_cbranch_vccz .LBB42_17
.LBB42_13:
	s_andn2_b64 vcc, exec, s[0:1]
	s_cbranch_vccnz .LBB42_18
	s_branch .LBB42_22
.LBB42_14:
	s_add_i32 s0, s24, s22
	s_lshl_b32 s0, s0, 4
	s_add_i32 s0, s0, s15
	s_mov_b32 s1, s4
	s_lshl_b64 s[0:1], s[0:1], 3
	s_add_u32 s8, s18, s0
	s_mul_hi_u32 s0, s6, s12
	s_addc_u32 s9, s19, s1
	s_add_i32 s0, s0, s6
	s_lshr_b32 s5, s0, s13
	s_mul_i32 s0, s5, s14
	s_cmp_eq_u32 s0, s6
	s_cselect_b64 s[0:1], -1, 0
	s_cmp_lt_u32 s5, s11
	s_cselect_b64 s[26:27], -1, 0
	s_or_b64 s[26:27], s[26:27], s[0:1]
	s_mov_b64 s[0:1], -1
	s_and_b64 vcc, exec, s[26:27]
	s_mov_b32 s5, s24
	s_mov_b32 s7, s10
	s_cbranch_vccnz .LBB42_16
; %bb.15:
	s_add_i32 s5, s24, -1
	s_mov_b64 s[0:1], 0
	s_mov_b32 s7, s6
.LBB42_16:
	s_mul_i32 s6, s24, 0x700
	v_add_u32_e32 v8, s6, v0
	v_ashrrev_i32_e32 v9, 31, v8
	v_lshlrev_b64 v[8:9], 2, v[8:9]
	v_mov_b32_e32 v10, s21
	v_add_co_u32_e32 v8, vcc, s20, v8
	v_addc_co_u32_e32 v9, vcc, v10, v9, vcc
	global_load_dword v10, v[8:9], off
	s_load_dwordx2 s[8:9], s[8:9], 0x0
	v_max_f32_e32 v8, v7, v7
	s_waitcnt lgkmcnt(0)
	v_max_f32_e64 v9, s8, s8
	v_max_f32_e32 v8, v8, v9
	v_sub_f32_e32 v9, v7, v8
	v_sub_f32_e32 v11, s8, v8
	v_mul_f32_e32 v12, 0x3fb8aa3b, v9
	v_mul_f32_e32 v13, 0x3fb8aa3b, v11
	v_fma_f32 v14, v9, s2, -v12
	v_rndne_f32_e32 v15, v12
	v_fma_f32 v16, v11, s2, -v13
	v_rndne_f32_e32 v17, v13
	v_fmac_f32_e32 v14, 0x32a5705f, v9
	v_sub_f32_e32 v12, v12, v15
	v_fmac_f32_e32 v16, 0x32a5705f, v11
	v_sub_f32_e32 v13, v13, v17
	v_add_f32_e32 v12, v12, v14
	v_cvt_i32_f32_e32 v15, v15
	v_add_f32_e32 v13, v13, v16
	v_exp_f32_e32 v12, v12
	v_cvt_i32_f32_e32 v17, v17
	v_exp_f32_e32 v13, v13
	v_cmp_ngt_f32_e32 vcc, s16, v9
	v_ldexp_f32 v12, v12, v15
	v_cndmask_b32_e32 v12, 0, v12, vcc
	v_ldexp_f32 v13, v13, v17
	v_cmp_ngt_f32_e32 vcc, s16, v11
	v_cndmask_b32_e32 v13, 0, v13, vcc
	v_cmp_nlt_f32_e32 vcc, s17, v9
	v_cndmask_b32_e32 v12, v5, v12, vcc
	v_cmp_nlt_f32_e32 vcc, s17, v11
	v_cndmask_b32_e32 v13, v5, v13, vcc
	v_cmp_le_f32_e32 vcc, s23, v9
	v_cndmask_b32_e32 v12, 0, v12, vcc
	v_cmp_le_f32_e32 vcc, s23, v11
	v_cndmask_b32_e32 v11, 0, v13, vcc
	v_mul_f32_e32 v9, s9, v11
	v_fmac_f32_e32 v9, v6, v12
	s_waitcnt vmcnt(0)
	v_mul_f32_e32 v10, v10, v11
	v_fmac_f32_e32 v10, v3, v12
	s_cbranch_execnz .LBB42_13
.LBB42_17:
	s_add_i32 s5, s24, -1
	s_mov_b32 s7, s10
	v_mov_b32_e32 v9, v6
	v_mov_b32_e32 v8, v7
	s_waitcnt vmcnt(0)
	v_mov_b32_e32 v10, v3
	s_cbranch_execz .LBB42_22
.LBB42_18:
	s_mov_b32 s10, s7
	s_mov_b32 s24, s5
	v_mov_b32_e32 v6, v9
	v_mov_b32_e32 v7, v8
	s_waitcnt vmcnt(0)
	v_mov_b32_e32 v3, v10
	s_mul_hi_i32 s5, s24, s3
	s_cmp_lg_u64 s[4:5], 0
	s_mul_i32 s8, s24, s3
	s_cbranch_scc1 .LBB42_9
.LBB42_19:
                                        ; implicit-def: $sgpr6_sgpr7
	s_branch .LBB42_10
.LBB42_20:
                                        ; implicit-def: $sgpr10_sgpr11
	s_load_dwordx4 s[12:15], s[4:5], 0x44
	s_branch .LBB42_2
.LBB42_21:
                                        ; implicit-def: $sgpr18_sgpr19
	s_branch .LBB42_5
.LBB42_22:
	v_div_scale_f32 v0, s[0:1], v9, v9, v10
	s_waitcnt vmcnt(0)
	v_div_scale_f32 v3, vcc, v10, v9, v10
	v_rcp_f32_e32 v4, v0
	v_fma_f32 v5, -v0, v4, 1.0
	v_fmac_f32_e32 v4, v5, v4
	v_mul_f32_e32 v5, v3, v4
	v_fma_f32 v6, -v0, v5, v3
	v_fmac_f32_e32 v5, v6, v4
	v_fma_f32 v0, -v0, v5, v3
	v_div_fmas_f32 v0, v0, v4, v5
	v_div_fixup_f32 v0, v0, v9, v10
	global_store_dword v[1:2], v0, off
.LBB42_23:
	s_endpgm
	.section	.rodata,"a",@progbits
	.p2align	6, 0x0
	.amdhsa_kernel _ZL33flash_attn_stream_k_fixup_generalILi112ELi8ELi2EEvPfPK15HIP_vector_typeIfLj2EEiiiiS1_IjLj3EES5_S5_S5_
		.amdhsa_group_segment_fixed_size 0
		.amdhsa_private_segment_fixed_size 0
		.amdhsa_kernarg_size 336
		.amdhsa_user_sgpr_count 6
		.amdhsa_user_sgpr_private_segment_buffer 1
		.amdhsa_user_sgpr_dispatch_ptr 0
		.amdhsa_user_sgpr_queue_ptr 0
		.amdhsa_user_sgpr_kernarg_segment_ptr 1
		.amdhsa_user_sgpr_dispatch_id 0
		.amdhsa_user_sgpr_flat_scratch_init 0
		.amdhsa_user_sgpr_private_segment_size 0
		.amdhsa_uses_dynamic_stack 0
		.amdhsa_system_sgpr_private_segment_wavefront_offset 0
		.amdhsa_system_sgpr_workgroup_id_x 1
		.amdhsa_system_sgpr_workgroup_id_y 1
		.amdhsa_system_sgpr_workgroup_id_z 1
		.amdhsa_system_sgpr_workgroup_info 0
		.amdhsa_system_vgpr_workitem_id 0
		.amdhsa_next_free_vgpr 18
		.amdhsa_next_free_sgpr 36
		.amdhsa_reserve_vcc 1
		.amdhsa_reserve_flat_scratch 0
		.amdhsa_float_round_mode_32 0
		.amdhsa_float_round_mode_16_64 0
		.amdhsa_float_denorm_mode_32 3
		.amdhsa_float_denorm_mode_16_64 3
		.amdhsa_dx10_clamp 1
		.amdhsa_ieee_mode 1
		.amdhsa_fp16_overflow 0
		.amdhsa_exception_fp_ieee_invalid_op 0
		.amdhsa_exception_fp_denorm_src 0
		.amdhsa_exception_fp_ieee_div_zero 0
		.amdhsa_exception_fp_ieee_overflow 0
		.amdhsa_exception_fp_ieee_underflow 0
		.amdhsa_exception_fp_ieee_inexact 0
		.amdhsa_exception_int_div_zero 0
	.end_amdhsa_kernel
	.section	.text._ZL33flash_attn_stream_k_fixup_generalILi112ELi8ELi2EEvPfPK15HIP_vector_typeIfLj2EEiiiiS1_IjLj3EES5_S5_S5_,"axG",@progbits,_ZL33flash_attn_stream_k_fixup_generalILi112ELi8ELi2EEvPfPK15HIP_vector_typeIfLj2EEiiiiS1_IjLj3EES5_S5_S5_,comdat
.Lfunc_end42:
	.size	_ZL33flash_attn_stream_k_fixup_generalILi112ELi8ELi2EEvPfPK15HIP_vector_typeIfLj2EEiiiiS1_IjLj3EES5_S5_S5_, .Lfunc_end42-_ZL33flash_attn_stream_k_fixup_generalILi112ELi8ELi2EEvPfPK15HIP_vector_typeIfLj2EEiiiiS1_IjLj3EES5_S5_S5_
                                        ; -- End function
	.set _ZL33flash_attn_stream_k_fixup_generalILi112ELi8ELi2EEvPfPK15HIP_vector_typeIfLj2EEiiiiS1_IjLj3EES5_S5_S5_.num_vgpr, 18
	.set _ZL33flash_attn_stream_k_fixup_generalILi112ELi8ELi2EEvPfPK15HIP_vector_typeIfLj2EEiiiiS1_IjLj3EES5_S5_S5_.num_agpr, 0
	.set _ZL33flash_attn_stream_k_fixup_generalILi112ELi8ELi2EEvPfPK15HIP_vector_typeIfLj2EEiiiiS1_IjLj3EES5_S5_S5_.numbered_sgpr, 36
	.set _ZL33flash_attn_stream_k_fixup_generalILi112ELi8ELi2EEvPfPK15HIP_vector_typeIfLj2EEiiiiS1_IjLj3EES5_S5_S5_.num_named_barrier, 0
	.set _ZL33flash_attn_stream_k_fixup_generalILi112ELi8ELi2EEvPfPK15HIP_vector_typeIfLj2EEiiiiS1_IjLj3EES5_S5_S5_.private_seg_size, 0
	.set _ZL33flash_attn_stream_k_fixup_generalILi112ELi8ELi2EEvPfPK15HIP_vector_typeIfLj2EEiiiiS1_IjLj3EES5_S5_S5_.uses_vcc, 1
	.set _ZL33flash_attn_stream_k_fixup_generalILi112ELi8ELi2EEvPfPK15HIP_vector_typeIfLj2EEiiiiS1_IjLj3EES5_S5_S5_.uses_flat_scratch, 0
	.set _ZL33flash_attn_stream_k_fixup_generalILi112ELi8ELi2EEvPfPK15HIP_vector_typeIfLj2EEiiiiS1_IjLj3EES5_S5_S5_.has_dyn_sized_stack, 0
	.set _ZL33flash_attn_stream_k_fixup_generalILi112ELi8ELi2EEvPfPK15HIP_vector_typeIfLj2EEiiiiS1_IjLj3EES5_S5_S5_.has_recursion, 0
	.set _ZL33flash_attn_stream_k_fixup_generalILi112ELi8ELi2EEvPfPK15HIP_vector_typeIfLj2EEiiiiS1_IjLj3EES5_S5_S5_.has_indirect_call, 0
	.section	.AMDGPU.csdata,"",@progbits
; Kernel info:
; codeLenInByte = 2944
; TotalNumSgprs: 40
; NumVgprs: 18
; ScratchSize: 0
; MemoryBound: 0
; FloatMode: 240
; IeeeMode: 1
; LDSByteSize: 0 bytes/workgroup (compile time only)
; SGPRBlocks: 4
; VGPRBlocks: 4
; NumSGPRsForWavesPerEU: 40
; NumVGPRsForWavesPerEU: 18
; Occupancy: 10
; WaveLimiterHint : 0
; COMPUTE_PGM_RSRC2:SCRATCH_EN: 0
; COMPUTE_PGM_RSRC2:USER_SGPR: 6
; COMPUTE_PGM_RSRC2:TRAP_HANDLER: 0
; COMPUTE_PGM_RSRC2:TGID_X_EN: 1
; COMPUTE_PGM_RSRC2:TGID_Y_EN: 1
; COMPUTE_PGM_RSRC2:TGID_Z_EN: 1
; COMPUTE_PGM_RSRC2:TIDIG_COMP_CNT: 0
	.section	.text._ZL15flash_attn_tileILi112ELi112ELi4ELi2ELb0EEvPKcS1_S1_S1_S1_PKiPfP15HIP_vector_typeIfLj2EEffffjfiS5_IjLj3EEiiiiiiiiiiiliiliiiiil,"axG",@progbits,_ZL15flash_attn_tileILi112ELi112ELi4ELi2ELb0EEvPKcS1_S1_S1_S1_PKiPfP15HIP_vector_typeIfLj2EEffffjfiS5_IjLj3EEiiiiiiiiiiiliiliiiiil,comdat
	.globl	_ZL15flash_attn_tileILi112ELi112ELi4ELi2ELb0EEvPKcS1_S1_S1_S1_PKiPfP15HIP_vector_typeIfLj2EEffffjfiS5_IjLj3EEiiiiiiiiiiiliiliiiiil ; -- Begin function _ZL15flash_attn_tileILi112ELi112ELi4ELi2ELb0EEvPKcS1_S1_S1_S1_PKiPfP15HIP_vector_typeIfLj2EEffffjfiS5_IjLj3EEiiiiiiiiiiiliiliiiiil
	.p2align	8
	.type	_ZL15flash_attn_tileILi112ELi112ELi4ELi2ELb0EEvPKcS1_S1_S1_S1_PKiPfP15HIP_vector_typeIfLj2EEffffjfiS5_IjLj3EEiiiiiiiiiiiliiliiiiil,@function
_ZL15flash_attn_tileILi112ELi112ELi4ELi2ELb0EEvPKcS1_S1_S1_S1_PKiPfP15HIP_vector_typeIfLj2EEffffjfiS5_IjLj3EEiiiiiiiiiiiliiliiiiil: ; @_ZL15flash_attn_tileILi112ELi112ELi4ELi2ELb0EEvPKcS1_S1_S1_S1_PKiPfP15HIP_vector_typeIfLj2EEffffjfiS5_IjLj3EEiiiiiiiiiiiliiliiiiil
; %bb.0:
	s_load_dwordx4 s[36:39], s[4:5], 0x5c
	s_load_dwordx2 s[34:35], s[4:5], 0x80
	s_load_dwordx16 s[16:31], s[4:5], 0x0
	s_mov_b64 s[40:41], 0
	s_waitcnt lgkmcnt(0)
	s_lshr_b32 s0, s39, 31
	s_add_i32 s0, s39, s0
	s_ashr_i32 s0, s0, 1
	v_cvt_f32_u32_e32 v2, s0
	s_sub_i32 s1, 0, s0
	v_rcp_iflag_f32_e32 v2, v2
	v_mul_f32_e32 v2, 0x4f7ffffe, v2
	v_cvt_u32_f32_e32 v2, v2
	v_readfirstlane_b32 s2, v2
	s_mul_i32 s1, s1, s2
	s_mul_hi_u32 s1, s2, s1
	s_add_i32 s2, s2, s1
	s_mul_hi_u32 s1, s8, s2
	s_mul_i32 s2, s1, s0
	s_sub_i32 s2, s8, s2
	s_add_i32 s3, s1, 1
	s_sub_i32 s9, s2, s0
	s_cmp_ge_u32 s2, s0
	s_cselect_b32 s1, s3, s1
	s_cselect_b32 s2, s9, s2
	s_add_i32 s3, s1, 1
	s_cmp_ge_u32 s2, s0
	s_cselect_b32 s33, s3, s1
	s_abs_i32 s1, s35
	v_cvt_f32_u32_e32 v2, s1
	s_lshl_b32 s0, s8, 1
	s_sub_i32 s8, 0, s1
	s_abs_i32 s3, s39
	v_rcp_iflag_f32_e32 v2, v2
	s_xor_b32 s2, s39, s35
	s_ashr_i32 s2, s2, 31
	v_mul_f32_e32 v2, 0x4f7ffffe, v2
	v_cvt_u32_f32_e32 v2, v2
	v_readfirstlane_b32 s9, v2
	s_mul_i32 s8, s8, s9
	s_mul_hi_u32 s8, s9, s8
	s_add_i32 s9, s9, s8
	s_mul_hi_u32 s8, s3, s9
	s_mul_i32 s9, s8, s1
	s_sub_i32 s3, s3, s9
	s_add_i32 s10, s8, 1
	s_sub_i32 s9, s3, s1
	s_cmp_ge_u32 s3, s1
	s_cselect_b32 s8, s10, s8
	s_cselect_b32 s3, s9, s3
	s_add_i32 s9, s8, 1
	s_cmp_ge_u32 s3, s1
	s_cselect_b32 s1, s9, s8
	s_xor_b32 s1, s1, s2
	s_sub_i32 s15, s1, s2
	s_abs_i32 s14, s15
	v_cvt_f32_u32_e32 v2, s14
	s_load_dwordx2 s[2:3], s[4:5], 0xb8
	s_mul_i32 s1, s33, s39
	s_cmp_eq_u64 s[22:23], 0
	v_rcp_iflag_f32_e32 v2, v2
	v_mul_f32_e32 v2, 0x4f7ffffe, v2
	v_cvt_u32_f32_e32 v2, v2
	v_readfirstlane_b32 s43, v2
	s_cbranch_scc1 .LBB43_2
; %bb.1:
	s_waitcnt lgkmcnt(0)
	s_abs_i32 s2, s2
	v_cvt_f32_u32_e32 v2, s2
	s_sub_i32 s12, 0, s2
	s_abs_i32 s11, s33
	s_ashr_i32 s10, s33, 31
	v_rcp_iflag_f32_e32 v2, v2
	s_load_dwordx2 s[8:9], s[4:5], 0xc8
	v_mul_f32_e32 v2, 0x4f7ffffe, v2
	v_cvt_u32_f32_e32 v2, v2
	v_readfirstlane_b32 s13, v2
	s_mul_i32 s12, s12, s13
	s_mul_hi_u32 s12, s13, s12
	s_add_i32 s13, s13, s12
	s_mul_hi_u32 s12, s11, s13
	s_mul_i32 s12, s12, s2
	s_sub_i32 s11, s11, s12
	s_sub_i32 s12, s11, s2
	s_cmp_ge_u32 s11, s2
	s_cselect_b32 s11, s12, s11
	s_sub_i32 s12, s11, s2
	s_cmp_ge_u32 s11, s2
	s_cselect_b32 s2, s12, s11
	s_xor_b32 s2, s2, s10
	s_sub_i32 s2, s2, s10
	s_ashr_i32 s10, s2, 31
	s_waitcnt lgkmcnt(0)
	s_mul_hi_u32 s11, s8, s2
	s_mul_i32 s10, s8, s10
	s_mul_i32 s9, s9, s2
	s_add_i32 s10, s11, s10
	s_add_i32 s10, s10, s9
	s_mul_i32 s2, s8, s2
	s_add_u32 s40, s22, s2
	s_addc_u32 s41, s23, s10
.LBB43_2:
	s_waitcnt lgkmcnt(0)
	s_movk_i32 s2, 0xe0
	v_mov_b32_e32 v2, 0x1040
	s_sub_i32 s35, s0, s1
	s_lshl_b32 s42, s6, 2
	v_cmp_gt_u32_e64 s[0:1], 28, v0
	v_mad_u32_u24 v55, v1, s2, v2
	v_lshlrev_b32_e32 v58, 3, v0
	v_and_b32_e32 v56, 1, v1
	v_lshrrev_b32_e32 v57, 1, v1
	s_and_saveexec_b64 s[12:13], s[0:1]
	s_cbranch_execz .LBB43_4
; %bb.3:
	s_load_dwordx4 s[8:11], s[4:5], 0x70
	v_add_u32_e32 v4, s42, v57
	v_mul_hi_u32 v2, s36, v4
	s_waitcnt lgkmcnt(0)
	s_mul_i32 s2, s33, s10
	s_ashr_i32 s22, s2, 31
	s_mul_i32 s11, s35, s9
	s_add_u32 s2, s16, s2
	v_add_u32_e32 v2, v4, v2
	s_addc_u32 s16, s17, s22
	s_ashr_i32 s17, s11, 31
	v_lshrrev_b32_e32 v2, s37, v2
	s_add_u32 s2, s2, s11
	v_mul_lo_u32 v5, v2, s38
	s_addc_u32 s22, s16, s17
	s_ashr_i32 s11, s9, 31
	s_mov_b32 s10, s9
	s_lshr_b32 s9, s11, 2
	v_mul_lo_u32 v3, s9, v56
	s_ashr_i32 s9, s8, 31
	s_lshr_b64 s[16:17], s[10:11], 2
	s_lshr_b64 s[10:11], s[8:9], 2
	v_sub_u32_e32 v6, v4, v5
	v_mad_u64_u32 v[4:5], s[10:11], s10, v6, 0
	v_mul_lo_u32 v2, s16, v56
	s_lshr_b32 s8, s9, 2
	v_mad_u64_u32 v[5:6], s[8:9], s8, v6, v[5:6]
	v_lshlrev_b64 v[2:3], 2, v[2:3]
	v_mov_b32_e32 v7, s22
	v_add_co_u32_e32 v6, vcc, s2, v2
	v_addc_co_u32_e32 v7, vcc, v7, v3, vcc
	v_lshlrev_b64 v[2:3], 2, v[4:5]
	v_lshlrev_b32_e32 v4, 4, v0
	v_add_co_u32_e32 v2, vcc, v6, v2
	v_addc_co_u32_e32 v3, vcc, v7, v3, vcc
	v_add_co_u32_e32 v2, vcc, v2, v4
	v_addc_co_u32_e32 v3, vcc, 0, v3, vcc
	global_load_dwordx4 v[2:5], v[2:3], off
	s_load_dword s2, s[4:5], 0x40
	v_add_u32_e32 v6, v55, v58
	s_waitcnt vmcnt(0) lgkmcnt(0)
	v_fma_mixlo_f16 v2, s2, v2, 0
	v_fma_mixlo_f16 v3, s2, v3, 0
	;; [unrolled: 1-line block ×4, first 2 shown]
	v_lshlrev_b32_e32 v3, 16, v3
	v_and_b32_e32 v2, 0xffff, v2
	v_lshlrev_b32_e32 v5, 16, v5
	v_and_b32_e32 v4, 0xffff, v4
	v_or_b32_e32 v2, v3, v2
	v_or3_b32 v3, v5, v4, 0
	v_or3_b32 v2, 0, 0, v2
	ds_write_b64 v6, v[2:3]
.LBB43_4:
	s_or_b64 exec, exec, s[12:13]
	s_cmp_eq_u64 s[26:27], 0
	s_waitcnt lgkmcnt(0)
	s_barrier
	s_cbranch_scc1 .LBB43_6
; %bb.5:
	s_load_dword s2, s[4:5], 0xd0
	s_mov_b32 s9, 0
	s_waitcnt lgkmcnt(0)
	s_mul_i32 s2, s2, s33
	s_add_i32 s8, s2, s6
	s_lshl_b64 s[8:9], s[8:9], 2
	s_add_u32 s8, s26, s8
	s_addc_u32 s9, s27, s9
	s_load_dword s34, s[8:9], 0x0
.LBB43_6:
	s_lshl_b32 s6, s7, 5
	s_waitcnt lgkmcnt(0)
	s_cmp_lt_i32 s6, s34
	v_mbcnt_lo_u32_b32 v2, -1, 0
	s_cbranch_scc1 .LBB43_17
; %bb.7:
	v_mbcnt_hi_u32_b32 v59, -1, v2
	v_and_b32_e32 v3, 0x60, v59
	v_add_u32_e32 v76, 32, v3
	v_xor_b32_e32 v77, 16, v59
	v_xor_b32_e32 v78, 8, v59
	;; [unrolled: 1-line block ×5, first 2 shown]
	s_cbranch_execz .LBB43_18
; %bb.8:
	v_mov_b32_e32 v61, 0
	v_mov_b32_e32 v82, 0
	;; [unrolled: 1-line block ×4, first 2 shown]
.LBB43_9:
	v_cmp_lt_i32_e32 vcc, v77, v76
	v_cndmask_b32_e32 v1, v59, v77, vcc
	v_lshlrev_b32_e32 v1, 2, v1
	ds_bpermute_b32 v1, v1, v82
	v_cmp_lt_i32_e32 vcc, v78, v76
	v_cndmask_b32_e32 v2, v59, v78, vcc
	v_lshlrev_b32_e32 v2, 2, v2
	v_cmp_lt_i32_e32 vcc, v79, v76
	s_waitcnt lgkmcnt(0)
	v_add_f32_e32 v1, v82, v1
	ds_bpermute_b32 v2, v2, v1
	v_cndmask_b32_e32 v3, v59, v79, vcc
	v_lshlrev_b32_e32 v3, 2, v3
	v_cmp_lt_i32_e32 vcc, v80, v76
	s_cmp_lg_u64 s[24:25], 0
	s_waitcnt lgkmcnt(0)
	v_add_f32_e32 v1, v1, v2
	ds_bpermute_b32 v2, v3, v1
	v_cndmask_b32_e32 v3, v59, v80, vcc
	v_lshlrev_b32_e32 v3, 2, v3
	v_cmp_lt_i32_e32 vcc, v81, v76
	s_cselect_b64 s[2:3], -1, 0
	s_waitcnt lgkmcnt(0)
	v_add_f32_e32 v1, v1, v2
	ds_bpermute_b32 v2, v3, v1
	v_cndmask_b32_e32 v3, v59, v81, vcc
	v_lshlrev_b32_e32 v3, 2, v3
	s_cmp_eq_u32 s7, 0
	s_cselect_b64 s[8:9], -1, 0
	s_waitcnt lgkmcnt(0)
	v_add_f32_e32 v1, v1, v2
	ds_bpermute_b32 v2, v3, v1
	s_and_b64 s[2:3], s[8:9], s[2:3]
	s_and_b64 vcc, exec, s[2:3]
	s_waitcnt lgkmcnt(0)
	v_add_f32_e32 v55, v1, v2
	s_cbranch_vccz .LBB43_11
; %bb.10:
	v_add_u32_e32 v1, s35, v56
	v_ashrrev_i32_e32 v2, 31, v1
	v_lshlrev_b64 v[1:2], 2, v[1:2]
	v_mov_b32_e32 v3, s25
	v_add_co_u32_e32 v1, vcc, s24, v1
	v_addc_co_u32_e32 v2, vcc, v3, v2, vcc
	global_load_dword v1, v[1:2], off
	v_max_f32_e32 v2, v54, v54
	s_mov_b32 s2, 0x3fb8aa3b
	s_mov_b32 s3, 0xc2ce8ed0
	s_waitcnt vmcnt(0)
	v_max_f32_e32 v3, v1, v1
	v_max_f32_e32 v2, v2, v3
	v_sub_f32_e32 v3, v54, v2
	v_sub_f32_e32 v1, v1, v2
	v_mul_f32_e32 v4, 0x3fb8aa3b, v3
	v_mul_f32_e32 v5, 0x3fb8aa3b, v1
	v_fma_f32 v6, v3, s2, -v4
	v_rndne_f32_e32 v7, v4
	v_fma_f32 v8, v1, s2, -v5
	v_rndne_f32_e32 v9, v5
	v_fmac_f32_e32 v6, 0x32a5705f, v3
	v_sub_f32_e32 v4, v4, v7
	v_fmac_f32_e32 v8, 0x32a5705f, v1
	v_sub_f32_e32 v5, v5, v9
	v_add_f32_e32 v4, v4, v6
	v_cvt_i32_f32_e32 v7, v7
	v_add_f32_e32 v5, v5, v8
	v_exp_f32_e32 v4, v4
	v_cvt_i32_f32_e32 v9, v9
	v_exp_f32_e32 v5, v5
	v_cmp_ngt_f32_e32 vcc, s3, v3
	v_ldexp_f32 v4, v4, v7
	s_mov_b32 s2, 0x42b17218
	v_ldexp_f32 v5, v5, v9
	v_cndmask_b32_e32 v4, 0, v4, vcc
	v_cmp_ngt_f32_e32 vcc, s3, v1
	v_mov_b32_e32 v6, 0x7f800000
	v_cndmask_b32_e32 v5, 0, v5, vcc
	v_cmp_nlt_f32_e32 vcc, s2, v3
	v_cndmask_b32_e32 v3, v6, v4, vcc
	v_cvt_f16_f32_e32 v4, v3
	v_cmp_nlt_f32_e32 vcc, s2, v1
	v_cndmask_b32_e32 v1, v6, v5, vcc
	v_fmac_f32_e32 v1, v55, v3
	v_mov_b32_e32 v55, v1
	v_mul_u32_u24_e32 v1, 0x10001, v4
	v_pk_mul_f16 v60, v60, v1
	v_pk_mul_f16 v61, v61, v1
	v_mov_b32_e32 v54, v2
.LBB43_11:
	v_add_u32_e32 v1, s42, v57
	v_cmp_gt_i32_e32 vcc, s38, v1
	s_and_saveexec_b64 s[2:3], vcc
	s_cbranch_execz .LBB43_16
; %bb.12:
	s_mul_i32 s33, s33, s38
	v_add_u32_e32 v1, s33, v1
	s_load_dword s2, s[4:5], 0xd4
	v_mul_lo_u32 v1, v1, s39
	s_waitcnt lgkmcnt(0)
	s_cmp_lg_u32 s2, 1
	v_add3_u32 v1, s35, v56, v1
	v_mul_lo_u32 v1, s2, v1
	s_cselect_b64 s[2:3], -1, 0
	v_add_u32_e32 v1, s7, v1
	s_and_saveexec_b64 s[4:5], s[0:1]
	s_cbranch_execz .LBB43_14
; %bb.13:
	v_div_scale_f32 v2, s[0:1], v55, v55, 1.0
	v_div_scale_f32 v3, vcc, 1.0, v55, 1.0
	s_movk_i32 s0, 0x70
	v_cvt_f32_f16_e32 v8, v61
	v_cvt_f32_f16_sdwa v9, v60 dst_sel:DWORD dst_unused:UNUSED_PAD src0_sel:WORD_1
	v_cvt_f32_f16_e32 v10, v60
	v_mov_b32_e32 v11, s29
	v_rcp_f32_e32 v4, v2
	v_fma_f32 v5, -v2, v4, 1.0
	v_fmac_f32_e32 v4, v5, v4
	v_mul_f32_e32 v5, v3, v4
	v_fma_f32 v6, -v2, v5, v3
	v_fmac_f32_e32 v5, v6, v4
	v_fma_f32 v2, -v2, v5, v3
	v_div_fmas_f32 v4, v2, v4, v5
	v_mul_lo_u32 v2, v1, s0
	v_cvt_f32_f16_sdwa v5, v61 dst_sel:DWORD dst_unused:UNUSED_PAD src0_sel:WORD_1
	v_mov_b32_e32 v3, 0
	v_lshl_add_u32 v2, v0, 2, v2
	v_lshlrev_b64 v[6:7], 2, v[2:3]
	v_add_co_u32_e32 v6, vcc, s28, v6
	v_addc_co_u32_e32 v7, vcc, v11, v7, vcc
	v_div_fixup_f32 v2, v4, v55, 1.0
	v_cndmask_b32_e64 v2, v2, 1.0, s[2:3]
	v_mul_f32_e32 v5, v2, v5
	v_mul_f32_e32 v4, v2, v8
	;; [unrolled: 1-line block ×4, first 2 shown]
	global_store_dwordx4 v[6:7], v[2:5], off
.LBB43_14:
	s_or_b64 exec, exec, s[4:5]
	v_cmp_eq_u32_e32 vcc, 0, v0
	s_and_b64 s[0:1], vcc, s[2:3]
	s_and_b64 exec, exec, s[0:1]
	s_cbranch_execz .LBB43_16
; %bb.15:
	v_ashrrev_i32_e32 v2, 31, v1
	v_lshlrev_b64 v[0:1], 3, v[1:2]
	v_mov_b32_e32 v2, s31
	v_add_co_u32_e32 v0, vcc, s30, v0
	v_addc_co_u32_e32 v1, vcc, v2, v1, vcc
	global_store_dwordx2 v[0:1], v[54:55], off
.LBB43_16:
	s_endpgm
.LBB43_17:
                                        ; implicit-def: $vgpr59
                                        ; implicit-def: $vgpr76
                                        ; implicit-def: $vgpr77
                                        ; implicit-def: $vgpr78
                                        ; implicit-def: $vgpr79
                                        ; implicit-def: $vgpr80
                                        ; implicit-def: $vgpr81
.LBB43_18:
	s_load_dwordx2 s[12:13], s[4:5], 0x8c
	s_load_dwordx4 s[8:11], s[4:5], 0x98
	s_sub_i32 s2, 0, s14
	s_mul_i32 s2, s2, s43
	s_mul_hi_u32 s2, s43, s2
	s_abs_i32 s22, s35
	s_add_i32 s43, s43, s2
	s_ashr_i32 s26, s3, 1
	s_ashr_i32 s3, s33, 31
	s_mul_hi_u32 s2, s22, s43
	s_waitcnt lgkmcnt(0)
	s_ashr_i32 s43, s10, 2
	s_ashr_i32 s44, s12, 2
	s_mul_hi_u32 s10, s8, s33
	s_mul_i32 s12, s8, s3
	s_add_i32 s10, s10, s12
	s_mul_i32 s9, s9, s33
	s_ashr_i32 s23, s35, 31
	s_ashr_i32 s15, s15, 31
	s_add_i32 s10, s10, s9
	s_mul_i32 s8, s8, s33
	s_add_u32 s8, s18, s8
	s_mul_i32 s12, s2, s14
	s_addc_u32 s9, s19, s10
	s_sub_i32 s12, s22, s12
	s_xor_b32 s10, s23, s15
	s_add_i32 s15, s2, 1
	s_sub_i32 s18, s12, s14
	s_cmp_ge_u32 s12, s14
	v_add_u32_e32 v7, s42, v57
	s_cselect_b32 s2, s15, s2
	v_mul_hi_u32 v6, s36, v7
	s_cselect_b32 s12, s18, s12
	s_add_i32 s15, s2, 1
	s_cmp_ge_u32 s12, s14
	s_load_dwordx2 s[16:17], s[4:5], 0xa8
	s_cselect_b32 s2, s15, s2
	s_xor_b32 s2, s2, s10
	v_add_u32_e32 v6, v7, v6
	s_sub_i32 s2, s2, s10
	v_lshrrev_b32_e32 v6, s37, v6
	s_mul_i32 s10, s2, s13
	v_mul_lo_u32 v11, v6, s38
	s_ashr_i32 s12, s10, 31
	s_add_u32 s45, s8, s10
	s_waitcnt lgkmcnt(0)
	s_mul_hi_u32 s8, s16, s33
	s_mul_i32 s3, s16, s3
	s_addc_u32 s46, s9, s12
	s_add_i32 s3, s8, s3
	s_mul_i32 s8, s17, s33
	s_add_i32 s3, s3, s8
	s_mul_i32 s8, s16, s33
	v_lshrrev_b32_e32 v4, 1, v0
	v_lshlrev_b32_e32 v14, 2, v0
	v_sub_u32_e32 v17, v7, v11
	v_mov_b32_e32 v7, 0x1740
	s_add_u32 s8, s20, s8
	s_mul_i32 s2, s2, s11
	v_lshl_add_u32 v9, v1, 4, v4
	v_lshrrev_b32_e32 v4, 2, v0
	v_and_b32_e32 v15, 4, v14
	v_lshl_add_u32 v63, v1, 6, v7
	v_lshrrev_b32_e32 v7, 3, v0
	s_addc_u32 s3, s21, s3
	s_ashr_i32 s9, s2, 31
	v_lshl_add_u32 v3, v1, 5, v0
	v_lshl_add_u32 v10, v1, 3, v4
	v_lshlrev_b32_e32 v5, 7, v9
	v_lshlrev_b32_e32 v8, 2, v15
	v_and_b32_e32 v16, 12, v14
	v_lshl_add_u32 v1, v1, 2, v7
	v_mul_u32_u24_e32 v7, 0xe0, v9
	s_add_u32 s47, s8, s2
	v_or3_b32 v62, v5, v8, 64
	v_lshlrev_b32_e32 v12, 2, v16
	v_or_b32_e32 v13, v7, v8
	v_mul_u32_u24_e32 v8, 0xe0, v10
	s_movk_i32 s8, 0x80
	s_addc_u32 s48, s3, s9
	v_cmp_gt_u32_e32 vcc, 32, v3
	v_cmp_gt_u32_e64 s[2:3], 32, v9
	v_mul_lo_u32 v3, s44, v3
	v_mul_lo_u32 v5, s44, v9
	;; [unrolled: 1-line block ×3, first 2 shown]
	v_add3_u32 v64, v8, v12, s8
	v_cmp_gt_u32_e64 s[8:9], 16, v9
	v_mul_lo_u32 v9, s43, v9
	v_mul_lo_u32 v11, s43, v10
	v_add_u32_e32 v66, 0xc0, v13
	v_mul_lo_u32 v13, s43, v1
	v_and_b32_e32 v67, 28, v14
	s_movk_i32 s14, 0xe0
	v_lshlrev_b32_e32 v14, 2, v67
	v_mad_u32_u24 v68, v1, s14, v14
	v_mad_u64_u32 v[53:54], s[14:15], v17, s26, v[0:1]
	v_cmp_gt_u32_e64 s[18:19], 32, v10
	v_ashrrev_i32_e32 v4, 31, v3
	v_ashrrev_i32_e32 v6, 31, v5
	v_lshl_or_b32 v65, v10, 7, v12
	v_ashrrev_i32_e32 v8, 31, v7
	v_cmp_gt_u32_e64 s[10:11], 16, v10
	v_ashrrev_i32_e32 v10, 31, v9
	v_ashrrev_i32_e32 v12, 31, v11
	;; [unrolled: 1-line block ×3, first 2 shown]
	s_add_u32 s22, s4, 0xd0
	v_lshlrev_b64 v[41:42], 2, v[3:4]
	v_lshlrev_b64 v[43:44], 2, v[5:6]
	;; [unrolled: 1-line block ×6, first 2 shown]
	v_lshlrev_b32_e32 v71, 7, v0
	v_cmp_gt_u32_e64 s[12:13], 16, v1
	s_addc_u32 s23, s5, 0
	s_mov_b32 s36, 0x3fb8aa3b
	s_mov_b32 s37, 0xc2ce8ed0
	;; [unrolled: 1-line block ×4, first 2 shown]
	v_lshlrev_b32_e32 v69, 2, v15
	v_lshlrev_b32_e32 v70, 2, v16
	v_mbcnt_hi_u32_b32 v59, -1, v2
	v_or_b32_e32 v72, 0x60, v71
	v_mov_b32_e32 v60, 0
	v_lshl_add_u32 v73, v0, 1, v63
	v_mov_b32_e32 v1, 0xfeffffff
	v_mov_b32_e32 v74, 0x7f800000
	;; [unrolled: 1-line block ×4, first 2 shown]
.LBB43_19:                              ; =>This Inner Loop Header: Depth=1
	s_mul_hi_i32 s15, s6, s44
	s_mul_i32 s14, s6, s44
	s_lshl_b64 s[14:15], s[14:15], 2
	s_add_u32 s20, s45, s14
	s_addc_u32 s21, s46, s15
	s_and_saveexec_b64 s[16:17], vcc
	s_cbranch_execnz .LBB43_37
; %bb.20:                               ;   in Loop: Header=BB43_19 Depth=1
	s_or_b64 exec, exec, s[16:17]
	s_and_saveexec_b64 s[16:17], s[2:3]
	s_cbranch_execnz .LBB43_38
.LBB43_21:                              ;   in Loop: Header=BB43_19 Depth=1
	s_or_b64 exec, exec, s[16:17]
	s_and_saveexec_b64 s[16:17], s[18:19]
	s_cbranch_execz .LBB43_23
.LBB43_22:                              ;   in Loop: Header=BB43_19 Depth=1
	v_mov_b32_e32 v2, s21
	v_add_co_u32_e64 v3, s[14:15], s20, v45
	v_addc_co_u32_e64 v4, s[14:15], v2, v46, s[14:15]
	v_add_co_u32_e64 v2, s[14:15], v3, v70
	v_addc_co_u32_e64 v3, s[14:15], 0, v4, s[14:15]
	global_load_dwordx4 v[2:5], v[2:3], off
	s_waitcnt vmcnt(0)
	ds_write_b128 v65, v[2:5]
.LBB43_23:                              ;   in Loop: Header=BB43_19 Depth=1
	s_or_b64 exec, exec, s[16:17]
	s_waitcnt lgkmcnt(0)
	s_barrier
	ds_read_b128 v[3:6], v71
	ds_read_b128 v[7:10], v55
	v_mov_b32_e32 v2, 0
	s_waitcnt lgkmcnt(0)
	;;#ASMSTART
	v_dot2_f32_f16 v2, v3, v7, v2
	;;#ASMEND
	;;#ASMSTART
	v_dot2_f32_f16 v2, v4, v8, v2
	;;#ASMEND
	;;#ASMSTART
	v_dot2_f32_f16 v2, v5, v9, v2
	;;#ASMEND
	;;#ASMSTART
	v_dot2_f32_f16 v2, v6, v10, v2
	;;#ASMEND
	ds_read_b128 v[3:6], v71 offset:16
	ds_read_b128 v[7:10], v55 offset:16
	s_waitcnt lgkmcnt(0)
	;;#ASMSTART
	v_dot2_f32_f16 v2, v3, v7, v2
	;;#ASMEND
	;;#ASMSTART
	v_dot2_f32_f16 v2, v4, v8, v2
	;;#ASMEND
	;;#ASMSTART
	v_dot2_f32_f16 v2, v5, v9, v2
	;;#ASMEND
	;;#ASMSTART
	v_dot2_f32_f16 v2, v6, v10, v2
	;;#ASMEND
	ds_read_b128 v[3:6], v71 offset:32
	ds_read_b128 v[7:10], v55 offset:32
	;; [unrolled: 15-line block ×6, first 2 shown]
	s_waitcnt lgkmcnt(0)
	;;#ASMSTART
	v_dot2_f32_f16 v2, v3, v7, v2
	;;#ASMEND
	;;#ASMSTART
	v_dot2_f32_f16 v2, v4, v8, v2
	;;#ASMEND
	;; [unrolled: 3-line block ×4, first 2 shown]
	s_barrier
	s_and_saveexec_b64 s[16:17], vcc
	s_cbranch_execnz .LBB43_39
; %bb.24:                               ;   in Loop: Header=BB43_19 Depth=1
	s_or_b64 exec, exec, s[16:17]
	s_and_saveexec_b64 s[16:17], s[2:3]
	s_cbranch_execnz .LBB43_40
.LBB43_25:                              ;   in Loop: Header=BB43_19 Depth=1
	s_or_b64 exec, exec, s[16:17]
	s_and_saveexec_b64 s[16:17], s[18:19]
	s_cbranch_execz .LBB43_27
.LBB43_26:                              ;   in Loop: Header=BB43_19 Depth=1
	v_mov_b32_e32 v3, s21
	v_add_co_u32_e64 v4, s[14:15], s20, v45
	v_addc_co_u32_e64 v5, s[14:15], v3, v46, s[14:15]
	v_add_co_u32_e64 v3, s[14:15], v4, v70
	v_addc_co_u32_e64 v4, s[14:15], 0, v5, s[14:15]
	global_load_dwordx4 v[3:6], v[3:4], off offset:112
	s_waitcnt vmcnt(0)
	ds_write_b128 v65, v[3:6]
.LBB43_27:                              ;   in Loop: Header=BB43_19 Depth=1
	s_or_b64 exec, exec, s[16:17]
	s_waitcnt lgkmcnt(0)
	s_barrier
	ds_read_b128 v[3:6], v71
	ds_read_b128 v[7:10], v55 offset:112
	v_add_u32_e32 v11, s6, v53
	s_waitcnt lgkmcnt(0)
	;;#ASMSTART
	v_dot2_f32_f16 v2, v3, v7, v2
	;;#ASMEND
	;;#ASMSTART
	v_dot2_f32_f16 v2, v4, v8, v2
	;;#ASMEND
	;;#ASMSTART
	v_dot2_f32_f16 v2, v5, v9, v2
	;;#ASMEND
	;;#ASMSTART
	v_dot2_f32_f16 v2, v6, v10, v2
	;;#ASMEND
	ds_read_b128 v[3:6], v71 offset:16
	ds_read_b128 v[7:10], v55 offset:128
	s_waitcnt lgkmcnt(0)
	;;#ASMSTART
	v_dot2_f32_f16 v2, v3, v7, v2
	;;#ASMEND
	;;#ASMSTART
	v_dot2_f32_f16 v2, v4, v8, v2
	;;#ASMEND
	;;#ASMSTART
	v_dot2_f32_f16 v2, v5, v9, v2
	;;#ASMEND
	;;#ASMSTART
	v_dot2_f32_f16 v2, v6, v10, v2
	;;#ASMEND
	ds_read_b128 v[3:6], v71 offset:32
	ds_read_b128 v[7:10], v55 offset:144
	s_waitcnt lgkmcnt(0)
	;;#ASMSTART
	v_dot2_f32_f16 v2, v3, v7, v2
	;;#ASMEND
	;;#ASMSTART
	v_dot2_f32_f16 v2, v4, v8, v2
	;;#ASMEND
	;;#ASMSTART
	v_dot2_f32_f16 v2, v5, v9, v2
	;;#ASMEND
	;;#ASMSTART
	v_dot2_f32_f16 v2, v6, v10, v2
	;;#ASMEND
	ds_read_b128 v[3:6], v71 offset:48
	ds_read_b128 v[7:10], v55 offset:160
	s_waitcnt lgkmcnt(0)
	;;#ASMSTART
	v_dot2_f32_f16 v2, v3, v7, v2
	;;#ASMEND
	;;#ASMSTART
	v_dot2_f32_f16 v2, v4, v8, v2
	;;#ASMEND
	;;#ASMSTART
	v_dot2_f32_f16 v2, v5, v9, v2
	;;#ASMEND
	;;#ASMSTART
	v_dot2_f32_f16 v2, v6, v10, v2
	;;#ASMEND
	ds_read_b128 v[3:6], v71 offset:64
	ds_read_b128 v[7:10], v55 offset:176
	s_waitcnt lgkmcnt(0)
	;;#ASMSTART
	v_dot2_f32_f16 v2, v3, v7, v2
	;;#ASMEND
	;;#ASMSTART
	v_dot2_f32_f16 v2, v4, v8, v2
	;;#ASMEND
	;;#ASMSTART
	v_dot2_f32_f16 v2, v5, v9, v2
	;;#ASMEND
	;;#ASMSTART
	v_dot2_f32_f16 v2, v6, v10, v2
	;;#ASMEND
	ds_read_b128 v[3:6], v71 offset:80
	ds_read_b128 v[7:10], v55 offset:192
	s_waitcnt lgkmcnt(0)
	;;#ASMSTART
	v_dot2_f32_f16 v2, v3, v7, v2
	;;#ASMEND
	;;#ASMSTART
	v_dot2_f32_f16 v2, v4, v8, v2
	;;#ASMEND
	;;#ASMSTART
	v_dot2_f32_f16 v2, v5, v9, v2
	;;#ASMEND
	;;#ASMSTART
	v_dot2_f32_f16 v2, v6, v10, v2
	;;#ASMEND
	ds_read_b128 v[3:6], v71 offset:96
	ds_read_b128 v[7:10], v55 offset:208
	v_ashrrev_i32_e32 v12, 31, v11
	v_lshlrev_b64 v[11:12], 1, v[11:12]
	s_waitcnt lgkmcnt(0)
	;;#ASMSTART
	v_dot2_f32_f16 v2, v3, v7, v2
	;;#ASMEND
	v_mov_b32_e32 v13, s41
	v_add_co_u32_e64 v11, s[14:15], s40, v11
	;;#ASMSTART
	v_dot2_f32_f16 v2, v4, v8, v2
	;;#ASMEND
	v_addc_co_u32_e64 v12, s[14:15], v13, v12, s[14:15]
	;;#ASMSTART
	v_dot2_f32_f16 v2, v5, v9, v2
	;;#ASMEND
	;;#ASMSTART
	v_dot2_f32_f16 v2, v6, v10, v2
	;;#ASMEND
	global_load_ushort v3, v[11:12], off
	v_and_b32_e32 v4, 0x60, v59
	v_xor_b32_e32 v77, 16, v59
	v_add_u32_e32 v76, 32, v4
	v_cmp_lt_i32_e64 s[14:15], v77, v76
	v_max_f32_e32 v5, v1, v1
	v_cndmask_b32_e64 v4, v59, v77, s[14:15]
	v_lshlrev_b32_e32 v4, 2, v4
	v_xor_b32_e32 v78, 8, v59
	v_cmp_lt_i32_e64 s[14:15], v78, v76
	v_xor_b32_e32 v79, 4, v59
	v_xor_b32_e32 v80, 2, v59
	;; [unrolled: 1-line block ×3, first 2 shown]
	s_waitcnt vmcnt(0)
	s_barrier
	v_cvt_f32_f16_e32 v3, v3
	v_add_f32_e32 v2, v2, v3
	v_add_f32_e32 v3, 0x40051340, v2
	v_max_f32_e32 v3, v5, v3
	ds_bpermute_b32 v4, v4, v3
	v_cndmask_b32_e64 v5, v59, v78, s[14:15]
	v_lshlrev_b32_e32 v5, 2, v5
	v_cmp_lt_i32_e64 s[14:15], v79, v76
	s_waitcnt lgkmcnt(0)
	v_max_f32_e32 v4, v4, v4
	v_max_f32_e32 v3, v3, v4
	ds_bpermute_b32 v4, v5, v3
	v_cndmask_b32_e64 v5, v59, v79, s[14:15]
	v_lshlrev_b32_e32 v5, 2, v5
	v_cmp_lt_i32_e64 s[14:15], v80, v76
	s_waitcnt lgkmcnt(0)
	v_max_f32_e32 v4, v4, v4
	;; [unrolled: 7-line block ×3, first 2 shown]
	v_max_f32_e32 v3, v3, v4
	ds_bpermute_b32 v4, v5, v3
	v_cndmask_b32_e64 v5, v59, v81, s[14:15]
	v_lshlrev_b32_e32 v5, 2, v5
	s_mul_hi_i32 s15, s6, s43
	s_mul_i32 s14, s6, s43
	s_waitcnt lgkmcnt(0)
	v_max_f32_e32 v4, v4, v4
	v_max_f32_e32 v3, v3, v4
	ds_bpermute_b32 v4, v5, v3
	s_lshl_b64 s[16:17], s[14:15], 2
	s_add_u32 s20, s47, s16
	s_addc_u32 s21, s48, s17
	s_waitcnt lgkmcnt(0)
	v_max_f32_e32 v4, v4, v4
	v_max_f32_e32 v54, v3, v4
	v_sub_f32_e32 v2, v2, v54
	v_mul_f32_e32 v3, 0x3fb8aa3b, v2
	v_fma_f32 v4, v2, s36, -v3
	v_rndne_f32_e32 v5, v3
	v_fmac_f32_e32 v4, 0x32a5705f, v2
	v_sub_f32_e32 v3, v3, v5
	v_add_f32_e32 v3, v3, v4
	v_cvt_i32_f32_e32 v5, v5
	v_exp_f32_e32 v3, v3
	v_cmp_ngt_f32_e64 s[14:15], s37, v2
	v_ldexp_f32 v3, v3, v5
	v_cndmask_b32_e64 v3, 0, v3, s[14:15]
	v_cmp_nlt_f32_e64 s[14:15], s49, v2
	v_cndmask_b32_e64 v82, v74, v3, s[14:15]
	v_cvt_f16_f32_e32 v2, v82
	ds_write_b16 v73, v2
	s_and_saveexec_b64 s[16:17], s[8:9]
	s_cbranch_execnz .LBB43_41
; %bb.28:                               ;   in Loop: Header=BB43_19 Depth=1
	s_or_b64 exec, exec, s[16:17]
	s_and_saveexec_b64 s[16:17], s[10:11]
	s_cbranch_execnz .LBB43_42
.LBB43_29:                              ;   in Loop: Header=BB43_19 Depth=1
	s_or_b64 exec, exec, s[16:17]
	v_lshlrev_b32_e32 v84, 2, v67
	s_and_saveexec_b64 s[16:17], s[12:13]
	s_cbranch_execz .LBB43_31
.LBB43_30:                              ;   in Loop: Header=BB43_19 Depth=1
	v_mov_b32_e32 v2, s21
	v_add_co_u32_e64 v3, s[14:15], s20, v51
	v_addc_co_u32_e64 v4, s[14:15], v2, v52, s[14:15]
	v_add_co_u32_e64 v2, s[14:15], v3, v84
	v_addc_co_u32_e64 v3, s[14:15], 0, v4, s[14:15]
	global_load_dwordx4 v[2:5], v[2:3], off
	s_waitcnt vmcnt(0)
	ds_write_b128 v68, v[2:5]
.LBB43_31:                              ;   in Loop: Header=BB43_19 Depth=1
	s_or_b64 exec, exec, s[16:17]
	s_waitcnt lgkmcnt(0)
	s_barrier
	ds_read2_b64 v[21:24], v58 offset1:28
	ds_read_b128 v[37:40], v63
	ds_read_b128 v[33:36], v63 offset:16
	ds_read2_b64 v[29:32], v58 offset0:56 offset1:84
	ds_read2_b64 v[25:28], v58 offset0:112 offset1:140
	;; [unrolled: 1-line block ×4, first 2 shown]
	v_add_u32_e32 v83, 0x800, v58
	v_sub_f32_e32 v85, v1, v54
	ds_read2_b64 v[13:16], v83 offset0:24 offset1:52
	ds_read2_b64 v[5:8], v83 offset0:80 offset1:108
	;; [unrolled: 1-line block ×3, first 2 shown]
	s_or_b32 s20, s6, 16
	s_mul_hi_i32 s21, s20, s43
	s_mul_i32 s20, s20, s43
	s_lshl_b64 s[20:21], s[20:21], 2
	s_add_u32 s51, s47, s20
	v_cmp_ngt_f32_e64 s[14:15], s37, v85
	v_cmp_nlt_f32_e64 s[16:17], s49, v85
	s_addc_u32 s52, s48, s21
	s_waitcnt lgkmcnt(0)
	s_barrier
	s_and_saveexec_b64 s[26:27], s[8:9]
	s_cbranch_execnz .LBB43_43
; %bb.32:                               ;   in Loop: Header=BB43_19 Depth=1
	s_or_b64 exec, exec, s[26:27]
	s_and_saveexec_b64 s[26:27], s[10:11]
	s_cbranch_execnz .LBB43_44
.LBB43_33:                              ;   in Loop: Header=BB43_19 Depth=1
	s_or_b64 exec, exec, s[26:27]
	s_and_saveexec_b64 s[26:27], s[12:13]
	s_cbranch_execz .LBB43_35
.LBB43_34:                              ;   in Loop: Header=BB43_19 Depth=1
	v_mov_b32_e32 v86, s52
	v_add_co_u32_e64 v87, s[20:21], s51, v51
	v_addc_co_u32_e64 v88, s[20:21], v86, v52, s[20:21]
	v_add_co_u32_e64 v86, s[20:21], v87, v84
	v_addc_co_u32_e64 v87, s[20:21], 0, v88, s[20:21]
	global_load_dwordx4 v[86:89], v[86:87], off
	s_waitcnt vmcnt(0)
	ds_write_b128 v68, v[86:89]
.LBB43_35:                              ;   in Loop: Header=BB43_19 Depth=1
	s_or_b64 exec, exec, s[26:27]
	v_mul_f32_e32 v84, 0x3fb8aa3b, v85
	v_fma_f32 v86, v85, s36, -v84
	v_fmac_f32_e32 v86, 0x32a5705f, v85
	v_rndne_f32_e32 v85, v84
	v_sub_f32_e32 v84, v84, v85
	v_add_f32_e32 v84, v84, v86
	v_cvt_i32_f32_e32 v85, v85
	v_exp_f32_e32 v84, v84
	v_mul_u32_u24_sdwa v86, v37, s50 dst_sel:DWORD dst_unused:UNUSED_PAD src0_sel:WORD_0 src1_sel:DWORD
	v_pk_mul_f16 v21, v21, v86
	v_pk_mul_f16 v22, v22, v86
	v_ldexp_f32 v84, v84, v85
	v_cndmask_b32_e64 v84, 0, v84, s[14:15]
	v_cndmask_b32_e64 v84, v74, v84, s[16:17]
	v_cvt_f16_f32_e32 v85, v84
	v_mul_u32_u24_sdwa v37, v37, s50 dst_sel:DWORD dst_unused:UNUSED_PAD src0_sel:WORD_1 src1_sel:DWORD
	v_mul_u32_u24_sdwa v87, v38, s50 dst_sel:DWORD dst_unused:UNUSED_PAD src0_sel:WORD_0 src1_sel:DWORD
	v_mul_u32_u24_sdwa v38, v38, s50 dst_sel:DWORD dst_unused:UNUSED_PAD src0_sel:WORD_1 src1_sel:DWORD
	v_mul_u32_u24_e32 v85, 0x10001, v85
	v_pk_fma_f16 v21, v60, v85, v21
	v_pk_fma_f16 v22, v61, v85, v22
	;; [unrolled: 1-line block ×6, first 2 shown]
	v_mul_u32_u24_sdwa v88, v39, s50 dst_sel:DWORD dst_unused:UNUSED_PAD src0_sel:WORD_0 src1_sel:DWORD
	v_pk_fma_f16 v21, v31, v38, v21
	v_pk_fma_f16 v22, v32, v38, v22
	v_mul_u32_u24_sdwa v39, v39, s50 dst_sel:DWORD dst_unused:UNUSED_PAD src0_sel:WORD_1 src1_sel:DWORD
	v_pk_fma_f16 v21, v25, v88, v21
	v_pk_fma_f16 v22, v26, v88, v22
	v_mul_u32_u24_sdwa v89, v40, s50 dst_sel:DWORD dst_unused:UNUSED_PAD src0_sel:WORD_0 src1_sel:DWORD
	v_pk_fma_f16 v21, v27, v39, v21
	v_pk_fma_f16 v22, v28, v39, v22
	v_mul_u32_u24_sdwa v40, v40, s50 dst_sel:DWORD dst_unused:UNUSED_PAD src0_sel:WORD_1 src1_sel:DWORD
	v_pk_fma_f16 v17, v17, v89, v21
	v_pk_fma_f16 v18, v18, v89, v22
	;; [unrolled: 6-line block ×5, first 2 shown]
	v_mul_u32_u24_sdwa v93, v36, s50 dst_sel:DWORD dst_unused:UNUSED_PAD src0_sel:WORD_0 src1_sel:DWORD
	v_pk_fma_f16 v5, v7, v35, v5
	v_pk_fma_f16 v6, v8, v35, v6
	;; [unrolled: 1-line block ×4, first 2 shown]
	s_waitcnt lgkmcnt(0)
	s_barrier
	ds_read_b128 v[5:8], v63 offset:32
	ds_read2_b64 v[9:12], v58 offset1:28
	v_mul_u32_u24_sdwa v36, v36, s50 dst_sel:DWORD dst_unused:UNUSED_PAD src0_sel:WORD_1 src1_sel:DWORD
	v_pk_fma_f16 v13, v3, v36, v1
	v_pk_fma_f16 v14, v4, v36, v2
	s_waitcnt lgkmcnt(1)
	v_mul_u32_u24_sdwa v15, v5, s50 dst_sel:DWORD dst_unused:UNUSED_PAD src0_sel:WORD_0 src1_sel:DWORD
	s_waitcnt lgkmcnt(0)
	v_pk_fma_f16 v9, v9, v15, v13
	v_pk_fma_f16 v10, v10, v15, v14
	ds_read2_b64 v[13:16], v58 offset0:56 offset1:84
	v_mul_u32_u24_sdwa v5, v5, s50 dst_sel:DWORD dst_unused:UNUSED_PAD src0_sel:WORD_1 src1_sel:DWORD
	v_pk_fma_f16 v9, v11, v5, v9
	v_pk_fma_f16 v5, v12, v5, v10
	v_mul_u32_u24_sdwa v10, v6, s50 dst_sel:DWORD dst_unused:UNUSED_PAD src0_sel:WORD_0 src1_sel:DWORD
	s_waitcnt lgkmcnt(0)
	v_pk_fma_f16 v13, v13, v10, v9
	v_pk_fma_f16 v5, v14, v10, v5
	ds_read2_b64 v[9:12], v58 offset0:112 offset1:140
	v_mul_u32_u24_sdwa v6, v6, s50 dst_sel:DWORD dst_unused:UNUSED_PAD src0_sel:WORD_1 src1_sel:DWORD
	v_pk_fma_f16 v13, v15, v6, v13
	v_pk_fma_f16 v5, v16, v6, v5
	v_mul_u32_u24_sdwa v6, v7, s50 dst_sel:DWORD dst_unused:UNUSED_PAD src0_sel:WORD_0 src1_sel:DWORD
	s_waitcnt lgkmcnt(0)
	v_pk_fma_f16 v9, v9, v6, v13
	ds_read2_b64 v[13:16], v58 offset0:168 offset1:196
	ds_read_b128 v[1:4], v63 offset:48
	v_pk_fma_f16 v5, v10, v6, v5
	v_mul_u32_u24_sdwa v6, v7, s50 dst_sel:DWORD dst_unused:UNUSED_PAD src0_sel:WORD_1 src1_sel:DWORD
	v_pk_fma_f16 v7, v11, v6, v9
	v_pk_fma_f16 v5, v12, v6, v5
	ds_read2_b64 v[9:12], v58 offset0:224 offset1:252
	v_mul_u32_u24_sdwa v6, v8, s50 dst_sel:DWORD dst_unused:UNUSED_PAD src0_sel:WORD_0 src1_sel:DWORD
	s_waitcnt lgkmcnt(2)
	v_pk_fma_f16 v7, v13, v6, v7
	v_pk_fma_f16 v5, v14, v6, v5
	v_mul_u32_u24_sdwa v6, v8, s50 dst_sel:DWORD dst_unused:UNUSED_PAD src0_sel:WORD_1 src1_sel:DWORD
	v_pk_fma_f16 v7, v15, v6, v7
	v_pk_fma_f16 v5, v16, v6, v5
	s_waitcnt lgkmcnt(1)
	v_mul_u32_u24_sdwa v6, v1, s50 dst_sel:DWORD dst_unused:UNUSED_PAD src0_sel:WORD_0 src1_sel:DWORD
	s_waitcnt lgkmcnt(0)
	v_pk_fma_f16 v9, v9, v6, v7
	v_pk_fma_f16 v10, v10, v6, v5
	ds_read2_b64 v[5:8], v83 offset0:24 offset1:52
	v_mul_u32_u24_sdwa v1, v1, s50 dst_sel:DWORD dst_unused:UNUSED_PAD src0_sel:WORD_1 src1_sel:DWORD
	v_pk_fma_f16 v9, v11, v1, v9
	v_pk_fma_f16 v1, v12, v1, v10
	v_mul_u32_u24_sdwa v10, v2, s50 dst_sel:DWORD dst_unused:UNUSED_PAD src0_sel:WORD_0 src1_sel:DWORD
	s_waitcnt lgkmcnt(0)
	v_pk_fma_f16 v5, v5, v10, v9
	v_pk_fma_f16 v1, v6, v10, v1
	ds_read2_b64 v[9:12], v83 offset0:80 offset1:108
	v_mul_u32_u24_sdwa v2, v2, s50 dst_sel:DWORD dst_unused:UNUSED_PAD src0_sel:WORD_1 src1_sel:DWORD
	v_pk_fma_f16 v5, v7, v2, v5
	v_pk_fma_f16 v1, v8, v2, v1
	v_mul_u32_u24_sdwa v2, v3, s50 dst_sel:DWORD dst_unused:UNUSED_PAD src0_sel:WORD_0 src1_sel:DWORD
	s_waitcnt lgkmcnt(0)
	v_pk_fma_f16 v5, v9, v2, v5
	v_pk_fma_f16 v1, v10, v2, v1
	v_mul_u32_u24_sdwa v2, v3, s50 dst_sel:DWORD dst_unused:UNUSED_PAD src0_sel:WORD_1 src1_sel:DWORD
	v_pk_fma_f16 v3, v11, v2, v5
	ds_read2_b64 v[5:8], v83 offset0:136 offset1:164
	s_waitcnt lgkmcnt(0)
	s_barrier
	s_load_dword s14, s[22:23], 0x4
	v_pk_fma_f16 v1, v12, v2, v1
	v_mul_u32_u24_sdwa v2, v4, s50 dst_sel:DWORD dst_unused:UNUSED_PAD src0_sel:WORD_0 src1_sel:DWORD
	v_pk_fma_f16 v3, v5, v2, v3
	v_pk_fma_f16 v1, v6, v2, v1
	s_waitcnt lgkmcnt(0)
	s_lshl_b32 s14, s14, 5
	v_mul_u32_u24_sdwa v2, v4, s50 dst_sel:DWORD dst_unused:UNUSED_PAD src0_sel:WORD_1 src1_sel:DWORD
	s_add_i32 s6, s14, s6
	v_fmac_f32_e32 v82, v75, v84
	v_pk_fma_f16 v60, v7, v2, v3
	s_cmp_ge_i32 s6, s34
	v_pk_fma_f16 v61, v8, v2, v1
	s_cbranch_scc1 .LBB43_9
; %bb.36:                               ;   in Loop: Header=BB43_19 Depth=1
	v_mov_b32_e32 v1, v54
	v_mov_b32_e32 v75, v82
	s_branch .LBB43_19
.LBB43_37:                              ;   in Loop: Header=BB43_19 Depth=1
	v_mov_b32_e32 v3, s21
	v_add_co_u32_e64 v2, s[14:15], s20, v41
	v_addc_co_u32_e64 v3, s[14:15], v3, v42, s[14:15]
	global_load_dwordx4 v[2:5], v[2:3], off offset:96
	s_waitcnt vmcnt(0)
	ds_write_b128 v72, v[2:5]
	s_or_b64 exec, exec, s[16:17]
	s_and_saveexec_b64 s[16:17], s[2:3]
	s_cbranch_execz .LBB43_21
.LBB43_38:                              ;   in Loop: Header=BB43_19 Depth=1
	v_mov_b32_e32 v2, s21
	v_add_co_u32_e64 v3, s[14:15], s20, v43
	v_addc_co_u32_e64 v4, s[14:15], v2, v44, s[14:15]
	v_add_co_u32_e64 v2, s[14:15], v3, v69
	v_addc_co_u32_e64 v3, s[14:15], 0, v4, s[14:15]
	global_load_dwordx4 v[2:5], v[2:3], off offset:64
	s_waitcnt vmcnt(0)
	ds_write_b128 v62, v[2:5]
	s_or_b64 exec, exec, s[16:17]
	s_and_saveexec_b64 s[16:17], s[18:19]
	s_cbranch_execnz .LBB43_22
	s_branch .LBB43_23
.LBB43_39:                              ;   in Loop: Header=BB43_19 Depth=1
	v_mov_b32_e32 v4, s21
	v_add_co_u32_e64 v3, s[14:15], s20, v41
	v_addc_co_u32_e64 v4, s[14:15], v4, v42, s[14:15]
	global_load_dwordx4 v[3:6], v[3:4], off offset:208
	s_waitcnt vmcnt(0)
	ds_write_b128 v72, v[3:6]
	s_or_b64 exec, exec, s[16:17]
	s_and_saveexec_b64 s[16:17], s[2:3]
	s_cbranch_execz .LBB43_25
.LBB43_40:                              ;   in Loop: Header=BB43_19 Depth=1
	v_mov_b32_e32 v3, s21
	v_add_co_u32_e64 v4, s[14:15], s20, v43
	v_addc_co_u32_e64 v5, s[14:15], v3, v44, s[14:15]
	v_add_co_u32_e64 v3, s[14:15], v4, v69
	v_addc_co_u32_e64 v4, s[14:15], 0, v5, s[14:15]
	global_load_dwordx4 v[3:6], v[3:4], off offset:176
	s_waitcnt vmcnt(0)
	ds_write_b128 v62, v[3:6]
	s_or_b64 exec, exec, s[16:17]
	s_and_saveexec_b64 s[16:17], s[18:19]
	s_cbranch_execnz .LBB43_26
	s_branch .LBB43_27
.LBB43_41:                              ;   in Loop: Header=BB43_19 Depth=1
	v_mov_b32_e32 v2, s21
	v_add_co_u32_e64 v3, s[14:15], s20, v47
	v_addc_co_u32_e64 v4, s[14:15], v2, v48, s[14:15]
	v_add_co_u32_e64 v2, s[14:15], v3, v69
	v_addc_co_u32_e64 v3, s[14:15], 0, v4, s[14:15]
	global_load_dwordx4 v[2:5], v[2:3], off offset:192
	s_waitcnt vmcnt(0)
	ds_write_b128 v66, v[2:5]
	s_or_b64 exec, exec, s[16:17]
	s_and_saveexec_b64 s[16:17], s[10:11]
	s_cbranch_execz .LBB43_29
.LBB43_42:                              ;   in Loop: Header=BB43_19 Depth=1
	v_mov_b32_e32 v2, s21
	v_add_co_u32_e64 v3, s[14:15], s20, v49
	v_addc_co_u32_e64 v4, s[14:15], v2, v50, s[14:15]
	v_add_co_u32_e64 v2, s[14:15], v3, v70
	v_addc_co_u32_e64 v3, s[14:15], 0, v4, s[14:15]
	global_load_dwordx4 v[2:5], v[2:3], off offset:128
	s_waitcnt vmcnt(0)
	ds_write_b128 v64, v[2:5]
	s_or_b64 exec, exec, s[16:17]
	v_lshlrev_b32_e32 v84, 2, v67
	s_and_saveexec_b64 s[16:17], s[12:13]
	s_cbranch_execnz .LBB43_30
	s_branch .LBB43_31
.LBB43_43:                              ;   in Loop: Header=BB43_19 Depth=1
	v_mov_b32_e32 v86, s52
	v_add_co_u32_e64 v87, s[20:21], s51, v47
	v_addc_co_u32_e64 v88, s[20:21], v86, v48, s[20:21]
	v_add_co_u32_e64 v86, s[20:21], v87, v69
	v_addc_co_u32_e64 v87, s[20:21], 0, v88, s[20:21]
	global_load_dwordx4 v[86:89], v[86:87], off offset:192
	s_waitcnt vmcnt(0)
	ds_write_b128 v66, v[86:89]
	s_or_b64 exec, exec, s[26:27]
	s_and_saveexec_b64 s[26:27], s[10:11]
	s_cbranch_execz .LBB43_33
.LBB43_44:                              ;   in Loop: Header=BB43_19 Depth=1
	v_mov_b32_e32 v86, s52
	v_add_co_u32_e64 v87, s[20:21], s51, v49
	v_addc_co_u32_e64 v88, s[20:21], v86, v50, s[20:21]
	v_add_co_u32_e64 v86, s[20:21], v87, v70
	v_addc_co_u32_e64 v87, s[20:21], 0, v88, s[20:21]
	global_load_dwordx4 v[86:89], v[86:87], off offset:128
	s_waitcnt vmcnt(0)
	ds_write_b128 v64, v[86:89]
	s_or_b64 exec, exec, s[26:27]
	s_and_saveexec_b64 s[26:27], s[12:13]
	s_cbranch_execnz .LBB43_34
	s_branch .LBB43_35
	.section	.rodata,"a",@progbits
	.p2align	6, 0x0
	.amdhsa_kernel _ZL15flash_attn_tileILi112ELi112ELi4ELi2ELb0EEvPKcS1_S1_S1_S1_PKiPfP15HIP_vector_typeIfLj2EEffffjfiS5_IjLj3EEiiiiiiiiiiiliiliiiiil
		.amdhsa_group_segment_fixed_size 6464
		.amdhsa_private_segment_fixed_size 0
		.amdhsa_kernarg_size 464
		.amdhsa_user_sgpr_count 6
		.amdhsa_user_sgpr_private_segment_buffer 1
		.amdhsa_user_sgpr_dispatch_ptr 0
		.amdhsa_user_sgpr_queue_ptr 0
		.amdhsa_user_sgpr_kernarg_segment_ptr 1
		.amdhsa_user_sgpr_dispatch_id 0
		.amdhsa_user_sgpr_flat_scratch_init 0
		.amdhsa_user_sgpr_private_segment_size 0
		.amdhsa_uses_dynamic_stack 0
		.amdhsa_system_sgpr_private_segment_wavefront_offset 0
		.amdhsa_system_sgpr_workgroup_id_x 1
		.amdhsa_system_sgpr_workgroup_id_y 1
		.amdhsa_system_sgpr_workgroup_id_z 1
		.amdhsa_system_sgpr_workgroup_info 0
		.amdhsa_system_vgpr_workitem_id 1
		.amdhsa_next_free_vgpr 94
		.amdhsa_next_free_sgpr 53
		.amdhsa_reserve_vcc 1
		.amdhsa_reserve_flat_scratch 0
		.amdhsa_float_round_mode_32 0
		.amdhsa_float_round_mode_16_64 0
		.amdhsa_float_denorm_mode_32 3
		.amdhsa_float_denorm_mode_16_64 3
		.amdhsa_dx10_clamp 1
		.amdhsa_ieee_mode 1
		.amdhsa_fp16_overflow 0
		.amdhsa_exception_fp_ieee_invalid_op 0
		.amdhsa_exception_fp_denorm_src 0
		.amdhsa_exception_fp_ieee_div_zero 0
		.amdhsa_exception_fp_ieee_overflow 0
		.amdhsa_exception_fp_ieee_underflow 0
		.amdhsa_exception_fp_ieee_inexact 0
		.amdhsa_exception_int_div_zero 0
	.end_amdhsa_kernel
	.section	.text._ZL15flash_attn_tileILi112ELi112ELi4ELi2ELb0EEvPKcS1_S1_S1_S1_PKiPfP15HIP_vector_typeIfLj2EEffffjfiS5_IjLj3EEiiiiiiiiiiiliiliiiiil,"axG",@progbits,_ZL15flash_attn_tileILi112ELi112ELi4ELi2ELb0EEvPKcS1_S1_S1_S1_PKiPfP15HIP_vector_typeIfLj2EEffffjfiS5_IjLj3EEiiiiiiiiiiiliiliiiiil,comdat
.Lfunc_end43:
	.size	_ZL15flash_attn_tileILi112ELi112ELi4ELi2ELb0EEvPKcS1_S1_S1_S1_PKiPfP15HIP_vector_typeIfLj2EEffffjfiS5_IjLj3EEiiiiiiiiiiiliiliiiiil, .Lfunc_end43-_ZL15flash_attn_tileILi112ELi112ELi4ELi2ELb0EEvPKcS1_S1_S1_S1_PKiPfP15HIP_vector_typeIfLj2EEffffjfiS5_IjLj3EEiiiiiiiiiiiliiliiiiil
                                        ; -- End function
	.set _ZL15flash_attn_tileILi112ELi112ELi4ELi2ELb0EEvPKcS1_S1_S1_S1_PKiPfP15HIP_vector_typeIfLj2EEffffjfiS5_IjLj3EEiiiiiiiiiiiliiliiiiil.num_vgpr, 94
	.set _ZL15flash_attn_tileILi112ELi112ELi4ELi2ELb0EEvPKcS1_S1_S1_S1_PKiPfP15HIP_vector_typeIfLj2EEffffjfiS5_IjLj3EEiiiiiiiiiiiliiliiiiil.num_agpr, 0
	.set _ZL15flash_attn_tileILi112ELi112ELi4ELi2ELb0EEvPKcS1_S1_S1_S1_PKiPfP15HIP_vector_typeIfLj2EEffffjfiS5_IjLj3EEiiiiiiiiiiiliiliiiiil.numbered_sgpr, 53
	.set _ZL15flash_attn_tileILi112ELi112ELi4ELi2ELb0EEvPKcS1_S1_S1_S1_PKiPfP15HIP_vector_typeIfLj2EEffffjfiS5_IjLj3EEiiiiiiiiiiiliiliiiiil.num_named_barrier, 0
	.set _ZL15flash_attn_tileILi112ELi112ELi4ELi2ELb0EEvPKcS1_S1_S1_S1_PKiPfP15HIP_vector_typeIfLj2EEffffjfiS5_IjLj3EEiiiiiiiiiiiliiliiiiil.private_seg_size, 0
	.set _ZL15flash_attn_tileILi112ELi112ELi4ELi2ELb0EEvPKcS1_S1_S1_S1_PKiPfP15HIP_vector_typeIfLj2EEffffjfiS5_IjLj3EEiiiiiiiiiiiliiliiiiil.uses_vcc, 1
	.set _ZL15flash_attn_tileILi112ELi112ELi4ELi2ELb0EEvPKcS1_S1_S1_S1_PKiPfP15HIP_vector_typeIfLj2EEffffjfiS5_IjLj3EEiiiiiiiiiiiliiliiiiil.uses_flat_scratch, 0
	.set _ZL15flash_attn_tileILi112ELi112ELi4ELi2ELb0EEvPKcS1_S1_S1_S1_PKiPfP15HIP_vector_typeIfLj2EEffffjfiS5_IjLj3EEiiiiiiiiiiiliiliiiiil.has_dyn_sized_stack, 0
	.set _ZL15flash_attn_tileILi112ELi112ELi4ELi2ELb0EEvPKcS1_S1_S1_S1_PKiPfP15HIP_vector_typeIfLj2EEffffjfiS5_IjLj3EEiiiiiiiiiiiliiliiiiil.has_recursion, 0
	.set _ZL15flash_attn_tileILi112ELi112ELi4ELi2ELb0EEvPKcS1_S1_S1_S1_PKiPfP15HIP_vector_typeIfLj2EEffffjfiS5_IjLj3EEiiiiiiiiiiiliiliiiiil.has_indirect_call, 0
	.section	.AMDGPU.csdata,"",@progbits
; Kernel info:
; codeLenInByte = 5676
; TotalNumSgprs: 57
; NumVgprs: 94
; ScratchSize: 0
; MemoryBound: 0
; FloatMode: 240
; IeeeMode: 1
; LDSByteSize: 6464 bytes/workgroup (compile time only)
; SGPRBlocks: 7
; VGPRBlocks: 23
; NumSGPRsForWavesPerEU: 57
; NumVGPRsForWavesPerEU: 94
; Occupancy: 2
; WaveLimiterHint : 1
; COMPUTE_PGM_RSRC2:SCRATCH_EN: 0
; COMPUTE_PGM_RSRC2:USER_SGPR: 6
; COMPUTE_PGM_RSRC2:TRAP_HANDLER: 0
; COMPUTE_PGM_RSRC2:TGID_X_EN: 1
; COMPUTE_PGM_RSRC2:TGID_Y_EN: 1
; COMPUTE_PGM_RSRC2:TGID_Z_EN: 1
; COMPUTE_PGM_RSRC2:TIDIG_COMP_CNT: 1
	.section	.text._ZL33flash_attn_stream_k_fixup_uniformILi112ELi4ELi2EEvPfPK15HIP_vector_typeIfLj2EEiiiiiiS1_IjLj3EES5_S5_,"axG",@progbits,_ZL33flash_attn_stream_k_fixup_uniformILi112ELi4ELi2EEvPfPK15HIP_vector_typeIfLj2EEiiiiiiS1_IjLj3EES5_S5_,comdat
	.globl	_ZL33flash_attn_stream_k_fixup_uniformILi112ELi4ELi2EEvPfPK15HIP_vector_typeIfLj2EEiiiiiiS1_IjLj3EES5_S5_ ; -- Begin function _ZL33flash_attn_stream_k_fixup_uniformILi112ELi4ELi2EEvPfPK15HIP_vector_typeIfLj2EEiiiiiiS1_IjLj3EES5_S5_
	.p2align	8
	.type	_ZL33flash_attn_stream_k_fixup_uniformILi112ELi4ELi2EEvPfPK15HIP_vector_typeIfLj2EEiiiiiiS1_IjLj3EES5_S5_,@function
_ZL33flash_attn_stream_k_fixup_uniformILi112ELi4ELi2EEvPfPK15HIP_vector_typeIfLj2EEiiiiiiS1_IjLj3EES5_S5_: ; @_ZL33flash_attn_stream_k_fixup_uniformILi112ELi4ELi2EEvPfPK15HIP_vector_typeIfLj2EEiiiiiiS1_IjLj3EES5_S5_
; %bb.0:
	s_load_dwordx8 s[12:19], s[4:5], 0x1c
	s_load_dwordx2 s[10:11], s[4:5], 0x10
	s_load_dwordx4 s[0:3], s[4:5], 0x3c
	s_waitcnt lgkmcnt(0)
	s_mul_hi_u32 s9, s15, s6
	s_add_i32 s9, s6, s9
	s_lshr_b32 s9, s9, s16
	s_mul_i32 s15, s9, s17
	s_sub_i32 s16, s6, s15
	s_mul_hi_u32 s15, s16, s18
	s_add_i32 s15, s16, s15
	s_lshr_b32 s15, s15, s19
	s_mul_i32 s0, s15, s0
	s_sub_i32 s0, s16, s0
	;; [unrolled: 5-line block ×3, first 2 shown]
	s_lshl_b32 s0, s16, 2
	s_lshl_b32 s17, s1, 1
	s_add_i32 s0, s0, s7
	s_cmp_lt_i32 s0, s10
	s_cselect_b64 s[0:1], -1, 0
	s_add_i32 s17, s17, s8
	s_cmp_lt_i32 s17, s13
	s_cselect_b64 s[2:3], -1, 0
	s_and_b64 s[0:1], s[0:1], s[2:3]
	s_andn2_b64 vcc, exec, s[0:1]
	s_cbranch_vccnz .LBB44_6
; %bb.1:
	s_load_dwordx4 s[0:3], s[4:5], 0x0
	s_mul_i32 s4, s9, s10
	s_mul_i32 s15, s15, s13
	s_add_i32 s4, s4, s7
	s_mul_i32 s4, s4, s11
	s_add_i32 s9, s17, s15
	;; [unrolled: 2-line block ×3, first 2 shown]
	s_mulk_i32 s5, 0x1c0
	s_mulk_i32 s4, 0x70
	s_add_i32 s4, s4, s5
	v_add_u32_e32 v1, s4, v0
	v_ashrrev_i32_e32 v2, 31, v1
	v_lshlrev_b64 v[1:2], 2, v[1:2]
	s_waitcnt lgkmcnt(0)
	v_mov_b32_e32 v3, s1
	v_add_co_u32_e32 v1, vcc, s0, v1
	v_addc_co_u32_e32 v2, vcc, v3, v2, vcc
	global_load_dword v8, v[1:2], off
	s_mul_i32 s9, s14, s6
	s_lshl_b32 s4, s7, 1
	s_add_i32 s11, s9, s14
	s_add_i32 s0, s4, s8
	s_lshl_b32 s1, s11, 3
	s_add_i32 s0, s0, s1
	s_add_i32 s0, s0, -8
	s_ashr_i32 s1, s0, 31
	s_lshl_b64 s[0:1], s[0:1], 3
	s_add_u32 s0, s2, s0
	s_addc_u32 s1, s3, s1
	s_load_dword s5, s[0:1], 0x4
	s_add_i32 s10, s11, -2
	s_cmp_lt_i32 s10, s9
	s_cbranch_scc1 .LBB44_4
; %bb.2:
	s_lshl_b32 s16, s12, 5
	s_ashr_i32 s17, s16, 31
	s_lshl_b64 s[16:17], s[16:17], 2
	s_add_u32 s10, s2, s16
	s_addc_u32 s13, s3, s17
	s_add_i32 s6, s6, 1
	s_load_dword s0, s[0:1], 0x0
	s_mul_i32 s1, s14, s6
	s_lshl_b32 s6, s1, 3
	s_add_i32 s6, s8, s6
	s_lshl_b32 s12, s12, 3
	s_add_i32 s6, s6, s12
	s_add_i32 s4, s6, s4
	s_mulk_i32 s7, 0xe0
	s_mul_i32 s6, s8, 0x70
	s_mulk_i32 s1, 0x380
	s_add_i32 s6, s6, s7
	s_add_i32 s6, s6, s1
	v_add_u32_e32 v0, s6, v0
	s_add_i32 s11, s11, -1
	s_add_i32 s4, s4, -16
	v_add_u32_e32 v3, 0xfffff900, v0
	s_waitcnt lgkmcnt(0)
	v_mov_b32_e32 v7, s5
	v_mov_b32_e32 v6, s0
	;; [unrolled: 1-line block ×3, first 2 shown]
	s_mov_b32 s6, 0x3fb8aa3b
	s_mov_b32 s7, 0xc2ce8ed0
	;; [unrolled: 1-line block ×3, first 2 shown]
	v_mov_b32_e32 v5, 0x7f800000
	s_mov_b32 s12, 0xc1a00000
.LBB44_3:                               ; =>This Inner Loop Header: Depth=1
	v_ashrrev_i32_e32 v4, 31, v3
	v_lshlrev_b64 v[9:10], 2, v[3:4]
	s_ashr_i32 s5, s4, 31
	v_add_co_u32_e32 v9, vcc, s10, v9
	v_addc_co_u32_e32 v10, vcc, v0, v10, vcc
	global_load_dword v4, v[9:10], off
	s_lshl_b64 s[0:1], s[4:5], 3
	s_add_u32 s0, s2, s0
	s_addc_u32 s1, s3, s1
	s_load_dwordx2 s[14:15], s[0:1], 0x0
	s_waitcnt vmcnt(1)
	v_mov_b32_e32 v9, v8
	v_max_f32_e32 v8, v6, v6
	v_mov_b32_e32 v10, v7
	s_add_i32 s11, s11, -1
	s_waitcnt lgkmcnt(0)
	v_max_f32_e64 v7, s14, s14
	v_max_f32_e32 v7, v8, v7
	v_sub_f32_e32 v11, s14, v7
	v_sub_f32_e32 v8, v6, v7
	v_mul_f32_e32 v12, 0x3fb8aa3b, v11
	v_mov_b32_e32 v6, v7
	v_mul_f32_e32 v7, 0x3fb8aa3b, v8
	v_fma_f32 v15, v11, s6, -v12
	v_rndne_f32_e32 v16, v12
	v_fma_f32 v13, v8, s6, -v7
	v_rndne_f32_e32 v14, v7
	v_fmac_f32_e32 v15, 0x32a5705f, v11
	v_sub_f32_e32 v12, v12, v16
	v_fmac_f32_e32 v13, 0x32a5705f, v8
	v_sub_f32_e32 v7, v7, v14
	v_add_f32_e32 v12, v12, v15
	v_cvt_i32_f32_e32 v16, v16
	v_add_f32_e32 v7, v7, v13
	v_exp_f32_e32 v12, v12
	v_cvt_i32_f32_e32 v14, v14
	v_exp_f32_e32 v7, v7
	v_cmp_ngt_f32_e32 vcc, s7, v11
	v_ldexp_f32 v12, v12, v16
	v_cmp_ngt_f32_e64 s[0:1], s7, v8
	v_ldexp_f32 v7, v7, v14
	v_cndmask_b32_e32 v12, 0, v12, vcc
	v_cmp_nlt_f32_e32 vcc, s8, v11
	v_cndmask_b32_e64 v7, 0, v7, s[0:1]
	v_cmp_nlt_f32_e64 s[0:1], s8, v8
	v_cndmask_b32_e32 v12, v5, v12, vcc
	v_cmp_le_f32_e32 vcc, s12, v11
	v_cndmask_b32_e64 v7, v5, v7, s[0:1]
	v_cmp_le_f32_e64 s[0:1], s12, v8
	v_cndmask_b32_e32 v8, 0, v12, vcc
	s_add_i32 s4, s4, -8
	v_cndmask_b32_e64 v11, 0, v7, s[0:1]
	v_mul_f32_e32 v7, s15, v8
	v_add_u32_e32 v3, 0xfffffc80, v3
	s_cmp_le_i32 s11, s9
	v_fmac_f32_e32 v7, v10, v11
	s_waitcnt vmcnt(0)
	v_mul_f32_e32 v8, v4, v8
	v_fmac_f32_e32 v8, v9, v11
	s_cbranch_scc0 .LBB44_3
	s_branch .LBB44_5
.LBB44_4:
	s_waitcnt lgkmcnt(0)
	v_mov_b32_e32 v7, s5
.LBB44_5:
	s_waitcnt vmcnt(0)
	v_div_scale_f32 v0, s[0:1], v7, v7, v8
	v_div_scale_f32 v3, vcc, v8, v7, v8
	v_rcp_f32_e32 v4, v0
	v_fma_f32 v5, -v0, v4, 1.0
	v_fmac_f32_e32 v4, v5, v4
	v_mul_f32_e32 v5, v3, v4
	v_fma_f32 v6, -v0, v5, v3
	v_fmac_f32_e32 v5, v6, v4
	v_fma_f32 v0, -v0, v5, v3
	v_div_fmas_f32 v0, v0, v4, v5
	v_div_fixup_f32 v0, v0, v7, v8
	global_store_dword v[1:2], v0, off
.LBB44_6:
	s_endpgm
	.section	.rodata,"a",@progbits
	.p2align	6, 0x0
	.amdhsa_kernel _ZL33flash_attn_stream_k_fixup_uniformILi112ELi4ELi2EEvPfPK15HIP_vector_typeIfLj2EEiiiiiiS1_IjLj3EES5_S5_
		.amdhsa_group_segment_fixed_size 0
		.amdhsa_private_segment_fixed_size 0
		.amdhsa_kernarg_size 76
		.amdhsa_user_sgpr_count 6
		.amdhsa_user_sgpr_private_segment_buffer 1
		.amdhsa_user_sgpr_dispatch_ptr 0
		.amdhsa_user_sgpr_queue_ptr 0
		.amdhsa_user_sgpr_kernarg_segment_ptr 1
		.amdhsa_user_sgpr_dispatch_id 0
		.amdhsa_user_sgpr_flat_scratch_init 0
		.amdhsa_user_sgpr_private_segment_size 0
		.amdhsa_uses_dynamic_stack 0
		.amdhsa_system_sgpr_private_segment_wavefront_offset 0
		.amdhsa_system_sgpr_workgroup_id_x 1
		.amdhsa_system_sgpr_workgroup_id_y 1
		.amdhsa_system_sgpr_workgroup_id_z 1
		.amdhsa_system_sgpr_workgroup_info 0
		.amdhsa_system_vgpr_workitem_id 0
		.amdhsa_next_free_vgpr 17
		.amdhsa_next_free_sgpr 20
		.amdhsa_reserve_vcc 1
		.amdhsa_reserve_flat_scratch 0
		.amdhsa_float_round_mode_32 0
		.amdhsa_float_round_mode_16_64 0
		.amdhsa_float_denorm_mode_32 3
		.amdhsa_float_denorm_mode_16_64 3
		.amdhsa_dx10_clamp 1
		.amdhsa_ieee_mode 1
		.amdhsa_fp16_overflow 0
		.amdhsa_exception_fp_ieee_invalid_op 0
		.amdhsa_exception_fp_denorm_src 0
		.amdhsa_exception_fp_ieee_div_zero 0
		.amdhsa_exception_fp_ieee_overflow 0
		.amdhsa_exception_fp_ieee_underflow 0
		.amdhsa_exception_fp_ieee_inexact 0
		.amdhsa_exception_int_div_zero 0
	.end_amdhsa_kernel
	.section	.text._ZL33flash_attn_stream_k_fixup_uniformILi112ELi4ELi2EEvPfPK15HIP_vector_typeIfLj2EEiiiiiiS1_IjLj3EES5_S5_,"axG",@progbits,_ZL33flash_attn_stream_k_fixup_uniformILi112ELi4ELi2EEvPfPK15HIP_vector_typeIfLj2EEiiiiiiS1_IjLj3EES5_S5_,comdat
.Lfunc_end44:
	.size	_ZL33flash_attn_stream_k_fixup_uniformILi112ELi4ELi2EEvPfPK15HIP_vector_typeIfLj2EEiiiiiiS1_IjLj3EES5_S5_, .Lfunc_end44-_ZL33flash_attn_stream_k_fixup_uniformILi112ELi4ELi2EEvPfPK15HIP_vector_typeIfLj2EEiiiiiiS1_IjLj3EES5_S5_
                                        ; -- End function
	.set _ZL33flash_attn_stream_k_fixup_uniformILi112ELi4ELi2EEvPfPK15HIP_vector_typeIfLj2EEiiiiiiS1_IjLj3EES5_S5_.num_vgpr, 17
	.set _ZL33flash_attn_stream_k_fixup_uniformILi112ELi4ELi2EEvPfPK15HIP_vector_typeIfLj2EEiiiiiiS1_IjLj3EES5_S5_.num_agpr, 0
	.set _ZL33flash_attn_stream_k_fixup_uniformILi112ELi4ELi2EEvPfPK15HIP_vector_typeIfLj2EEiiiiiiS1_IjLj3EES5_S5_.numbered_sgpr, 20
	.set _ZL33flash_attn_stream_k_fixup_uniformILi112ELi4ELi2EEvPfPK15HIP_vector_typeIfLj2EEiiiiiiS1_IjLj3EES5_S5_.num_named_barrier, 0
	.set _ZL33flash_attn_stream_k_fixup_uniformILi112ELi4ELi2EEvPfPK15HIP_vector_typeIfLj2EEiiiiiiS1_IjLj3EES5_S5_.private_seg_size, 0
	.set _ZL33flash_attn_stream_k_fixup_uniformILi112ELi4ELi2EEvPfPK15HIP_vector_typeIfLj2EEiiiiiiS1_IjLj3EES5_S5_.uses_vcc, 1
	.set _ZL33flash_attn_stream_k_fixup_uniformILi112ELi4ELi2EEvPfPK15HIP_vector_typeIfLj2EEiiiiiiS1_IjLj3EES5_S5_.uses_flat_scratch, 0
	.set _ZL33flash_attn_stream_k_fixup_uniformILi112ELi4ELi2EEvPfPK15HIP_vector_typeIfLj2EEiiiiiiS1_IjLj3EES5_S5_.has_dyn_sized_stack, 0
	.set _ZL33flash_attn_stream_k_fixup_uniformILi112ELi4ELi2EEvPfPK15HIP_vector_typeIfLj2EEiiiiiiS1_IjLj3EES5_S5_.has_recursion, 0
	.set _ZL33flash_attn_stream_k_fixup_uniformILi112ELi4ELi2EEvPfPK15HIP_vector_typeIfLj2EEiiiiiiS1_IjLj3EES5_S5_.has_indirect_call, 0
	.section	.AMDGPU.csdata,"",@progbits
; Kernel info:
; codeLenInByte = 856
; TotalNumSgprs: 24
; NumVgprs: 17
; ScratchSize: 0
; MemoryBound: 0
; FloatMode: 240
; IeeeMode: 1
; LDSByteSize: 0 bytes/workgroup (compile time only)
; SGPRBlocks: 2
; VGPRBlocks: 4
; NumSGPRsForWavesPerEU: 24
; NumVGPRsForWavesPerEU: 17
; Occupancy: 10
; WaveLimiterHint : 0
; COMPUTE_PGM_RSRC2:SCRATCH_EN: 0
; COMPUTE_PGM_RSRC2:USER_SGPR: 6
; COMPUTE_PGM_RSRC2:TRAP_HANDLER: 0
; COMPUTE_PGM_RSRC2:TGID_X_EN: 1
; COMPUTE_PGM_RSRC2:TGID_Y_EN: 1
; COMPUTE_PGM_RSRC2:TGID_Z_EN: 1
; COMPUTE_PGM_RSRC2:TIDIG_COMP_CNT: 0
	.section	.text._ZL33flash_attn_stream_k_fixup_generalILi112ELi4ELi2EEvPfPK15HIP_vector_typeIfLj2EEiiiiS1_IjLj3EES5_S5_S5_,"axG",@progbits,_ZL33flash_attn_stream_k_fixup_generalILi112ELi4ELi2EEvPfPK15HIP_vector_typeIfLj2EEiiiiS1_IjLj3EES5_S5_S5_,comdat
	.globl	_ZL33flash_attn_stream_k_fixup_generalILi112ELi4ELi2EEvPfPK15HIP_vector_typeIfLj2EEiiiiS1_IjLj3EES5_S5_S5_ ; -- Begin function _ZL33flash_attn_stream_k_fixup_generalILi112ELi4ELi2EEvPfPK15HIP_vector_typeIfLj2EEiiiiS1_IjLj3EES5_S5_S5_
	.p2align	8
	.type	_ZL33flash_attn_stream_k_fixup_generalILi112ELi4ELi2EEvPfPK15HIP_vector_typeIfLj2EEiiiiS1_IjLj3EES5_S5_S5_,@function
_ZL33flash_attn_stream_k_fixup_generalILi112ELi4ELi2EEvPfPK15HIP_vector_typeIfLj2EEiiiiS1_IjLj3EES5_S5_S5_: ; @_ZL33flash_attn_stream_k_fixup_generalILi112ELi4ELi2EEvPfPK15HIP_vector_typeIfLj2EEiiiiS1_IjLj3EES5_S5_S5_
; %bb.0:
	s_load_dwordx4 s[0:3], s[4:5], 0x10
	s_load_dword s22, s[4:5], 0x50
	s_mov_b32 s12, 0
	s_waitcnt lgkmcnt(0)
	s_mul_hi_i32 s13, s3, s6
	s_cmp_lg_u64 s[12:13], 0
	s_mul_i32 s9, s3, s6
	s_cbranch_scc0 .LBB45_20
; %bb.1:
	s_add_u32 s10, s22, 0
	s_addc_u32 s11, 0, 0
	s_xor_b64 s[10:11], s[10:11], 0
	v_cvt_f32_u32_e32 v1, s10
	v_cvt_f32_u32_e32 v2, s11
	s_sub_u32 s12, 0, s10
	s_subb_u32 s18, 0, s11
	v_madmk_f32 v1, v2, 0x4f800000, v1
	v_rcp_f32_e32 v1, v1
	v_mul_f32_e32 v1, 0x5f7ffffc, v1
	v_mul_f32_e32 v2, 0x2f800000, v1
	v_trunc_f32_e32 v2, v2
	v_madmk_f32 v1, v2, 0xcf800000, v1
	v_cvt_u32_f32_e32 v2, v2
	v_cvt_u32_f32_e32 v1, v1
	v_readfirstlane_b32 s19, v2
	v_readfirstlane_b32 s14, v1
	s_mul_i32 s15, s12, s19
	s_mul_hi_u32 s21, s12, s14
	s_mul_i32 s20, s18, s14
	s_add_i32 s15, s21, s15
	s_add_i32 s15, s15, s20
	s_mul_i32 s23, s12, s14
	s_mul_i32 s21, s14, s15
	s_mul_hi_u32 s24, s14, s23
	s_mul_hi_u32 s20, s14, s15
	s_add_u32 s21, s24, s21
	s_addc_u32 s20, 0, s20
	s_mul_hi_u32 s25, s19, s23
	s_mul_i32 s23, s19, s23
	s_add_u32 s21, s21, s23
	s_mul_hi_u32 s24, s19, s15
	s_addc_u32 s20, s20, s25
	s_addc_u32 s21, s24, 0
	s_mul_i32 s15, s19, s15
	s_add_u32 s15, s20, s15
	s_addc_u32 s20, 0, s21
	s_add_u32 s21, s14, s15
	s_cselect_b64 s[14:15], -1, 0
	s_cmp_lg_u64 s[14:15], 0
	s_addc_u32 s19, s19, s20
	s_mul_i32 s14, s12, s19
	s_mul_hi_u32 s15, s12, s21
	s_add_i32 s14, s15, s14
	s_mul_i32 s18, s18, s21
	s_add_i32 s14, s14, s18
	s_mul_i32 s12, s12, s21
	s_mul_hi_u32 s18, s19, s12
	s_mul_i32 s20, s19, s12
	s_mul_i32 s24, s21, s14
	s_mul_hi_u32 s12, s21, s12
	s_mul_hi_u32 s23, s21, s14
	s_add_u32 s12, s12, s24
	s_addc_u32 s23, 0, s23
	s_add_u32 s12, s12, s20
	s_mul_hi_u32 s15, s19, s14
	s_addc_u32 s12, s23, s18
	s_addc_u32 s15, s15, 0
	s_mul_i32 s14, s19, s14
	s_add_u32 s12, s12, s14
	s_addc_u32 s18, 0, s15
	s_add_u32 s20, s21, s12
	s_cselect_b64 s[14:15], -1, 0
	s_cmp_lg_u64 s[14:15], 0
	s_addc_u32 s18, s19, s18
	s_ashr_i32 s14, s13, 31
	s_add_u32 s12, s9, s14
	s_mov_b32 s15, s14
	s_addc_u32 s13, s13, s14
	s_xor_b64 s[12:13], s[12:13], s[14:15]
	s_mul_i32 s21, s12, s18
	s_mul_hi_u32 s23, s12, s20
	s_mul_hi_u32 s19, s12, s18
	s_add_u32 s21, s23, s21
	s_addc_u32 s19, 0, s19
	s_mul_hi_u32 s24, s13, s20
	s_mul_i32 s20, s13, s20
	s_add_u32 s20, s21, s20
	s_mul_hi_u32 s23, s13, s18
	s_addc_u32 s19, s19, s24
	s_addc_u32 s20, s23, 0
	s_mul_i32 s18, s13, s18
	s_add_u32 s23, s19, s18
	s_addc_u32 s24, 0, s20
	s_mul_i32 s18, s10, s24
	s_mul_hi_u32 s19, s10, s23
	s_add_i32 s18, s19, s18
	s_mul_i32 s19, s11, s23
	s_add_i32 s25, s18, s19
	s_sub_i32 s20, s13, s25
	s_mul_i32 s18, s10, s23
	s_sub_u32 s12, s12, s18
	s_cselect_b64 s[18:19], -1, 0
	s_cmp_lg_u64 s[18:19], 0
	s_subb_u32 s26, s20, s11
	s_sub_u32 s27, s12, s10
	s_cselect_b64 s[20:21], -1, 0
	s_cmp_lg_u64 s[20:21], 0
	s_subb_u32 s20, s26, 0
	s_cmp_ge_u32 s20, s11
	s_cselect_b32 s21, -1, 0
	s_cmp_ge_u32 s27, s10
	s_cselect_b32 s26, -1, 0
	s_cmp_eq_u32 s20, s11
	s_cselect_b32 s20, s26, s21
	s_add_u32 s21, s23, 1
	s_addc_u32 s26, s24, 0
	s_add_u32 s27, s23, 2
	s_addc_u32 s28, s24, 0
	s_cmp_lg_u32 s20, 0
	s_cselect_b32 s20, s27, s21
	s_cselect_b32 s21, s28, s26
	s_cmp_lg_u64 s[18:19], 0
	s_subb_u32 s13, s13, s25
	s_cmp_ge_u32 s13, s11
	s_cselect_b32 s18, -1, 0
	s_cmp_ge_u32 s12, s10
	s_cselect_b32 s10, -1, 0
	s_cmp_eq_u32 s13, s11
	s_cselect_b32 s10, s10, s18
	s_cmp_lg_u32 s10, 0
	s_cselect_b32 s11, s21, s24
	s_cselect_b32 s10, s20, s23
	s_xor_b64 s[12:13], s[14:15], 0
	s_xor_b64 s[10:11], s[10:11], s[12:13]
	s_sub_u32 s10, s10, s12
	s_load_dwordx4 s[12:15], s[4:5], 0x44
	s_cbranch_execnz .LBB45_3
.LBB45_2:
	v_cvt_f32_u32_e32 v1, s22
	s_sub_i32 s10, 0, s22
	v_rcp_iflag_f32_e32 v1, v1
	v_mul_f32_e32 v1, 0x4f7ffffe, v1
	v_cvt_u32_f32_e32 v1, v1
	v_readfirstlane_b32 s11, v1
	s_mul_i32 s10, s10, s11
	s_mul_hi_u32 s10, s11, s10
	s_add_i32 s11, s11, s10
	s_mul_hi_u32 s10, s9, s11
	s_waitcnt lgkmcnt(0)
	s_mul_i32 s15, s10, s22
	s_sub_i32 s9, s9, s15
	s_add_i32 s11, s10, 1
	s_sub_i32 s15, s9, s22
	s_cmp_ge_u32 s9, s22
	s_cselect_b32 s10, s11, s10
	s_cselect_b32 s9, s15, s9
	s_add_i32 s11, s10, 1
	s_cmp_ge_u32 s9, s22
	s_cselect_b32 s10, s11, s10
.LBB45_3:
	s_add_i32 s9, s6, 1
	s_mul_hi_i32 s21, s3, s9
	s_mov_b32 s20, 0
	s_cmp_lg_u64 s[20:21], 0
	s_mul_i32 s9, s3, s9
	s_cbranch_scc0 .LBB45_21
; %bb.4:
	s_add_u32 s16, s22, 0
	s_addc_u32 s17, 0, 0
	s_xor_b64 s[18:19], s[16:17], 0
	v_cvt_f32_u32_e32 v1, s18
	v_cvt_f32_u32_e32 v2, s19
	s_sub_u32 s11, 0, s18
	s_waitcnt lgkmcnt(0)
	s_subb_u32 s15, 0, s19
	v_madmk_f32 v1, v2, 0x4f800000, v1
	v_rcp_f32_e32 v1, v1
	v_mul_f32_e32 v1, 0x5f7ffffc, v1
	v_mul_f32_e32 v2, 0x2f800000, v1
	v_trunc_f32_e32 v2, v2
	v_madmk_f32 v1, v2, 0xcf800000, v1
	v_cvt_u32_f32_e32 v2, v2
	v_cvt_u32_f32_e32 v1, v1
	v_readfirstlane_b32 s20, v2
	v_readfirstlane_b32 s23, v1
	s_mul_i32 s24, s11, s20
	s_mul_hi_u32 s26, s11, s23
	s_mul_i32 s25, s15, s23
	s_add_i32 s24, s26, s24
	s_add_i32 s24, s24, s25
	s_mul_i32 s27, s11, s23
	s_mul_i32 s26, s23, s24
	s_mul_hi_u32 s28, s23, s27
	s_mul_hi_u32 s25, s23, s24
	s_add_u32 s26, s28, s26
	s_addc_u32 s25, 0, s25
	s_mul_hi_u32 s29, s20, s27
	s_mul_i32 s27, s20, s27
	s_add_u32 s26, s26, s27
	s_mul_hi_u32 s28, s20, s24
	s_addc_u32 s25, s25, s29
	s_addc_u32 s26, s28, 0
	s_mul_i32 s24, s20, s24
	s_add_u32 s24, s25, s24
	s_addc_u32 s26, 0, s26
	s_add_u32 s23, s23, s24
	s_cselect_b64 s[24:25], -1, 0
	s_cmp_lg_u64 s[24:25], 0
	s_addc_u32 s20, s20, s26
	s_mul_i32 s24, s11, s20
	s_mul_hi_u32 s25, s11, s23
	s_add_i32 s24, s25, s24
	s_mul_i32 s15, s15, s23
	s_add_i32 s24, s24, s15
	s_mul_i32 s11, s11, s23
	s_mul_hi_u32 s25, s20, s11
	s_mul_i32 s26, s20, s11
	s_mul_i32 s28, s23, s24
	s_mul_hi_u32 s11, s23, s11
	s_mul_hi_u32 s27, s23, s24
	s_add_u32 s11, s11, s28
	s_addc_u32 s27, 0, s27
	s_add_u32 s11, s11, s26
	s_mul_hi_u32 s15, s20, s24
	s_addc_u32 s11, s27, s25
	s_addc_u32 s15, s15, 0
	s_mul_i32 s24, s20, s24
	s_add_u32 s11, s11, s24
	s_addc_u32 s15, 0, s15
	s_add_u32 s11, s23, s11
	s_cselect_b64 s[24:25], -1, 0
	s_cmp_lg_u64 s[24:25], 0
	s_addc_u32 s15, s20, s15
	s_ashr_i32 s24, s21, 31
	s_add_u32 s20, s9, s24
	s_mov_b32 s25, s24
	s_addc_u32 s21, s21, s24
	s_xor_b64 s[20:21], s[20:21], s[24:25]
	s_mul_i32 s26, s20, s15
	s_mul_hi_u32 s27, s20, s11
	s_mul_hi_u32 s23, s20, s15
	s_add_u32 s26, s27, s26
	s_addc_u32 s23, 0, s23
	s_mul_hi_u32 s28, s21, s11
	s_mul_i32 s11, s21, s11
	s_add_u32 s11, s26, s11
	s_mul_hi_u32 s27, s21, s15
	s_addc_u32 s11, s23, s28
	s_addc_u32 s23, s27, 0
	s_mul_i32 s15, s21, s15
	s_add_u32 s11, s11, s15
	s_addc_u32 s15, 0, s23
	s_mul_i32 s23, s18, s15
	s_mul_hi_u32 s26, s18, s11
	s_add_i32 s23, s26, s23
	s_mul_i32 s26, s19, s11
	s_add_i32 s23, s23, s26
	s_sub_i32 s28, s21, s23
	s_mul_i32 s26, s18, s11
	s_sub_u32 s20, s20, s26
	s_cselect_b64 s[26:27], -1, 0
	s_cmp_lg_u64 s[26:27], 0
	s_subb_u32 s30, s28, s19
	s_sub_u32 s31, s20, s18
	s_cselect_b64 s[28:29], -1, 0
	s_cmp_lg_u64 s[28:29], 0
	s_subb_u32 s28, s30, 0
	s_cmp_ge_u32 s28, s19
	s_cselect_b32 s29, -1, 0
	s_cmp_ge_u32 s31, s18
	s_cselect_b32 s30, -1, 0
	s_cmp_eq_u32 s28, s19
	s_cselect_b32 s28, s30, s29
	s_add_u32 s29, s11, 1
	s_addc_u32 s30, s15, 0
	s_add_u32 s31, s11, 2
	s_addc_u32 s33, s15, 0
	s_cmp_lg_u32 s28, 0
	s_cselect_b32 s28, s31, s29
	s_cselect_b32 s29, s33, s30
	s_cmp_lg_u64 s[26:27], 0
	s_subb_u32 s21, s21, s23
	s_cmp_ge_u32 s21, s19
	s_cselect_b32 s23, -1, 0
	s_cmp_ge_u32 s20, s18
	s_cselect_b32 s18, -1, 0
	s_cmp_eq_u32 s21, s19
	s_cselect_b32 s18, s18, s23
	s_cmp_lg_u32 s18, 0
	s_cselect_b32 s19, s29, s15
	s_cselect_b32 s18, s28, s11
	s_xor_b64 s[20:21], s[24:25], 0
	s_xor_b64 s[18:19], s[18:19], s[20:21]
	s_sub_u32 s18, s18, s20
	s_cbranch_execnz .LBB45_6
.LBB45_5:
	v_cvt_f32_u32_e32 v1, s22
	s_sub_i32 s11, 0, s22
	v_rcp_iflag_f32_e32 v1, v1
	v_mul_f32_e32 v1, 0x4f7ffffe, v1
	v_cvt_u32_f32_e32 v1, v1
	s_waitcnt lgkmcnt(0)
	v_readfirstlane_b32 s15, v1
	s_mul_i32 s11, s11, s15
	s_mul_hi_u32 s11, s15, s11
	s_add_i32 s15, s15, s11
	s_mul_hi_u32 s11, s9, s15
	s_mul_i32 s16, s11, s22
	s_sub_i32 s9, s9, s16
	s_add_i32 s15, s11, 1
	s_sub_i32 s16, s9, s22
	s_cmp_ge_u32 s9, s22
	s_cselect_b32 s11, s15, s11
	s_cselect_b32 s9, s16, s9
	s_add_i32 s15, s11, 1
	s_cmp_ge_u32 s9, s22
	s_cselect_b32 s18, s15, s11
.LBB45_6:
	s_cmp_eq_u32 s10, s18
	s_waitcnt lgkmcnt(0)
	s_mul_hi_u32 s9, s10, s12
	s_cselect_b64 s[16:17], -1, 0
	s_add_i32 s9, s9, s10
	s_lshr_b32 s11, s9, s13
	s_mul_i32 s9, s11, s14
	s_cmp_eq_u32 s9, s10
	s_mul_hi_u32 s9, s18, s12
	s_cselect_b64 s[20:21], -1, 0
	s_add_i32 s9, s9, s18
	s_lshr_b32 s9, s9, s13
	s_cmp_eq_u32 s11, s9
	s_mul_i32 s9, s9, s14
	s_cselect_b64 s[24:25], -1, 0
	s_cmp_lg_u32 s9, s18
	s_cselect_b64 s[18:19], -1, 0
	s_and_b64 s[18:19], s[24:25], s[18:19]
	s_or_b64 s[16:17], s[16:17], s[20:21]
	s_or_b64 s[16:17], s[16:17], s[18:19]
	s_and_b64 vcc, exec, s[16:17]
	s_cbranch_vccnz .LBB45_23
; %bb.7:
	s_load_dwordx8 s[24:31], s[4:5], 0x20
	s_load_dword s15, s[4:5], 0x40
	s_waitcnt lgkmcnt(0)
	s_mul_hi_u32 s9, s10, s24
	s_add_i32 s9, s9, s10
	s_lshr_b32 s9, s9, s25
	s_mul_i32 s16, s9, s26
	s_sub_i32 s16, s10, s16
	s_mul_hi_u32 s17, s16, s27
	s_add_i32 s17, s16, s17
	s_lshr_b32 s23, s17, s28
	s_mul_i32 s17, s23, s29
	s_sub_i32 s16, s16, s17
	;; [unrolled: 5-line block ×3, first 2 shown]
	s_mul_hi_u32 s16, s15, s12
	s_add_i32 s15, s15, s16
	s_lshr_b32 s24, s15, s13
	s_lshl_b32 s15, s24, 2
	s_lshl_b32 s25, s17, 1
	s_add_i32 s15, s15, s7
	s_cmp_lt_i32 s15, s0
	s_cselect_b64 s[16:17], -1, 0
	s_add_i32 s25, s25, s8
	s_cmp_lt_i32 s25, s2
	s_cselect_b64 s[18:19], -1, 0
	s_and_b64 s[16:17], s[16:17], s[18:19]
	s_andn2_b64 vcc, exec, s[16:17]
	s_cbranch_vccnz .LBB45_23
; %bb.8:
	s_load_dwordx4 s[16:19], s[4:5], 0x0
	s_mov_b32 s4, 0
	s_lshl_b32 s15, s7, 1
	s_lshl_b32 s20, s22, 5
	s_mov_b32 s21, s4
	s_add_i32 s15, s15, s8
	s_lshl_b64 s[20:21], s[20:21], 2
	s_waitcnt lgkmcnt(0)
	s_add_u32 s20, s18, s20
	s_mul_i32 s0, s9, s0
	s_addc_u32 s21, s19, s21
	s_mul_i32 s23, s23, s2
	s_add_i32 s0, s0, s7
	s_mul_i32 s2, s1, s24
	s_mul_i32 s0, s0, s1
	s_add_i32 s1, s25, s23
	s_add_i32 s0, s1, s0
	s_mulk_i32 s2, 0x1c0
	s_mulk_i32 s0, 0x70
	s_add_i32 s2, s2, s0
	v_add_u32_e32 v1, s2, v0
	v_ashrrev_i32_e32 v2, 31, v1
	v_lshlrev_b64 v[1:2], 2, v[1:2]
	v_mov_b32_e32 v3, s17
	v_add_co_u32_e32 v1, vcc, s16, v1
	v_addc_co_u32_e32 v2, vcc, v3, v2, vcc
	global_load_dword v3, v[1:2], off
	v_cvt_f32_u32_e32 v4, s22
	s_lshl_b32 s0, s6, 3
	s_add_i32 s0, s15, s0
	s_ashr_i32 s1, s0, 31
	s_lshl_b64 s[0:1], s[0:1], 3
	v_rcp_iflag_f32_e32 v4, v4
	s_add_u32 s0, s18, s0
	s_addc_u32 s1, s19, s1
	s_load_dwordx2 s[0:1], s[0:1], 0x0
	v_mul_f32_e32 v4, 0x4f7ffffe, v4
	v_cvt_u32_f32_e32 v4, v4
	s_mul_i32 s2, s15, 0x70
	s_add_i32 s24, s6, -1
	v_add_u32_e32 v0, s2, v0
	s_waitcnt lgkmcnt(0)
	v_mov_b32_e32 v6, s1
	v_mov_b32_e32 v7, s0
	s_mov_b32 s2, 0x3fb8aa3b
	s_mov_b32 s16, 0xc2ce8ed0
	;; [unrolled: 1-line block ×4, first 2 shown]
	v_mov_b32_e32 v5, 0x7f800000
	s_mul_hi_i32 s5, s24, s3
	s_cmp_lg_u64 s[4:5], 0
	s_mul_i32 s8, s24, s3
	s_cbranch_scc0 .LBB45_19
.LBB45_9:
	s_add_u32 s0, s22, 0
	s_addc_u32 s1, 0, 0
	s_xor_b64 s[0:1], s[0:1], 0
	v_cvt_f32_u32_e32 v8, s0
	v_cvt_f32_u32_e32 v9, s1
	s_sub_u32 s9, 0, s0
	s_subb_u32 s25, 0, s1
	v_mac_f32_e32 v8, 0x4f800000, v9
	v_rcp_f32_e32 v8, v8
	v_mul_f32_e32 v8, 0x5f7ffffc, v8
	v_mul_f32_e32 v9, 0x2f800000, v8
	v_trunc_f32_e32 v9, v9
	v_mac_f32_e32 v8, 0xcf800000, v9
	v_cvt_u32_f32_e32 v9, v9
	v_cvt_u32_f32_e32 v8, v8
	v_readfirstlane_b32 s26, v9
	v_readfirstlane_b32 s6, v8
	s_mul_i32 s7, s9, s26
	s_mul_hi_u32 s28, s9, s6
	s_mul_i32 s27, s25, s6
	s_add_i32 s7, s28, s7
	s_mul_i32 s29, s9, s6
	s_add_i32 s7, s7, s27
	s_mul_i32 s28, s6, s7
	s_mul_hi_u32 s30, s6, s29
	s_mul_hi_u32 s27, s6, s7
	s_add_u32 s28, s30, s28
	s_addc_u32 s27, 0, s27
	s_mul_hi_u32 s31, s26, s29
	s_mul_i32 s29, s26, s29
	s_add_u32 s28, s28, s29
	s_mul_hi_u32 s30, s26, s7
	s_addc_u32 s27, s27, s31
	s_addc_u32 s28, s30, 0
	s_mul_i32 s7, s26, s7
	s_add_u32 s7, s27, s7
	s_addc_u32 s27, 0, s28
	s_add_u32 s28, s6, s7
	s_cselect_b64 s[6:7], -1, 0
	s_cmp_lg_u64 s[6:7], 0
	s_addc_u32 s26, s26, s27
	s_mul_i32 s6, s9, s26
	s_mul_hi_u32 s7, s9, s28
	s_add_i32 s6, s7, s6
	s_mul_i32 s25, s25, s28
	s_add_i32 s6, s6, s25
	s_mul_i32 s9, s9, s28
	s_mul_hi_u32 s25, s26, s9
	s_mul_i32 s27, s26, s9
	s_mul_i32 s30, s28, s6
	s_mul_hi_u32 s9, s28, s9
	s_mul_hi_u32 s29, s28, s6
	s_add_u32 s9, s9, s30
	s_addc_u32 s29, 0, s29
	s_add_u32 s9, s9, s27
	s_mul_hi_u32 s7, s26, s6
	s_addc_u32 s9, s29, s25
	s_addc_u32 s7, s7, 0
	s_mul_i32 s6, s26, s6
	s_add_u32 s6, s9, s6
	s_addc_u32 s9, 0, s7
	s_add_u32 s25, s28, s6
	s_cselect_b64 s[6:7], -1, 0
	s_cmp_lg_u64 s[6:7], 0
	s_addc_u32 s9, s26, s9
	s_ashr_i32 s6, s5, 31
	s_add_u32 s26, s8, s6
	s_mov_b32 s7, s6
	s_addc_u32 s27, s5, s6
	s_xor_b64 s[26:27], s[26:27], s[6:7]
	s_mul_i32 s28, s26, s9
	s_mul_hi_u32 s29, s26, s25
	s_mul_hi_u32 s5, s26, s9
	s_add_u32 s28, s29, s28
	s_addc_u32 s5, 0, s5
	s_mul_hi_u32 s30, s27, s25
	s_mul_i32 s25, s27, s25
	s_add_u32 s25, s28, s25
	s_mul_hi_u32 s29, s27, s9
	s_addc_u32 s5, s5, s30
	s_addc_u32 s25, s29, 0
	s_mul_i32 s9, s27, s9
	s_add_u32 s5, s5, s9
	s_addc_u32 s9, 0, s25
	s_mul_i32 s25, s0, s9
	s_mul_hi_u32 s28, s0, s5
	s_add_i32 s25, s28, s25
	s_mul_i32 s28, s1, s5
	s_add_i32 s25, s25, s28
	s_sub_i32 s30, s27, s25
	s_mul_i32 s28, s0, s5
	s_sub_u32 s26, s26, s28
	s_cselect_b64 s[28:29], -1, 0
	s_cmp_lg_u64 s[28:29], 0
	s_subb_u32 s33, s30, s1
	s_sub_u32 s34, s26, s0
	s_cselect_b64 s[30:31], -1, 0
	s_cmp_lg_u64 s[30:31], 0
	s_subb_u32 s30, s33, 0
	s_cmp_ge_u32 s30, s1
	s_cselect_b32 s31, -1, 0
	s_cmp_ge_u32 s34, s0
	s_cselect_b32 s33, -1, 0
	s_cmp_eq_u32 s30, s1
	s_cselect_b32 s30, s33, s31
	s_add_u32 s31, s5, 1
	s_addc_u32 s33, s9, 0
	s_add_u32 s34, s5, 2
	s_addc_u32 s35, s9, 0
	s_cmp_lg_u32 s30, 0
	s_cselect_b32 s30, s34, s31
	s_cselect_b32 s31, s35, s33
	s_cmp_lg_u64 s[28:29], 0
	s_subb_u32 s25, s27, s25
	s_cmp_ge_u32 s25, s1
	s_cselect_b32 s27, -1, 0
	s_cmp_ge_u32 s26, s0
	s_cselect_b32 s0, -1, 0
	s_cmp_eq_u32 s25, s1
	s_cselect_b32 s0, s0, s27
	s_cmp_lg_u32 s0, 0
	s_cselect_b32 s1, s31, s9
	s_cselect_b32 s0, s30, s5
	s_xor_b64 s[6:7], s[6:7], 0
	s_xor_b64 s[0:1], s[0:1], s[6:7]
	s_sub_u32 s6, s0, s6
	s_cbranch_execnz .LBB45_11
.LBB45_10:
	s_sub_i32 s0, 0, s22
	v_readfirstlane_b32 s1, v4
	s_mul_i32 s0, s0, s1
	s_mul_hi_u32 s0, s1, s0
	s_add_i32 s1, s1, s0
	s_mul_hi_u32 s0, s8, s1
	s_mul_i32 s5, s0, s22
	s_sub_i32 s5, s8, s5
	s_add_i32 s1, s0, 1
	s_sub_i32 s6, s5, s22
	s_cmp_ge_u32 s5, s22
	s_cselect_b32 s0, s1, s0
	s_cselect_b32 s5, s6, s5
	s_add_i32 s1, s0, 1
	s_cmp_ge_u32 s5, s22
	s_cselect_b32 s6, s1, s0
.LBB45_11:
	s_cmp_lg_u32 s10, s6
	s_mov_b64 s[8:9], -1
                                        ; implicit-def: $sgpr0_sgpr1
                                        ; implicit-def: $vgpr10
                                        ; implicit-def: $vgpr8
                                        ; implicit-def: $vgpr9
                                        ; implicit-def: $sgpr5
                                        ; implicit-def: $sgpr7
	s_cbranch_scc1 .LBB45_14
; %bb.12:
	s_andn2_b64 vcc, exec, s[8:9]
	s_cbranch_vccz .LBB45_17
.LBB45_13:
	s_andn2_b64 vcc, exec, s[0:1]
	s_cbranch_vccnz .LBB45_18
	s_branch .LBB45_22
.LBB45_14:
	s_add_i32 s0, s24, s22
	s_lshl_b32 s0, s0, 3
	s_add_i32 s0, s0, s15
	s_mov_b32 s1, s4
	s_lshl_b64 s[0:1], s[0:1], 3
	s_add_u32 s8, s18, s0
	s_mul_hi_u32 s0, s6, s12
	s_addc_u32 s9, s19, s1
	s_add_i32 s0, s0, s6
	s_lshr_b32 s5, s0, s13
	s_mul_i32 s0, s5, s14
	s_cmp_eq_u32 s0, s6
	s_cselect_b64 s[0:1], -1, 0
	s_cmp_lt_u32 s5, s11
	s_cselect_b64 s[26:27], -1, 0
	s_or_b64 s[26:27], s[26:27], s[0:1]
	s_mov_b64 s[0:1], -1
	s_and_b64 vcc, exec, s[26:27]
	s_mov_b32 s5, s24
	s_mov_b32 s7, s10
	s_cbranch_vccnz .LBB45_16
; %bb.15:
	s_add_i32 s5, s24, -1
	s_mov_b64 s[0:1], 0
	s_mov_b32 s7, s6
.LBB45_16:
	s_mul_i32 s6, s24, 0x380
	v_add_u32_e32 v8, s6, v0
	v_ashrrev_i32_e32 v9, 31, v8
	v_lshlrev_b64 v[8:9], 2, v[8:9]
	v_mov_b32_e32 v10, s21
	v_add_co_u32_e32 v8, vcc, s20, v8
	v_addc_co_u32_e32 v9, vcc, v10, v9, vcc
	global_load_dword v10, v[8:9], off
	s_load_dwordx2 s[8:9], s[8:9], 0x0
	v_max_f32_e32 v8, v7, v7
	s_waitcnt lgkmcnt(0)
	v_max_f32_e64 v9, s8, s8
	v_max_f32_e32 v8, v8, v9
	v_sub_f32_e32 v9, v7, v8
	v_sub_f32_e32 v11, s8, v8
	v_mul_f32_e32 v12, 0x3fb8aa3b, v9
	v_mul_f32_e32 v13, 0x3fb8aa3b, v11
	v_fma_f32 v14, v9, s2, -v12
	v_rndne_f32_e32 v15, v12
	v_fma_f32 v16, v11, s2, -v13
	v_rndne_f32_e32 v17, v13
	v_fmac_f32_e32 v14, 0x32a5705f, v9
	v_sub_f32_e32 v12, v12, v15
	v_fmac_f32_e32 v16, 0x32a5705f, v11
	v_sub_f32_e32 v13, v13, v17
	v_add_f32_e32 v12, v12, v14
	v_cvt_i32_f32_e32 v15, v15
	v_add_f32_e32 v13, v13, v16
	v_exp_f32_e32 v12, v12
	v_cvt_i32_f32_e32 v17, v17
	v_exp_f32_e32 v13, v13
	v_cmp_ngt_f32_e32 vcc, s16, v9
	v_ldexp_f32 v12, v12, v15
	v_cndmask_b32_e32 v12, 0, v12, vcc
	v_ldexp_f32 v13, v13, v17
	v_cmp_ngt_f32_e32 vcc, s16, v11
	v_cndmask_b32_e32 v13, 0, v13, vcc
	v_cmp_nlt_f32_e32 vcc, s17, v9
	v_cndmask_b32_e32 v12, v5, v12, vcc
	v_cmp_nlt_f32_e32 vcc, s17, v11
	v_cndmask_b32_e32 v13, v5, v13, vcc
	v_cmp_le_f32_e32 vcc, s23, v9
	v_cndmask_b32_e32 v12, 0, v12, vcc
	v_cmp_le_f32_e32 vcc, s23, v11
	v_cndmask_b32_e32 v11, 0, v13, vcc
	v_mul_f32_e32 v9, s9, v11
	v_fmac_f32_e32 v9, v6, v12
	s_waitcnt vmcnt(0)
	v_mul_f32_e32 v10, v10, v11
	v_fmac_f32_e32 v10, v3, v12
	s_cbranch_execnz .LBB45_13
.LBB45_17:
	s_add_i32 s5, s24, -1
	s_mov_b32 s7, s10
	v_mov_b32_e32 v9, v6
	v_mov_b32_e32 v8, v7
	s_waitcnt vmcnt(0)
	v_mov_b32_e32 v10, v3
	s_cbranch_execz .LBB45_22
.LBB45_18:
	s_mov_b32 s10, s7
	s_mov_b32 s24, s5
	v_mov_b32_e32 v6, v9
	v_mov_b32_e32 v7, v8
	s_waitcnt vmcnt(0)
	v_mov_b32_e32 v3, v10
	s_mul_hi_i32 s5, s24, s3
	s_cmp_lg_u64 s[4:5], 0
	s_mul_i32 s8, s24, s3
	s_cbranch_scc1 .LBB45_9
.LBB45_19:
                                        ; implicit-def: $sgpr6_sgpr7
	s_branch .LBB45_10
.LBB45_20:
                                        ; implicit-def: $sgpr10_sgpr11
	s_load_dwordx4 s[12:15], s[4:5], 0x44
	s_branch .LBB45_2
.LBB45_21:
                                        ; implicit-def: $sgpr18_sgpr19
	s_branch .LBB45_5
.LBB45_22:
	v_div_scale_f32 v0, s[0:1], v9, v9, v10
	s_waitcnt vmcnt(0)
	v_div_scale_f32 v3, vcc, v10, v9, v10
	v_rcp_f32_e32 v4, v0
	v_fma_f32 v5, -v0, v4, 1.0
	v_fmac_f32_e32 v4, v5, v4
	v_mul_f32_e32 v5, v3, v4
	v_fma_f32 v6, -v0, v5, v3
	v_fmac_f32_e32 v5, v6, v4
	v_fma_f32 v0, -v0, v5, v3
	v_div_fmas_f32 v0, v0, v4, v5
	v_div_fixup_f32 v0, v0, v9, v10
	global_store_dword v[1:2], v0, off
.LBB45_23:
	s_endpgm
	.section	.rodata,"a",@progbits
	.p2align	6, 0x0
	.amdhsa_kernel _ZL33flash_attn_stream_k_fixup_generalILi112ELi4ELi2EEvPfPK15HIP_vector_typeIfLj2EEiiiiS1_IjLj3EES5_S5_S5_
		.amdhsa_group_segment_fixed_size 0
		.amdhsa_private_segment_fixed_size 0
		.amdhsa_kernarg_size 336
		.amdhsa_user_sgpr_count 6
		.amdhsa_user_sgpr_private_segment_buffer 1
		.amdhsa_user_sgpr_dispatch_ptr 0
		.amdhsa_user_sgpr_queue_ptr 0
		.amdhsa_user_sgpr_kernarg_segment_ptr 1
		.amdhsa_user_sgpr_dispatch_id 0
		.amdhsa_user_sgpr_flat_scratch_init 0
		.amdhsa_user_sgpr_private_segment_size 0
		.amdhsa_uses_dynamic_stack 0
		.amdhsa_system_sgpr_private_segment_wavefront_offset 0
		.amdhsa_system_sgpr_workgroup_id_x 1
		.amdhsa_system_sgpr_workgroup_id_y 1
		.amdhsa_system_sgpr_workgroup_id_z 1
		.amdhsa_system_sgpr_workgroup_info 0
		.amdhsa_system_vgpr_workitem_id 0
		.amdhsa_next_free_vgpr 18
		.amdhsa_next_free_sgpr 36
		.amdhsa_reserve_vcc 1
		.amdhsa_reserve_flat_scratch 0
		.amdhsa_float_round_mode_32 0
		.amdhsa_float_round_mode_16_64 0
		.amdhsa_float_denorm_mode_32 3
		.amdhsa_float_denorm_mode_16_64 3
		.amdhsa_dx10_clamp 1
		.amdhsa_ieee_mode 1
		.amdhsa_fp16_overflow 0
		.amdhsa_exception_fp_ieee_invalid_op 0
		.amdhsa_exception_fp_denorm_src 0
		.amdhsa_exception_fp_ieee_div_zero 0
		.amdhsa_exception_fp_ieee_overflow 0
		.amdhsa_exception_fp_ieee_underflow 0
		.amdhsa_exception_fp_ieee_inexact 0
		.amdhsa_exception_int_div_zero 0
	.end_amdhsa_kernel
	.section	.text._ZL33flash_attn_stream_k_fixup_generalILi112ELi4ELi2EEvPfPK15HIP_vector_typeIfLj2EEiiiiS1_IjLj3EES5_S5_S5_,"axG",@progbits,_ZL33flash_attn_stream_k_fixup_generalILi112ELi4ELi2EEvPfPK15HIP_vector_typeIfLj2EEiiiiS1_IjLj3EES5_S5_S5_,comdat
.Lfunc_end45:
	.size	_ZL33flash_attn_stream_k_fixup_generalILi112ELi4ELi2EEvPfPK15HIP_vector_typeIfLj2EEiiiiS1_IjLj3EES5_S5_S5_, .Lfunc_end45-_ZL33flash_attn_stream_k_fixup_generalILi112ELi4ELi2EEvPfPK15HIP_vector_typeIfLj2EEiiiiS1_IjLj3EES5_S5_S5_
                                        ; -- End function
	.set _ZL33flash_attn_stream_k_fixup_generalILi112ELi4ELi2EEvPfPK15HIP_vector_typeIfLj2EEiiiiS1_IjLj3EES5_S5_S5_.num_vgpr, 18
	.set _ZL33flash_attn_stream_k_fixup_generalILi112ELi4ELi2EEvPfPK15HIP_vector_typeIfLj2EEiiiiS1_IjLj3EES5_S5_S5_.num_agpr, 0
	.set _ZL33flash_attn_stream_k_fixup_generalILi112ELi4ELi2EEvPfPK15HIP_vector_typeIfLj2EEiiiiS1_IjLj3EES5_S5_S5_.numbered_sgpr, 36
	.set _ZL33flash_attn_stream_k_fixup_generalILi112ELi4ELi2EEvPfPK15HIP_vector_typeIfLj2EEiiiiS1_IjLj3EES5_S5_S5_.num_named_barrier, 0
	.set _ZL33flash_attn_stream_k_fixup_generalILi112ELi4ELi2EEvPfPK15HIP_vector_typeIfLj2EEiiiiS1_IjLj3EES5_S5_S5_.private_seg_size, 0
	.set _ZL33flash_attn_stream_k_fixup_generalILi112ELi4ELi2EEvPfPK15HIP_vector_typeIfLj2EEiiiiS1_IjLj3EES5_S5_S5_.uses_vcc, 1
	.set _ZL33flash_attn_stream_k_fixup_generalILi112ELi4ELi2EEvPfPK15HIP_vector_typeIfLj2EEiiiiS1_IjLj3EES5_S5_S5_.uses_flat_scratch, 0
	.set _ZL33flash_attn_stream_k_fixup_generalILi112ELi4ELi2EEvPfPK15HIP_vector_typeIfLj2EEiiiiS1_IjLj3EES5_S5_S5_.has_dyn_sized_stack, 0
	.set _ZL33flash_attn_stream_k_fixup_generalILi112ELi4ELi2EEvPfPK15HIP_vector_typeIfLj2EEiiiiS1_IjLj3EES5_S5_S5_.has_recursion, 0
	.set _ZL33flash_attn_stream_k_fixup_generalILi112ELi4ELi2EEvPfPK15HIP_vector_typeIfLj2EEiiiiS1_IjLj3EES5_S5_S5_.has_indirect_call, 0
	.section	.AMDGPU.csdata,"",@progbits
; Kernel info:
; codeLenInByte = 2944
; TotalNumSgprs: 40
; NumVgprs: 18
; ScratchSize: 0
; MemoryBound: 0
; FloatMode: 240
; IeeeMode: 1
; LDSByteSize: 0 bytes/workgroup (compile time only)
; SGPRBlocks: 4
; VGPRBlocks: 4
; NumSGPRsForWavesPerEU: 40
; NumVGPRsForWavesPerEU: 18
; Occupancy: 10
; WaveLimiterHint : 0
; COMPUTE_PGM_RSRC2:SCRATCH_EN: 0
; COMPUTE_PGM_RSRC2:USER_SGPR: 6
; COMPUTE_PGM_RSRC2:TRAP_HANDLER: 0
; COMPUTE_PGM_RSRC2:TGID_X_EN: 1
; COMPUTE_PGM_RSRC2:TGID_Y_EN: 1
; COMPUTE_PGM_RSRC2:TGID_Z_EN: 1
; COMPUTE_PGM_RSRC2:TIDIG_COMP_CNT: 0
	.section	.text._ZL15flash_attn_tileILi112ELi112ELi2ELi2ELb0EEvPKcS1_S1_S1_S1_PKiPfP15HIP_vector_typeIfLj2EEffffjfiS5_IjLj3EEiiiiiiiiiiiliiliiiiil,"axG",@progbits,_ZL15flash_attn_tileILi112ELi112ELi2ELi2ELb0EEvPKcS1_S1_S1_S1_PKiPfP15HIP_vector_typeIfLj2EEffffjfiS5_IjLj3EEiiiiiiiiiiiliiliiiiil,comdat
	.globl	_ZL15flash_attn_tileILi112ELi112ELi2ELi2ELb0EEvPKcS1_S1_S1_S1_PKiPfP15HIP_vector_typeIfLj2EEffffjfiS5_IjLj3EEiiiiiiiiiiiliiliiiiil ; -- Begin function _ZL15flash_attn_tileILi112ELi112ELi2ELi2ELb0EEvPKcS1_S1_S1_S1_PKiPfP15HIP_vector_typeIfLj2EEffffjfiS5_IjLj3EEiiiiiiiiiiiliiliiiiil
	.p2align	8
	.type	_ZL15flash_attn_tileILi112ELi112ELi2ELi2ELb0EEvPKcS1_S1_S1_S1_PKiPfP15HIP_vector_typeIfLj2EEffffjfiS5_IjLj3EEiiiiiiiiiiiliiliiiiil,@function
_ZL15flash_attn_tileILi112ELi112ELi2ELi2ELb0EEvPKcS1_S1_S1_S1_PKiPfP15HIP_vector_typeIfLj2EEffffjfiS5_IjLj3EEiiiiiiiiiiiliiliiiiil: ; @_ZL15flash_attn_tileILi112ELi112ELi2ELi2ELb0EEvPKcS1_S1_S1_S1_PKiPfP15HIP_vector_typeIfLj2EEffffjfiS5_IjLj3EEiiiiiiiiiiiliiliiiiil
; %bb.0:
	s_load_dwordx4 s[28:31], s[4:5], 0x5c
	s_load_dwordx2 s[34:35], s[4:5], 0x80
	s_load_dwordx16 s[12:27], s[4:5], 0x0
	s_mov_b64 s[36:37], 0
	s_waitcnt lgkmcnt(0)
	s_lshr_b32 s0, s31, 31
	s_add_i32 s0, s31, s0
	s_ashr_i32 s0, s0, 1
	v_cvt_f32_u32_e32 v2, s0
	s_sub_i32 s1, 0, s0
	v_rcp_iflag_f32_e32 v2, v2
	v_mul_f32_e32 v2, 0x4f7ffffe, v2
	v_cvt_u32_f32_e32 v2, v2
	v_readfirstlane_b32 s2, v2
	s_mul_i32 s1, s1, s2
	s_mul_hi_u32 s1, s2, s1
	s_add_i32 s2, s2, s1
	s_mul_hi_u32 s1, s8, s2
	s_mul_i32 s2, s1, s0
	s_sub_i32 s2, s8, s2
	s_add_i32 s3, s1, 1
	s_sub_i32 s9, s2, s0
	s_cmp_ge_u32 s2, s0
	s_cselect_b32 s1, s3, s1
	s_cselect_b32 s2, s9, s2
	s_add_i32 s3, s1, 1
	s_cmp_ge_u32 s2, s0
	s_cselect_b32 s33, s3, s1
	s_abs_i32 s1, s35
	v_cvt_f32_u32_e32 v2, s1
	s_lshl_b32 s0, s8, 1
	s_sub_i32 s8, 0, s1
	s_abs_i32 s3, s31
	v_rcp_iflag_f32_e32 v2, v2
	s_xor_b32 s2, s31, s35
	s_ashr_i32 s2, s2, 31
	v_mul_f32_e32 v2, 0x4f7ffffe, v2
	v_cvt_u32_f32_e32 v2, v2
	v_readfirstlane_b32 s9, v2
	s_mul_i32 s8, s8, s9
	s_mul_hi_u32 s8, s9, s8
	s_add_i32 s9, s9, s8
	s_mul_hi_u32 s8, s3, s9
	s_mul_i32 s9, s8, s1
	s_sub_i32 s3, s3, s9
	s_add_i32 s10, s8, 1
	s_sub_i32 s9, s3, s1
	s_cmp_ge_u32 s3, s1
	s_cselect_b32 s8, s10, s8
	s_cselect_b32 s3, s9, s3
	s_add_i32 s9, s8, 1
	s_cmp_ge_u32 s3, s1
	s_cselect_b32 s1, s9, s8
	s_xor_b32 s1, s1, s2
	s_sub_i32 s39, s1, s2
	s_abs_i32 s41, s39
	v_cvt_f32_u32_e32 v2, s41
	s_load_dwordx2 s[2:3], s[4:5], 0xb8
	s_mul_i32 s1, s33, s31
	s_cmp_eq_u64 s[18:19], 0
	v_rcp_iflag_f32_e32 v2, v2
	v_mul_f32_e32 v2, 0x4f7ffffe, v2
	v_cvt_u32_f32_e32 v2, v2
	v_readfirstlane_b32 s40, v2
	s_cbranch_scc1 .LBB46_2
; %bb.1:
	s_waitcnt lgkmcnt(0)
	s_abs_i32 s2, s2
	v_cvt_f32_u32_e32 v2, s2
	s_sub_i32 s35, 0, s2
	s_abs_i32 s11, s33
	s_ashr_i32 s10, s33, 31
	v_rcp_iflag_f32_e32 v2, v2
	s_load_dwordx2 s[8:9], s[4:5], 0xc8
	v_mul_f32_e32 v2, 0x4f7ffffe, v2
	v_cvt_u32_f32_e32 v2, v2
	v_readfirstlane_b32 s36, v2
	s_mul_i32 s35, s35, s36
	s_mul_hi_u32 s35, s36, s35
	s_add_i32 s36, s36, s35
	s_mul_hi_u32 s35, s11, s36
	s_mul_i32 s35, s35, s2
	s_sub_i32 s11, s11, s35
	s_sub_i32 s35, s11, s2
	s_cmp_ge_u32 s11, s2
	s_cselect_b32 s11, s35, s11
	s_sub_i32 s35, s11, s2
	s_cmp_ge_u32 s11, s2
	s_cselect_b32 s2, s35, s11
	s_xor_b32 s2, s2, s10
	s_sub_i32 s2, s2, s10
	s_ashr_i32 s10, s2, 31
	s_waitcnt lgkmcnt(0)
	s_mul_hi_u32 s11, s8, s2
	s_mul_i32 s10, s8, s10
	s_mul_i32 s9, s9, s2
	s_add_i32 s10, s11, s10
	s_add_i32 s10, s10, s9
	s_mul_i32 s2, s8, s2
	s_add_u32 s36, s18, s2
	s_addc_u32 s37, s19, s10
.LBB46_2:
	s_waitcnt lgkmcnt(0)
	s_movk_i32 s2, 0xe0
	v_mov_b32_e32 v2, 0x1040
	s_sub_i32 s35, s0, s1
	s_lshl_b32 s38, s6, 1
	v_cmp_gt_u32_e64 s[0:1], 28, v0
	v_mad_u32_u24 v55, v1, s2, v2
	v_lshlrev_b32_e32 v58, 3, v0
	v_and_b32_e32 v56, 1, v1
	v_lshrrev_b32_e32 v57, 1, v1
	s_and_saveexec_b64 s[18:19], s[0:1]
	s_cbranch_execz .LBB46_4
; %bb.3:
	s_load_dwordx4 s[8:11], s[4:5], 0x70
	v_add_u32_e32 v4, s38, v57
	v_mul_hi_u32 v2, s28, v4
	s_waitcnt lgkmcnt(0)
	s_mul_i32 s2, s33, s10
	s_ashr_i32 s42, s2, 31
	s_mul_i32 s11, s35, s9
	s_add_u32 s2, s12, s2
	v_add_u32_e32 v2, v4, v2
	s_addc_u32 s12, s13, s42
	s_ashr_i32 s13, s11, 31
	v_lshrrev_b32_e32 v2, s29, v2
	s_add_u32 s2, s2, s11
	v_mul_lo_u32 v5, v2, s30
	s_addc_u32 s42, s12, s13
	s_ashr_i32 s11, s9, 31
	s_mov_b32 s10, s9
	s_lshr_b32 s9, s11, 2
	v_mul_lo_u32 v3, s9, v56
	s_ashr_i32 s9, s8, 31
	s_lshr_b64 s[12:13], s[10:11], 2
	s_lshr_b64 s[10:11], s[8:9], 2
	v_sub_u32_e32 v6, v4, v5
	v_mad_u64_u32 v[4:5], s[10:11], s10, v6, 0
	v_mul_lo_u32 v2, s12, v56
	s_lshr_b32 s8, s9, 2
	v_mad_u64_u32 v[5:6], s[8:9], s8, v6, v[5:6]
	v_lshlrev_b64 v[2:3], 2, v[2:3]
	v_mov_b32_e32 v7, s42
	v_add_co_u32_e32 v6, vcc, s2, v2
	v_addc_co_u32_e32 v7, vcc, v7, v3, vcc
	v_lshlrev_b64 v[2:3], 2, v[4:5]
	v_lshlrev_b32_e32 v4, 4, v0
	v_add_co_u32_e32 v2, vcc, v6, v2
	v_addc_co_u32_e32 v3, vcc, v7, v3, vcc
	v_add_co_u32_e32 v2, vcc, v2, v4
	v_addc_co_u32_e32 v3, vcc, 0, v3, vcc
	global_load_dwordx4 v[2:5], v[2:3], off
	s_load_dword s2, s[4:5], 0x40
	v_add_u32_e32 v6, v55, v58
	s_waitcnt vmcnt(0) lgkmcnt(0)
	v_fma_mixlo_f16 v2, s2, v2, 0
	v_fma_mixlo_f16 v3, s2, v3, 0
	;; [unrolled: 1-line block ×4, first 2 shown]
	v_lshlrev_b32_e32 v3, 16, v3
	v_and_b32_e32 v2, 0xffff, v2
	v_lshlrev_b32_e32 v5, 16, v5
	v_and_b32_e32 v4, 0xffff, v4
	v_or_b32_e32 v2, v3, v2
	v_or3_b32 v3, v5, v4, 0
	v_or3_b32 v2, 0, 0, v2
	ds_write_b64 v6, v[2:3]
.LBB46_4:
	s_or_b64 exec, exec, s[18:19]
	s_cmp_eq_u64 s[22:23], 0
	s_waitcnt lgkmcnt(0)
	s_barrier
	s_cbranch_scc1 .LBB46_6
; %bb.5:
	s_load_dword s2, s[4:5], 0xd0
	s_mov_b32 s9, 0
	s_waitcnt lgkmcnt(0)
	s_mul_i32 s2, s2, s33
	s_add_i32 s8, s2, s6
	s_lshl_b64 s[8:9], s[8:9], 2
	s_add_u32 s8, s22, s8
	s_addc_u32 s9, s23, s9
	s_load_dword s34, s[8:9], 0x0
.LBB46_6:
	s_lshl_b32 s6, s7, 5
	s_waitcnt lgkmcnt(0)
	s_cmp_lt_i32 s6, s34
	v_mbcnt_lo_u32_b32 v2, -1, 0
	s_cbranch_scc1 .LBB46_17
; %bb.7:
	v_mbcnt_hi_u32_b32 v60, -1, v2
	v_and_b32_e32 v3, 0x60, v60
	v_add_u32_e32 v76, 32, v3
	v_xor_b32_e32 v77, 16, v60
	v_xor_b32_e32 v78, 8, v60
	;; [unrolled: 1-line block ×5, first 2 shown]
	s_cbranch_execz .LBB46_18
; %bb.8:
	v_mov_b32_e32 v64, 0
	v_mov_b32_e32 v82, 0
	;; [unrolled: 1-line block ×4, first 2 shown]
.LBB46_9:
	v_cmp_lt_i32_e32 vcc, v77, v76
	v_cndmask_b32_e32 v1, v60, v77, vcc
	v_lshlrev_b32_e32 v1, 2, v1
	ds_bpermute_b32 v1, v1, v82
	v_cmp_lt_i32_e32 vcc, v78, v76
	v_cndmask_b32_e32 v2, v60, v78, vcc
	v_lshlrev_b32_e32 v2, 2, v2
	v_cmp_lt_i32_e32 vcc, v79, v76
	s_waitcnt lgkmcnt(0)
	v_add_f32_e32 v1, v82, v1
	ds_bpermute_b32 v2, v2, v1
	v_cndmask_b32_e32 v3, v60, v79, vcc
	v_lshlrev_b32_e32 v3, 2, v3
	v_cmp_lt_i32_e32 vcc, v80, v76
	s_cmp_lg_u64 s[20:21], 0
	s_waitcnt lgkmcnt(0)
	v_add_f32_e32 v1, v1, v2
	ds_bpermute_b32 v2, v3, v1
	v_cndmask_b32_e32 v3, v60, v80, vcc
	v_lshlrev_b32_e32 v3, 2, v3
	v_cmp_lt_i32_e32 vcc, v81, v76
	s_cselect_b64 s[2:3], -1, 0
	s_waitcnt lgkmcnt(0)
	v_add_f32_e32 v1, v1, v2
	ds_bpermute_b32 v2, v3, v1
	v_cndmask_b32_e32 v3, v60, v81, vcc
	v_lshlrev_b32_e32 v3, 2, v3
	s_cmp_eq_u32 s7, 0
	s_cselect_b64 s[8:9], -1, 0
	s_waitcnt lgkmcnt(0)
	v_add_f32_e32 v1, v1, v2
	ds_bpermute_b32 v2, v3, v1
	s_and_b64 s[2:3], s[8:9], s[2:3]
	s_and_b64 vcc, exec, s[2:3]
	s_waitcnt lgkmcnt(0)
	v_add_f32_e32 v55, v1, v2
	s_cbranch_vccz .LBB46_11
; %bb.10:
	v_add_u32_e32 v1, s35, v56
	v_ashrrev_i32_e32 v2, 31, v1
	v_lshlrev_b64 v[1:2], 2, v[1:2]
	v_mov_b32_e32 v3, s21
	v_add_co_u32_e32 v1, vcc, s20, v1
	v_addc_co_u32_e32 v2, vcc, v3, v2, vcc
	global_load_dword v1, v[1:2], off
	v_max_f32_e32 v2, v54, v54
	s_mov_b32 s2, 0x3fb8aa3b
	s_mov_b32 s3, 0xc2ce8ed0
	s_waitcnt vmcnt(0)
	v_max_f32_e32 v3, v1, v1
	v_max_f32_e32 v2, v2, v3
	v_sub_f32_e32 v3, v54, v2
	v_sub_f32_e32 v1, v1, v2
	v_mul_f32_e32 v4, 0x3fb8aa3b, v3
	v_mul_f32_e32 v5, 0x3fb8aa3b, v1
	v_fma_f32 v6, v3, s2, -v4
	v_rndne_f32_e32 v7, v4
	v_fma_f32 v8, v1, s2, -v5
	v_rndne_f32_e32 v9, v5
	v_fmac_f32_e32 v6, 0x32a5705f, v3
	v_sub_f32_e32 v4, v4, v7
	v_fmac_f32_e32 v8, 0x32a5705f, v1
	v_sub_f32_e32 v5, v5, v9
	v_add_f32_e32 v4, v4, v6
	v_cvt_i32_f32_e32 v7, v7
	v_add_f32_e32 v5, v5, v8
	v_exp_f32_e32 v4, v4
	v_cvt_i32_f32_e32 v9, v9
	v_exp_f32_e32 v5, v5
	v_cmp_ngt_f32_e32 vcc, s3, v3
	v_ldexp_f32 v4, v4, v7
	s_mov_b32 s2, 0x42b17218
	v_ldexp_f32 v5, v5, v9
	v_cndmask_b32_e32 v4, 0, v4, vcc
	v_cmp_ngt_f32_e32 vcc, s3, v1
	v_mov_b32_e32 v6, 0x7f800000
	v_cndmask_b32_e32 v5, 0, v5, vcc
	v_cmp_nlt_f32_e32 vcc, s2, v3
	v_cndmask_b32_e32 v3, v6, v4, vcc
	v_cvt_f16_f32_e32 v4, v3
	v_cmp_nlt_f32_e32 vcc, s2, v1
	v_cndmask_b32_e32 v1, v6, v5, vcc
	v_fmac_f32_e32 v1, v55, v3
	v_mov_b32_e32 v55, v1
	v_mul_u32_u24_e32 v1, 0x10001, v4
	v_pk_mul_f16 v59, v59, v1
	v_pk_mul_f16 v64, v64, v1
	v_mov_b32_e32 v54, v2
.LBB46_11:
	v_add_u32_e32 v1, s38, v57
	v_cmp_gt_i32_e32 vcc, s30, v1
	s_and_saveexec_b64 s[2:3], vcc
	s_cbranch_execz .LBB46_16
; %bb.12:
	s_mul_i32 s33, s33, s30
	v_add_u32_e32 v1, s33, v1
	s_load_dword s2, s[4:5], 0xd4
	v_mul_lo_u32 v1, v1, s31
	s_waitcnt lgkmcnt(0)
	s_cmp_lg_u32 s2, 1
	v_add3_u32 v1, s35, v56, v1
	v_mul_lo_u32 v1, s2, v1
	s_cselect_b64 s[2:3], -1, 0
	v_add_u32_e32 v1, s7, v1
	s_and_saveexec_b64 s[4:5], s[0:1]
	s_cbranch_execz .LBB46_14
; %bb.13:
	v_div_scale_f32 v2, s[0:1], v55, v55, 1.0
	v_div_scale_f32 v3, vcc, 1.0, v55, 1.0
	s_movk_i32 s0, 0x70
	v_cvt_f32_f16_e32 v8, v64
	v_cvt_f32_f16_sdwa v9, v59 dst_sel:DWORD dst_unused:UNUSED_PAD src0_sel:WORD_1
	v_cvt_f32_f16_e32 v10, v59
	v_mov_b32_e32 v11, s25
	v_rcp_f32_e32 v4, v2
	v_fma_f32 v5, -v2, v4, 1.0
	v_fmac_f32_e32 v4, v5, v4
	v_mul_f32_e32 v5, v3, v4
	v_fma_f32 v6, -v2, v5, v3
	v_fmac_f32_e32 v5, v6, v4
	v_fma_f32 v2, -v2, v5, v3
	v_div_fmas_f32 v4, v2, v4, v5
	v_mul_lo_u32 v2, v1, s0
	v_cvt_f32_f16_sdwa v5, v64 dst_sel:DWORD dst_unused:UNUSED_PAD src0_sel:WORD_1
	v_mov_b32_e32 v3, 0
	v_lshl_add_u32 v2, v0, 2, v2
	v_lshlrev_b64 v[6:7], 2, v[2:3]
	v_add_co_u32_e32 v6, vcc, s24, v6
	v_addc_co_u32_e32 v7, vcc, v11, v7, vcc
	v_div_fixup_f32 v2, v4, v55, 1.0
	v_cndmask_b32_e64 v2, v2, 1.0, s[2:3]
	v_mul_f32_e32 v5, v2, v5
	v_mul_f32_e32 v4, v2, v8
	;; [unrolled: 1-line block ×4, first 2 shown]
	global_store_dwordx4 v[6:7], v[2:5], off
.LBB46_14:
	s_or_b64 exec, exec, s[4:5]
	v_cmp_eq_u32_e32 vcc, 0, v0
	s_and_b64 s[0:1], vcc, s[2:3]
	s_and_b64 exec, exec, s[0:1]
	s_cbranch_execz .LBB46_16
; %bb.15:
	v_ashrrev_i32_e32 v2, 31, v1
	v_lshlrev_b64 v[0:1], 3, v[1:2]
	v_mov_b32_e32 v2, s27
	v_add_co_u32_e32 v0, vcc, s26, v0
	v_addc_co_u32_e32 v1, vcc, v2, v1, vcc
	global_store_dwordx2 v[0:1], v[54:55], off
.LBB46_16:
	s_endpgm
.LBB46_17:
                                        ; implicit-def: $vgpr60
                                        ; implicit-def: $vgpr76
                                        ; implicit-def: $vgpr77
                                        ; implicit-def: $vgpr78
                                        ; implicit-def: $vgpr79
                                        ; implicit-def: $vgpr80
                                        ; implicit-def: $vgpr81
.LBB46_18:
	s_load_dwordx2 s[12:13], s[4:5], 0x8c
	s_load_dwordx4 s[8:11], s[4:5], 0x98
	s_sub_i32 s2, 0, s41
	s_mul_i32 s2, s2, s40
	s_mul_hi_u32 s2, s40, s2
	s_abs_i32 s22, s35
	s_add_i32 s40, s40, s2
	s_ashr_i32 s42, s39, 31
	s_waitcnt lgkmcnt(0)
	s_ashr_i32 s39, s10, 2
	s_ashr_i32 s10, s3, 1
	;; [unrolled: 1-line block ×3, first 2 shown]
	s_mul_hi_u32 s2, s22, s40
	s_ashr_i32 s40, s12, 2
	s_mul_hi_u32 s12, s8, s33
	s_mul_i32 s43, s8, s3
	s_add_i32 s12, s12, s43
	s_mul_i32 s9, s9, s33
	s_ashr_i32 s23, s35, 31
	s_add_i32 s12, s12, s9
	s_mul_i32 s8, s8, s33
	s_add_u32 s8, s14, s8
	s_mul_i32 s14, s2, s41
	s_addc_u32 s9, s15, s12
	s_sub_i32 s14, s22, s14
	s_xor_b32 s12, s23, s42
	s_add_i32 s15, s2, 1
	s_sub_i32 s22, s14, s41
	s_cmp_ge_u32 s14, s41
	s_cselect_b32 s2, s15, s2
	s_cselect_b32 s14, s22, s14
	s_add_i32 s15, s2, 1
	v_lshl_add_u32 v3, v1, 5, v0
	s_cmp_ge_u32 s14, s41
	v_cmp_gt_u32_e32 vcc, 32, v3
	v_mul_lo_u32 v6, s40, v3
	v_add_u32_e32 v3, s38, v57
	s_load_dwordx2 s[18:19], s[4:5], 0xa8
	s_cselect_b32 s2, s15, s2
	v_mul_hi_u32 v9, s28, v3
	s_xor_b32 s2, s2, s12
	s_sub_i32 s2, s2, s12
	s_mul_i32 s12, s2, s13
	s_ashr_i32 s13, s12, 31
	v_add_u32_e32 v9, v3, v9
	s_add_u32 s41, s8, s12
	s_waitcnt lgkmcnt(0)
	s_mul_hi_u32 s8, s18, s33
	s_mul_i32 s3, s18, s3
	v_lshrrev_b32_e32 v9, s29, v9
	s_addc_u32 s42, s9, s13
	s_add_i32 s3, s8, s3
	s_mul_i32 s8, s19, s33
	v_mul_lo_u32 v11, v9, s30
	s_add_i32 s3, s3, s8
	s_mul_i32 s8, s18, s33
	s_add_u32 s8, s16, s8
	s_mul_i32 s2, s2, s11
	s_addc_u32 s3, s17, s3
	s_ashr_i32 s9, s2, 31
	s_add_u32 s43, s8, s2
	v_sub_u32_e32 v3, v3, v11
	s_addc_u32 s44, s3, s9
	v_lshrrev_b32_e32 v4, 1, v0
	v_lshlrev_b32_e32 v16, 2, v0
	v_mad_u64_u32 v[41:42], s[8:9], v3, s10, v[0:1]
	v_mov_b32_e32 v3, 0x13c0
	v_lshl_add_u32 v13, v1, 4, v4
	v_lshrrev_b32_e32 v4, 2, v0
	v_and_b32_e32 v19, 4, v16
	v_lshl_add_u32 v66, v1, 6, v3
	v_lshrrev_b32_e32 v3, 3, v0
	v_lshl_add_u32 v15, v1, 3, v4
	v_lshlrev_b32_e32 v10, 7, v13
	v_lshlrev_b32_e32 v14, 2, v19
	v_lshl_add_u32 v1, v1, 2, v3
	v_mul_u32_u24_e32 v3, 0xe0, v13
	v_mul_lo_u32 v4, s40, v15
	v_mul_lo_u32 v8, s40, v13
	v_or3_b32 v65, v10, v14, 64
	v_mul_lo_u32 v10, s39, v1
	v_mul_lo_u32 v12, s39, v13
	v_or_b32_e32 v3, v3, v14
	v_mul_lo_u32 v14, s39, v15
	v_and_b32_e32 v17, 12, v16
	v_lshlrev_b32_e32 v18, 2, v17
	v_cmp_gt_u32_e64 s[2:3], 32, v13
	v_lshl_or_b32 v61, v15, 7, v18
	v_ashrrev_i32_e32 v5, 31, v4
	v_ashrrev_i32_e32 v7, 31, v6
	v_ashrrev_i32_e32 v9, 31, v8
	v_cmp_gt_u32_e64 s[14:15], 16, v13
	v_cmp_gt_u32_e64 s[8:9], 16, v15
	v_ashrrev_i32_e32 v11, 31, v10
	v_add_u32_e32 v68, 0xc0, v3
	v_ashrrev_i32_e32 v13, 31, v12
	v_mul_u32_u24_e32 v3, 0xe0, v15
	s_movk_i32 s11, 0x80
	v_ashrrev_i32_e32 v15, 31, v14
	v_and_b32_e32 v16, 28, v16
	v_lshlrev_b32_e32 v62, 7, v0
	s_movk_i32 s10, 0xe0
	v_add3_u32 v69, v3, v18, s11
	v_lshlrev_b32_e32 v3, 2, v16
	s_add_u32 s18, s4, 0xd0
	v_lshlrev_b64 v[42:43], 2, v[6:7]
	v_lshlrev_b64 v[44:45], 2, v[8:9]
	;; [unrolled: 1-line block ×6, first 2 shown]
	v_mov_b32_e32 v59, 0
	v_or_b32_e32 v63, 0x60, v62
	v_lshl_add_u32 v67, v0, 1, v66
	v_mad_u32_u24 v70, v1, s10, v3
	s_addc_u32 s19, s5, 0
	v_mov_b32_e32 v3, 0xfeffffff
	v_lshlrev_b32_e32 v71, 2, v17
	s_mov_b32 s28, 0x3fb8aa3b
	s_mov_b32 s29, 0xc2ce8ed0
	;; [unrolled: 1-line block ×4, first 2 shown]
	v_lshlrev_b32_e32 v72, 2, v16
	v_lshlrev_b32_e32 v73, 2, v19
	v_mbcnt_hi_u32_b32 v60, -1, v2
	v_mov_b32_e32 v74, 0x7f800000
	v_mov_b32_e32 v64, 0
	;; [unrolled: 1-line block ×3, first 2 shown]
.LBB46_19:                              ; =>This Inner Loop Header: Depth=1
	s_mul_hi_i32 s11, s6, s40
	s_mul_i32 s10, s6, s40
	s_lshl_b64 s[10:11], s[10:11], 2
	s_add_u32 s16, s41, s10
	s_addc_u32 s17, s42, s11
	s_and_saveexec_b64 s[12:13], vcc
	s_cbranch_execz .LBB46_21
; %bb.20:                               ;   in Loop: Header=BB46_19 Depth=1
	v_mov_b32_e32 v2, s17
	v_add_co_u32_e64 v1, s[10:11], s16, v42
	v_addc_co_u32_e64 v2, s[10:11], v2, v43, s[10:11]
	global_load_dwordx4 v[4:7], v[1:2], off offset:96
	s_waitcnt vmcnt(0)
	ds_write_b128 v63, v[4:7]
.LBB46_21:                              ;   in Loop: Header=BB46_19 Depth=1
	s_or_b64 exec, exec, s[12:13]
	s_and_saveexec_b64 s[12:13], s[2:3]
	s_cbranch_execz .LBB46_23
; %bb.22:                               ;   in Loop: Header=BB46_19 Depth=1
	v_mov_b32_e32 v1, s17
	v_add_co_u32_e64 v2, s[10:11], s16, v44
	v_addc_co_u32_e64 v4, s[10:11], v1, v45, s[10:11]
	v_add_co_u32_e64 v1, s[10:11], v2, v73
	v_addc_co_u32_e64 v2, s[10:11], 0, v4, s[10:11]
	global_load_dwordx4 v[4:7], v[1:2], off offset:64
	s_waitcnt vmcnt(0)
	ds_write_b128 v65, v[4:7]
.LBB46_23:                              ;   in Loop: Header=BB46_19 Depth=1
	s_or_b64 exec, exec, s[12:13]
	v_mov_b32_e32 v1, s17
	v_add_co_u32_e64 v2, s[10:11], s16, v46
	v_addc_co_u32_e64 v4, s[10:11], v1, v47, s[10:11]
	v_add_co_u32_e64 v1, s[10:11], v2, v71
	v_addc_co_u32_e64 v2, s[10:11], 0, v4, s[10:11]
	global_load_dwordx4 v[4:7], v[1:2], off
	s_waitcnt vmcnt(0)
	ds_write_b128 v61, v[4:7]
	s_waitcnt lgkmcnt(0)
	s_barrier
	ds_read_b128 v[5:8], v62
	ds_read_b128 v[9:12], v55
	v_mov_b32_e32 v4, 0
	s_waitcnt lgkmcnt(0)
	;;#ASMSTART
	v_dot2_f32_f16 v4, v5, v9, v4
	;;#ASMEND
	;;#ASMSTART
	v_dot2_f32_f16 v4, v6, v10, v4
	;;#ASMEND
	;;#ASMSTART
	v_dot2_f32_f16 v4, v7, v11, v4
	;;#ASMEND
	;;#ASMSTART
	v_dot2_f32_f16 v4, v8, v12, v4
	;;#ASMEND
	ds_read_b128 v[5:8], v62 offset:16
	ds_read_b128 v[9:12], v55 offset:16
	s_waitcnt lgkmcnt(0)
	;;#ASMSTART
	v_dot2_f32_f16 v4, v5, v9, v4
	;;#ASMEND
	;;#ASMSTART
	v_dot2_f32_f16 v4, v6, v10, v4
	;;#ASMEND
	;;#ASMSTART
	v_dot2_f32_f16 v4, v7, v11, v4
	;;#ASMEND
	;;#ASMSTART
	v_dot2_f32_f16 v4, v8, v12, v4
	;;#ASMEND
	ds_read_b128 v[5:8], v62 offset:32
	ds_read_b128 v[9:12], v55 offset:32
	;; [unrolled: 15-line block ×6, first 2 shown]
	s_waitcnt lgkmcnt(0)
	;;#ASMSTART
	v_dot2_f32_f16 v4, v5, v9, v4
	;;#ASMEND
	;;#ASMSTART
	v_dot2_f32_f16 v4, v6, v10, v4
	;;#ASMEND
	;; [unrolled: 3-line block ×4, first 2 shown]
	s_barrier
	s_and_saveexec_b64 s[12:13], vcc
	s_cbranch_execz .LBB46_25
; %bb.24:                               ;   in Loop: Header=BB46_19 Depth=1
	v_mov_b32_e32 v6, s17
	v_add_co_u32_e64 v5, s[10:11], s16, v42
	v_addc_co_u32_e64 v6, s[10:11], v6, v43, s[10:11]
	global_load_dwordx4 v[5:8], v[5:6], off offset:208
	s_waitcnt vmcnt(0)
	ds_write_b128 v63, v[5:8]
.LBB46_25:                              ;   in Loop: Header=BB46_19 Depth=1
	s_or_b64 exec, exec, s[12:13]
	s_and_saveexec_b64 s[12:13], s[2:3]
	s_cbranch_execz .LBB46_27
; %bb.26:                               ;   in Loop: Header=BB46_19 Depth=1
	v_mov_b32_e32 v5, s17
	v_add_co_u32_e64 v6, s[10:11], s16, v44
	v_addc_co_u32_e64 v7, s[10:11], v5, v45, s[10:11]
	v_add_co_u32_e64 v5, s[10:11], v6, v73
	v_addc_co_u32_e64 v6, s[10:11], 0, v7, s[10:11]
	global_load_dwordx4 v[5:8], v[5:6], off offset:176
	s_waitcnt vmcnt(0)
	ds_write_b128 v65, v[5:8]
.LBB46_27:                              ;   in Loop: Header=BB46_19 Depth=1
	s_or_b64 exec, exec, s[12:13]
	global_load_dwordx4 v[5:8], v[1:2], off offset:112
	v_add_u32_e32 v1, s6, v41
	v_ashrrev_i32_e32 v2, 31, v1
	v_lshlrev_b64 v[1:2], 1, v[1:2]
	v_mov_b32_e32 v13, s37
	v_add_co_u32_e64 v1, s[10:11], s36, v1
	v_addc_co_u32_e64 v2, s[10:11], v13, v2, s[10:11]
	v_xor_b32_e32 v77, 16, v60
	v_xor_b32_e32 v78, 8, v60
	;; [unrolled: 1-line block ×5, first 2 shown]
	s_waitcnt vmcnt(0)
	ds_write_b128 v61, v[5:8]
	s_waitcnt lgkmcnt(0)
	s_barrier
	ds_read_b128 v[5:8], v62
	ds_read_b128 v[9:12], v55 offset:112
	s_waitcnt lgkmcnt(0)
	;;#ASMSTART
	v_dot2_f32_f16 v4, v5, v9, v4
	;;#ASMEND
	;;#ASMSTART
	v_dot2_f32_f16 v4, v6, v10, v4
	;;#ASMEND
	;;#ASMSTART
	v_dot2_f32_f16 v4, v7, v11, v4
	;;#ASMEND
	;;#ASMSTART
	v_dot2_f32_f16 v4, v8, v12, v4
	;;#ASMEND
	ds_read_b128 v[5:8], v62 offset:16
	ds_read_b128 v[9:12], v55 offset:128
	s_waitcnt lgkmcnt(0)
	;;#ASMSTART
	v_dot2_f32_f16 v4, v5, v9, v4
	;;#ASMEND
	;;#ASMSTART
	v_dot2_f32_f16 v4, v6, v10, v4
	;;#ASMEND
	;;#ASMSTART
	v_dot2_f32_f16 v4, v7, v11, v4
	;;#ASMEND
	;;#ASMSTART
	v_dot2_f32_f16 v4, v8, v12, v4
	;;#ASMEND
	ds_read_b128 v[5:8], v62 offset:32
	;; [unrolled: 15-line block ×6, first 2 shown]
	ds_read_b128 v[9:12], v55 offset:208
	s_waitcnt lgkmcnt(0)
	;;#ASMSTART
	v_dot2_f32_f16 v4, v5, v9, v4
	;;#ASMEND
	;;#ASMSTART
	v_dot2_f32_f16 v4, v6, v10, v4
	;;#ASMEND
	;; [unrolled: 3-line block ×4, first 2 shown]
	global_load_ushort v1, v[1:2], off
	v_and_b32_e32 v2, 0x60, v60
	v_add_u32_e32 v76, 32, v2
	v_cmp_lt_i32_e64 s[10:11], v77, v76
	v_max_f32_e32 v5, v3, v3
	v_cndmask_b32_e64 v2, v60, v77, s[10:11]
	v_lshlrev_b32_e32 v2, 2, v2
	v_cmp_lt_i32_e64 s[10:11], v78, v76
	s_waitcnt vmcnt(0)
	s_barrier
	v_cvt_f32_f16_e32 v1, v1
	v_add_f32_e32 v1, v4, v1
	v_add_f32_e32 v4, 0x40051340, v1
	v_max_f32_e32 v4, v5, v4
	ds_bpermute_b32 v2, v2, v4
	v_cndmask_b32_e64 v5, v60, v78, s[10:11]
	v_lshlrev_b32_e32 v5, 2, v5
	v_cmp_lt_i32_e64 s[10:11], v79, v76
	s_waitcnt lgkmcnt(0)
	v_max_f32_e32 v2, v2, v2
	v_max_f32_e32 v2, v4, v2
	ds_bpermute_b32 v4, v5, v2
	v_cndmask_b32_e64 v5, v60, v79, s[10:11]
	v_lshlrev_b32_e32 v5, 2, v5
	v_cmp_lt_i32_e64 s[10:11], v80, v76
	s_waitcnt lgkmcnt(0)
	v_max_f32_e32 v4, v4, v4
	;; [unrolled: 7-line block ×3, first 2 shown]
	v_max_f32_e32 v2, v2, v4
	ds_bpermute_b32 v4, v5, v2
	v_cndmask_b32_e64 v5, v60, v81, s[10:11]
	v_lshlrev_b32_e32 v5, 2, v5
	s_mul_hi_i32 s11, s6, s39
	s_mul_i32 s10, s6, s39
	s_waitcnt lgkmcnt(0)
	v_max_f32_e32 v4, v4, v4
	v_max_f32_e32 v2, v2, v4
	ds_bpermute_b32 v4, v5, v2
	s_lshl_b64 s[12:13], s[10:11], 2
	s_add_u32 s16, s43, s12
	s_addc_u32 s17, s44, s13
	s_waitcnt lgkmcnt(0)
	v_max_f32_e32 v4, v4, v4
	v_max_f32_e32 v54, v2, v4
	v_sub_f32_e32 v1, v1, v54
	v_mul_f32_e32 v2, 0x3fb8aa3b, v1
	v_fma_f32 v4, v1, s28, -v2
	v_rndne_f32_e32 v5, v2
	v_fmac_f32_e32 v4, 0x32a5705f, v1
	v_sub_f32_e32 v2, v2, v5
	v_add_f32_e32 v2, v2, v4
	v_cvt_i32_f32_e32 v5, v5
	v_exp_f32_e32 v2, v2
	v_cmp_ngt_f32_e64 s[10:11], s29, v1
	v_ldexp_f32 v2, v2, v5
	v_cndmask_b32_e64 v2, 0, v2, s[10:11]
	v_cmp_nlt_f32_e64 s[10:11], s45, v1
	v_cndmask_b32_e64 v82, v74, v2, s[10:11]
	v_cvt_f16_f32_e32 v1, v82
	ds_write_b16 v67, v1
	s_and_saveexec_b64 s[12:13], s[14:15]
	s_cbranch_execz .LBB46_29
; %bb.28:                               ;   in Loop: Header=BB46_19 Depth=1
	v_mov_b32_e32 v1, s17
	v_add_co_u32_e64 v2, s[10:11], s16, v48
	v_addc_co_u32_e64 v4, s[10:11], v1, v49, s[10:11]
	v_add_co_u32_e64 v1, s[10:11], v2, v73
	v_addc_co_u32_e64 v2, s[10:11], 0, v4, s[10:11]
	global_load_dwordx4 v[4:7], v[1:2], off offset:192
	s_waitcnt vmcnt(0)
	ds_write_b128 v68, v[4:7]
.LBB46_29:                              ;   in Loop: Header=BB46_19 Depth=1
	s_or_b64 exec, exec, s[12:13]
	s_and_saveexec_b64 s[12:13], s[8:9]
	s_cbranch_execz .LBB46_31
; %bb.30:                               ;   in Loop: Header=BB46_19 Depth=1
	v_mov_b32_e32 v1, s17
	v_add_co_u32_e64 v2, s[10:11], s16, v50
	v_addc_co_u32_e64 v4, s[10:11], v1, v51, s[10:11]
	v_add_co_u32_e64 v1, s[10:11], v2, v71
	v_addc_co_u32_e64 v2, s[10:11], 0, v4, s[10:11]
	global_load_dwordx4 v[4:7], v[1:2], off offset:128
	s_waitcnt vmcnt(0)
	ds_write_b128 v69, v[4:7]
.LBB46_31:                              ;   in Loop: Header=BB46_19 Depth=1
	s_or_b64 exec, exec, s[12:13]
	v_mov_b32_e32 v1, s17
	v_add_co_u32_e64 v2, s[10:11], s16, v52
	v_addc_co_u32_e64 v4, s[10:11], v1, v53, s[10:11]
	v_add_co_u32_e64 v1, s[10:11], v2, v72
	v_addc_co_u32_e64 v2, s[10:11], 0, v4, s[10:11]
	global_load_dwordx4 v[4:7], v[1:2], off
	v_sub_f32_e32 v84, v3, v54
	v_add_u32_e32 v83, 0x800, v58
	s_or_b32 s16, s6, 16
	s_mul_hi_i32 s17, s16, s39
	s_mul_i32 s16, s16, s39
	s_lshl_b64 s[16:17], s[16:17], 2
	s_add_u32 s47, s43, s16
	v_cmp_ngt_f32_e64 s[10:11], s29, v84
	v_cmp_nlt_f32_e64 s[12:13], s45, v84
	s_addc_u32 s48, s44, s17
	s_waitcnt vmcnt(0)
	ds_write_b128 v70, v[4:7]
	s_waitcnt lgkmcnt(0)
	s_barrier
	ds_read2_b64 v[29:32], v58 offset1:28
	ds_read_b128 v[37:40], v66
	ds_read_b128 v[33:36], v66 offset:16
	ds_read2_b64 v[25:28], v58 offset0:56 offset1:84
	ds_read2_b64 v[21:24], v58 offset0:112 offset1:140
	;; [unrolled: 1-line block ×7, first 2 shown]
	s_waitcnt lgkmcnt(0)
	s_barrier
	s_and_saveexec_b64 s[22:23], s[14:15]
	s_cbranch_execz .LBB46_33
; %bb.32:                               ;   in Loop: Header=BB46_19 Depth=1
	v_mov_b32_e32 v85, s48
	v_add_co_u32_e64 v86, s[16:17], s47, v48
	v_addc_co_u32_e64 v87, s[16:17], v85, v49, s[16:17]
	v_add_co_u32_e64 v85, s[16:17], v86, v73
	v_addc_co_u32_e64 v86, s[16:17], 0, v87, s[16:17]
	global_load_dwordx4 v[85:88], v[85:86], off offset:192
	s_waitcnt vmcnt(0)
	ds_write_b128 v68, v[85:88]
.LBB46_33:                              ;   in Loop: Header=BB46_19 Depth=1
	s_or_b64 exec, exec, s[22:23]
	s_and_saveexec_b64 s[22:23], s[8:9]
	s_cbranch_execz .LBB46_35
; %bb.34:                               ;   in Loop: Header=BB46_19 Depth=1
	v_mov_b32_e32 v85, s48
	v_add_co_u32_e64 v86, s[16:17], s47, v50
	v_addc_co_u32_e64 v87, s[16:17], v85, v51, s[16:17]
	v_add_co_u32_e64 v85, s[16:17], v86, v71
	v_addc_co_u32_e64 v86, s[16:17], 0, v87, s[16:17]
	global_load_dwordx4 v[85:88], v[85:86], off offset:128
	s_waitcnt vmcnt(0)
	ds_write_b128 v69, v[85:88]
.LBB46_35:                              ;   in Loop: Header=BB46_19 Depth=1
	s_or_b64 exec, exec, s[22:23]
	v_mov_b32_e32 v85, s48
	v_add_co_u32_e64 v86, s[16:17], s47, v52
	v_addc_co_u32_e64 v87, s[16:17], v85, v53, s[16:17]
	v_add_co_u32_e64 v85, s[16:17], v86, v72
	v_addc_co_u32_e64 v86, s[16:17], 0, v87, s[16:17]
	global_load_dwordx4 v[85:88], v[85:86], off
	v_mul_f32_e32 v89, 0x3fb8aa3b, v84
	v_fma_f32 v97, v84, s28, -v89
	v_rndne_f32_e32 v98, v89
	v_fmac_f32_e32 v97, 0x32a5705f, v84
	v_sub_f32_e32 v84, v89, v98
	v_add_f32_e32 v84, v84, v97
	v_cvt_i32_f32_e32 v89, v98
	v_exp_f32_e32 v84, v84
	v_mul_u32_u24_sdwa v90, v37, s46 dst_sel:DWORD dst_unused:UNUSED_PAD src0_sel:WORD_0 src1_sel:DWORD
	v_pk_mul_f16 v29, v29, v90
	v_pk_mul_f16 v30, v30, v90
	v_ldexp_f32 v84, v84, v89
	v_cndmask_b32_e64 v84, 0, v84, s[10:11]
	v_cndmask_b32_e64 v84, v74, v84, s[12:13]
	v_cvt_f16_f32_e32 v89, v84
	v_fmac_f32_e32 v82, v75, v84
	v_mul_u32_u24_sdwa v37, v37, s46 dst_sel:DWORD dst_unused:UNUSED_PAD src0_sel:WORD_1 src1_sel:DWORD
	v_mul_u32_u24_sdwa v91, v38, s46 dst_sel:DWORD dst_unused:UNUSED_PAD src0_sel:WORD_0 src1_sel:DWORD
	v_mul_u32_u24_e32 v75, 0x10001, v89
	v_pk_fma_f16 v29, v59, v75, v29
	v_pk_fma_f16 v30, v64, v75, v30
	;; [unrolled: 1-line block ×4, first 2 shown]
	v_mul_u32_u24_sdwa v38, v38, s46 dst_sel:DWORD dst_unused:UNUSED_PAD src0_sel:WORD_1 src1_sel:DWORD
	v_pk_fma_f16 v25, v25, v91, v29
	v_pk_fma_f16 v26, v26, v91, v30
	v_mul_u32_u24_sdwa v92, v39, s46 dst_sel:DWORD dst_unused:UNUSED_PAD src0_sel:WORD_0 src1_sel:DWORD
	v_pk_fma_f16 v25, v27, v38, v25
	v_pk_fma_f16 v26, v28, v38, v26
	v_mul_u32_u24_sdwa v39, v39, s46 dst_sel:DWORD dst_unused:UNUSED_PAD src0_sel:WORD_1 src1_sel:DWORD
	v_pk_fma_f16 v21, v21, v92, v25
	v_pk_fma_f16 v22, v22, v92, v26
	v_mul_u32_u24_sdwa v93, v40, s46 dst_sel:DWORD dst_unused:UNUSED_PAD src0_sel:WORD_0 src1_sel:DWORD
	v_pk_fma_f16 v21, v23, v39, v21
	v_pk_fma_f16 v22, v24, v39, v22
	;; [unrolled: 6-line block ×6, first 2 shown]
	v_mul_u32_u24_sdwa v36, v36, s46 dst_sel:DWORD dst_unused:UNUSED_PAD src0_sel:WORD_1 src1_sel:DWORD
	v_pk_fma_f16 v1, v1, v97, v5
	v_pk_fma_f16 v2, v2, v97, v6
	;; [unrolled: 1-line block ×4, first 2 shown]
	s_waitcnt vmcnt(0)
	ds_write_b128 v70, v[85:88]
	s_waitcnt lgkmcnt(0)
	s_barrier
	ds_read_b128 v[1:4], v66 offset:32
	ds_read2_b64 v[5:8], v58 offset1:28
	ds_read_b128 v[9:12], v66 offset:48
	ds_read2_b64 v[13:16], v58 offset0:56 offset1:84
	ds_read2_b64 v[17:20], v58 offset0:112 offset1:140
	s_waitcnt lgkmcnt(4)
	v_mul_u32_u24_sdwa v23, v1, s46 dst_sel:DWORD dst_unused:UNUSED_PAD src0_sel:WORD_0 src1_sel:DWORD
	v_mul_u32_u24_sdwa v1, v1, s46 dst_sel:DWORD dst_unused:UNUSED_PAD src0_sel:WORD_1 src1_sel:DWORD
	s_waitcnt lgkmcnt(3)
	v_pk_fma_f16 v5, v5, v23, v21
	v_pk_fma_f16 v6, v6, v23, v22
	v_mul_u32_u24_sdwa v24, v2, s46 dst_sel:DWORD dst_unused:UNUSED_PAD src0_sel:WORD_0 src1_sel:DWORD
	v_pk_fma_f16 v5, v7, v1, v5
	v_pk_fma_f16 v1, v8, v1, v6
	s_waitcnt lgkmcnt(1)
	v_pk_fma_f16 v5, v13, v24, v5
	v_pk_fma_f16 v1, v14, v24, v1
	v_mul_u32_u24_sdwa v2, v2, s46 dst_sel:DWORD dst_unused:UNUSED_PAD src0_sel:WORD_1 src1_sel:DWORD
	v_pk_fma_f16 v5, v15, v2, v5
	v_pk_fma_f16 v1, v16, v2, v1
	v_mul_u32_u24_sdwa v2, v3, s46 dst_sel:DWORD dst_unused:UNUSED_PAD src0_sel:WORD_0 src1_sel:DWORD
	s_waitcnt lgkmcnt(0)
	v_pk_fma_f16 v13, v17, v2, v5
	ds_read2_b64 v[5:8], v58 offset0:168 offset1:196
	v_pk_fma_f16 v1, v18, v2, v1
	v_mul_u32_u24_sdwa v2, v3, s46 dst_sel:DWORD dst_unused:UNUSED_PAD src0_sel:WORD_1 src1_sel:DWORD
	v_pk_fma_f16 v3, v19, v2, v13
	ds_read2_b64 v[13:16], v58 offset0:224 offset1:252
	v_pk_fma_f16 v1, v20, v2, v1
	v_mul_u32_u24_sdwa v2, v4, s46 dst_sel:DWORD dst_unused:UNUSED_PAD src0_sel:WORD_0 src1_sel:DWORD
	s_waitcnt lgkmcnt(1)
	v_pk_fma_f16 v3, v5, v2, v3
	v_pk_fma_f16 v1, v6, v2, v1
	v_mul_u32_u24_sdwa v2, v4, s46 dst_sel:DWORD dst_unused:UNUSED_PAD src0_sel:WORD_1 src1_sel:DWORD
	v_pk_fma_f16 v3, v7, v2, v3
	v_pk_fma_f16 v1, v8, v2, v1
	v_mul_u32_u24_sdwa v2, v9, s46 dst_sel:DWORD dst_unused:UNUSED_PAD src0_sel:WORD_0 src1_sel:DWORD
	s_waitcnt lgkmcnt(0)
	v_pk_fma_f16 v5, v13, v2, v3
	v_pk_fma_f16 v6, v14, v2, v1
	ds_read2_b64 v[1:4], v83 offset0:24 offset1:52
	v_mul_u32_u24_sdwa v7, v9, s46 dst_sel:DWORD dst_unused:UNUSED_PAD src0_sel:WORD_1 src1_sel:DWORD
	v_pk_fma_f16 v5, v15, v7, v5
	v_pk_fma_f16 v6, v16, v7, v6
	v_mul_u32_u24_sdwa v7, v10, s46 dst_sel:DWORD dst_unused:UNUSED_PAD src0_sel:WORD_0 src1_sel:DWORD
	s_waitcnt lgkmcnt(0)
	v_pk_fma_f16 v1, v1, v7, v5
	v_pk_fma_f16 v2, v2, v7, v6
	ds_read2_b64 v[5:8], v83 offset0:80 offset1:108
	v_mul_u32_u24_sdwa v9, v10, s46 dst_sel:DWORD dst_unused:UNUSED_PAD src0_sel:WORD_1 src1_sel:DWORD
	v_pk_fma_f16 v1, v3, v9, v1
	v_pk_fma_f16 v2, v4, v9, v2
	v_mul_u32_u24_sdwa v3, v11, s46 dst_sel:DWORD dst_unused:UNUSED_PAD src0_sel:WORD_0 src1_sel:DWORD
	s_waitcnt lgkmcnt(0)
	v_pk_fma_f16 v1, v5, v3, v1
	v_pk_fma_f16 v2, v6, v3, v2
	v_mul_u32_u24_sdwa v3, v11, s46 dst_sel:DWORD dst_unused:UNUSED_PAD src0_sel:WORD_1 src1_sel:DWORD
	v_pk_fma_f16 v5, v7, v3, v1
	v_pk_fma_f16 v6, v8, v3, v2
	ds_read2_b64 v[1:4], v83 offset0:136 offset1:164
	s_waitcnt lgkmcnt(0)
	s_barrier
	s_load_dword s10, s[18:19], 0x4
	v_mul_u32_u24_sdwa v7, v12, s46 dst_sel:DWORD dst_unused:UNUSED_PAD src0_sel:WORD_0 src1_sel:DWORD
	v_pk_fma_f16 v1, v1, v7, v5
	v_pk_fma_f16 v2, v2, v7, v6
	v_mul_u32_u24_sdwa v5, v12, s46 dst_sel:DWORD dst_unused:UNUSED_PAD src0_sel:WORD_1 src1_sel:DWORD
	s_waitcnt lgkmcnt(0)
	s_lshl_b32 s10, s10, 5
	s_add_i32 s6, s10, s6
	v_pk_fma_f16 v59, v3, v5, v1
	s_cmp_ge_i32 s6, s34
	v_pk_fma_f16 v64, v4, v5, v2
	s_cbranch_scc1 .LBB46_9
; %bb.36:                               ;   in Loop: Header=BB46_19 Depth=1
	v_mov_b32_e32 v3, v54
	v_mov_b32_e32 v75, v82
	s_branch .LBB46_19
	.section	.rodata,"a",@progbits
	.p2align	6, 0x0
	.amdhsa_kernel _ZL15flash_attn_tileILi112ELi112ELi2ELi2ELb0EEvPKcS1_S1_S1_S1_PKiPfP15HIP_vector_typeIfLj2EEffffjfiS5_IjLj3EEiiiiiiiiiiiliiliiiiil
		.amdhsa_group_segment_fixed_size 5312
		.amdhsa_private_segment_fixed_size 0
		.amdhsa_kernarg_size 464
		.amdhsa_user_sgpr_count 6
		.amdhsa_user_sgpr_private_segment_buffer 1
		.amdhsa_user_sgpr_dispatch_ptr 0
		.amdhsa_user_sgpr_queue_ptr 0
		.amdhsa_user_sgpr_kernarg_segment_ptr 1
		.amdhsa_user_sgpr_dispatch_id 0
		.amdhsa_user_sgpr_flat_scratch_init 0
		.amdhsa_user_sgpr_private_segment_size 0
		.amdhsa_uses_dynamic_stack 0
		.amdhsa_system_sgpr_private_segment_wavefront_offset 0
		.amdhsa_system_sgpr_workgroup_id_x 1
		.amdhsa_system_sgpr_workgroup_id_y 1
		.amdhsa_system_sgpr_workgroup_id_z 1
		.amdhsa_system_sgpr_workgroup_info 0
		.amdhsa_system_vgpr_workitem_id 1
		.amdhsa_next_free_vgpr 99
		.amdhsa_next_free_sgpr 93
		.amdhsa_reserve_vcc 1
		.amdhsa_reserve_flat_scratch 0
		.amdhsa_float_round_mode_32 0
		.amdhsa_float_round_mode_16_64 0
		.amdhsa_float_denorm_mode_32 3
		.amdhsa_float_denorm_mode_16_64 3
		.amdhsa_dx10_clamp 1
		.amdhsa_ieee_mode 1
		.amdhsa_fp16_overflow 0
		.amdhsa_exception_fp_ieee_invalid_op 0
		.amdhsa_exception_fp_denorm_src 0
		.amdhsa_exception_fp_ieee_div_zero 0
		.amdhsa_exception_fp_ieee_overflow 0
		.amdhsa_exception_fp_ieee_underflow 0
		.amdhsa_exception_fp_ieee_inexact 0
		.amdhsa_exception_int_div_zero 0
	.end_amdhsa_kernel
	.section	.text._ZL15flash_attn_tileILi112ELi112ELi2ELi2ELb0EEvPKcS1_S1_S1_S1_PKiPfP15HIP_vector_typeIfLj2EEffffjfiS5_IjLj3EEiiiiiiiiiiiliiliiiiil,"axG",@progbits,_ZL15flash_attn_tileILi112ELi112ELi2ELi2ELb0EEvPKcS1_S1_S1_S1_PKiPfP15HIP_vector_typeIfLj2EEffffjfiS5_IjLj3EEiiiiiiiiiiiliiliiiiil,comdat
.Lfunc_end46:
	.size	_ZL15flash_attn_tileILi112ELi112ELi2ELi2ELb0EEvPKcS1_S1_S1_S1_PKiPfP15HIP_vector_typeIfLj2EEffffjfiS5_IjLj3EEiiiiiiiiiiiliiliiiiil, .Lfunc_end46-_ZL15flash_attn_tileILi112ELi112ELi2ELi2ELb0EEvPKcS1_S1_S1_S1_PKiPfP15HIP_vector_typeIfLj2EEffffjfiS5_IjLj3EEiiiiiiiiiiiliiliiiiil
                                        ; -- End function
	.set _ZL15flash_attn_tileILi112ELi112ELi2ELi2ELb0EEvPKcS1_S1_S1_S1_PKiPfP15HIP_vector_typeIfLj2EEffffjfiS5_IjLj3EEiiiiiiiiiiiliiliiiiil.num_vgpr, 99
	.set _ZL15flash_attn_tileILi112ELi112ELi2ELi2ELb0EEvPKcS1_S1_S1_S1_PKiPfP15HIP_vector_typeIfLj2EEffffjfiS5_IjLj3EEiiiiiiiiiiiliiliiiiil.num_agpr, 0
	.set _ZL15flash_attn_tileILi112ELi112ELi2ELi2ELb0EEvPKcS1_S1_S1_S1_PKiPfP15HIP_vector_typeIfLj2EEffffjfiS5_IjLj3EEiiiiiiiiiiiliiliiiiil.numbered_sgpr, 49
	.set _ZL15flash_attn_tileILi112ELi112ELi2ELi2ELb0EEvPKcS1_S1_S1_S1_PKiPfP15HIP_vector_typeIfLj2EEffffjfiS5_IjLj3EEiiiiiiiiiiiliiliiiiil.num_named_barrier, 0
	.set _ZL15flash_attn_tileILi112ELi112ELi2ELi2ELb0EEvPKcS1_S1_S1_S1_PKiPfP15HIP_vector_typeIfLj2EEffffjfiS5_IjLj3EEiiiiiiiiiiiliiliiiiil.private_seg_size, 0
	.set _ZL15flash_attn_tileILi112ELi112ELi2ELi2ELb0EEvPKcS1_S1_S1_S1_PKiPfP15HIP_vector_typeIfLj2EEffffjfiS5_IjLj3EEiiiiiiiiiiiliiliiiiil.uses_vcc, 1
	.set _ZL15flash_attn_tileILi112ELi112ELi2ELi2ELb0EEvPKcS1_S1_S1_S1_PKiPfP15HIP_vector_typeIfLj2EEffffjfiS5_IjLj3EEiiiiiiiiiiiliiliiiiil.uses_flat_scratch, 0
	.set _ZL15flash_attn_tileILi112ELi112ELi2ELi2ELb0EEvPKcS1_S1_S1_S1_PKiPfP15HIP_vector_typeIfLj2EEffffjfiS5_IjLj3EEiiiiiiiiiiiliiliiiiil.has_dyn_sized_stack, 0
	.set _ZL15flash_attn_tileILi112ELi112ELi2ELi2ELb0EEvPKcS1_S1_S1_S1_PKiPfP15HIP_vector_typeIfLj2EEffffjfiS5_IjLj3EEiiiiiiiiiiiliiliiiiil.has_recursion, 0
	.set _ZL15flash_attn_tileILi112ELi112ELi2ELi2ELb0EEvPKcS1_S1_S1_S1_PKiPfP15HIP_vector_typeIfLj2EEffffjfiS5_IjLj3EEiiiiiiiiiiiliiliiiiil.has_indirect_call, 0
	.section	.AMDGPU.csdata,"",@progbits
; Kernel info:
; codeLenInByte = 5456
; TotalNumSgprs: 53
; NumVgprs: 99
; ScratchSize: 0
; MemoryBound: 0
; FloatMode: 240
; IeeeMode: 1
; LDSByteSize: 5312 bytes/workgroup (compile time only)
; SGPRBlocks: 12
; VGPRBlocks: 24
; NumSGPRsForWavesPerEU: 97
; NumVGPRsForWavesPerEU: 99
; Occupancy: 2
; WaveLimiterHint : 1
; COMPUTE_PGM_RSRC2:SCRATCH_EN: 0
; COMPUTE_PGM_RSRC2:USER_SGPR: 6
; COMPUTE_PGM_RSRC2:TRAP_HANDLER: 0
; COMPUTE_PGM_RSRC2:TGID_X_EN: 1
; COMPUTE_PGM_RSRC2:TGID_Y_EN: 1
; COMPUTE_PGM_RSRC2:TGID_Z_EN: 1
; COMPUTE_PGM_RSRC2:TIDIG_COMP_CNT: 1
	.section	.text._ZL33flash_attn_stream_k_fixup_uniformILi112ELi2ELi2EEvPfPK15HIP_vector_typeIfLj2EEiiiiiiS1_IjLj3EES5_S5_,"axG",@progbits,_ZL33flash_attn_stream_k_fixup_uniformILi112ELi2ELi2EEvPfPK15HIP_vector_typeIfLj2EEiiiiiiS1_IjLj3EES5_S5_,comdat
	.globl	_ZL33flash_attn_stream_k_fixup_uniformILi112ELi2ELi2EEvPfPK15HIP_vector_typeIfLj2EEiiiiiiS1_IjLj3EES5_S5_ ; -- Begin function _ZL33flash_attn_stream_k_fixup_uniformILi112ELi2ELi2EEvPfPK15HIP_vector_typeIfLj2EEiiiiiiS1_IjLj3EES5_S5_
	.p2align	8
	.type	_ZL33flash_attn_stream_k_fixup_uniformILi112ELi2ELi2EEvPfPK15HIP_vector_typeIfLj2EEiiiiiiS1_IjLj3EES5_S5_,@function
_ZL33flash_attn_stream_k_fixup_uniformILi112ELi2ELi2EEvPfPK15HIP_vector_typeIfLj2EEiiiiiiS1_IjLj3EES5_S5_: ; @_ZL33flash_attn_stream_k_fixup_uniformILi112ELi2ELi2EEvPfPK15HIP_vector_typeIfLj2EEiiiiiiS1_IjLj3EES5_S5_
; %bb.0:
	s_load_dwordx8 s[12:19], s[4:5], 0x1c
	s_load_dwordx2 s[10:11], s[4:5], 0x10
	s_load_dwordx4 s[0:3], s[4:5], 0x3c
	s_waitcnt lgkmcnt(0)
	s_mul_hi_u32 s9, s15, s6
	s_add_i32 s9, s6, s9
	s_lshr_b32 s9, s9, s16
	s_mul_i32 s15, s9, s17
	s_sub_i32 s16, s6, s15
	s_mul_hi_u32 s15, s16, s18
	s_add_i32 s15, s16, s15
	s_lshr_b32 s15, s15, s19
	s_mul_i32 s0, s15, s0
	s_sub_i32 s0, s16, s0
	;; [unrolled: 5-line block ×3, first 2 shown]
	s_lshl_b32 s0, s16, 1
	s_lshl_b32 s17, s1, 1
	s_add_i32 s0, s0, s7
	s_cmp_lt_i32 s0, s10
	s_cselect_b64 s[0:1], -1, 0
	s_add_i32 s17, s17, s8
	s_cmp_lt_i32 s17, s13
	s_cselect_b64 s[2:3], -1, 0
	s_and_b64 s[0:1], s[0:1], s[2:3]
	s_andn2_b64 vcc, exec, s[0:1]
	s_cbranch_vccnz .LBB47_6
; %bb.1:
	s_load_dwordx4 s[0:3], s[4:5], 0x0
	s_mul_i32 s4, s9, s10
	s_mul_i32 s15, s15, s13
	s_add_i32 s4, s4, s7
	s_mul_i32 s4, s4, s11
	s_add_i32 s9, s17, s15
	;; [unrolled: 2-line block ×3, first 2 shown]
	s_mulk_i32 s5, 0xe0
	s_mulk_i32 s4, 0x70
	s_add_i32 s4, s4, s5
	v_add_u32_e32 v1, s4, v0
	v_ashrrev_i32_e32 v2, 31, v1
	v_lshlrev_b64 v[1:2], 2, v[1:2]
	s_waitcnt lgkmcnt(0)
	v_mov_b32_e32 v3, s1
	v_add_co_u32_e32 v1, vcc, s0, v1
	v_addc_co_u32_e32 v2, vcc, v3, v2, vcc
	global_load_dword v8, v[1:2], off
	s_mul_i32 s9, s14, s6
	s_lshl_b32 s4, s7, 1
	s_add_i32 s11, s9, s14
	s_add_i32 s0, s4, s8
	s_lshl_b32 s1, s11, 2
	s_add_i32 s0, s0, s1
	s_add_i32 s0, s0, -4
	s_ashr_i32 s1, s0, 31
	s_lshl_b64 s[0:1], s[0:1], 3
	s_add_u32 s0, s2, s0
	s_addc_u32 s1, s3, s1
	s_load_dword s5, s[0:1], 0x4
	s_add_i32 s10, s11, -2
	s_cmp_lt_i32 s10, s9
	s_cbranch_scc1 .LBB47_4
; %bb.2:
	s_lshl_b32 s16, s12, 4
	s_ashr_i32 s17, s16, 31
	s_lshl_b64 s[16:17], s[16:17], 2
	s_add_u32 s10, s2, s16
	s_addc_u32 s13, s3, s17
	s_add_i32 s6, s6, 1
	s_load_dword s0, s[0:1], 0x0
	s_mul_i32 s1, s14, s6
	s_lshl_b32 s6, s1, 2
	s_add_i32 s6, s8, s6
	s_lshl_b32 s12, s12, 2
	s_add_i32 s6, s6, s12
	s_add_i32 s4, s6, s4
	s_mulk_i32 s7, 0xe0
	s_mul_i32 s6, s8, 0x70
	s_mulk_i32 s1, 0x1c0
	s_add_i32 s6, s6, s7
	s_add_i32 s6, s6, s1
	v_add_u32_e32 v0, s6, v0
	s_add_i32 s11, s11, -1
	s_add_i32 s4, s4, -8
	v_add_u32_e32 v3, 0xfffffc80, v0
	s_waitcnt lgkmcnt(0)
	v_mov_b32_e32 v7, s5
	v_mov_b32_e32 v6, s0
	;; [unrolled: 1-line block ×3, first 2 shown]
	s_mov_b32 s6, 0x3fb8aa3b
	s_mov_b32 s7, 0xc2ce8ed0
	;; [unrolled: 1-line block ×3, first 2 shown]
	v_mov_b32_e32 v5, 0x7f800000
	s_mov_b32 s12, 0xc1a00000
.LBB47_3:                               ; =>This Inner Loop Header: Depth=1
	v_ashrrev_i32_e32 v4, 31, v3
	v_lshlrev_b64 v[9:10], 2, v[3:4]
	s_ashr_i32 s5, s4, 31
	v_add_co_u32_e32 v9, vcc, s10, v9
	v_addc_co_u32_e32 v10, vcc, v0, v10, vcc
	global_load_dword v4, v[9:10], off
	s_lshl_b64 s[0:1], s[4:5], 3
	s_add_u32 s0, s2, s0
	s_addc_u32 s1, s3, s1
	s_load_dwordx2 s[14:15], s[0:1], 0x0
	s_waitcnt vmcnt(1)
	v_mov_b32_e32 v9, v8
	v_max_f32_e32 v8, v6, v6
	v_mov_b32_e32 v10, v7
	s_add_i32 s11, s11, -1
	s_waitcnt lgkmcnt(0)
	v_max_f32_e64 v7, s14, s14
	v_max_f32_e32 v7, v8, v7
	v_sub_f32_e32 v11, s14, v7
	v_sub_f32_e32 v8, v6, v7
	v_mul_f32_e32 v12, 0x3fb8aa3b, v11
	v_mov_b32_e32 v6, v7
	v_mul_f32_e32 v7, 0x3fb8aa3b, v8
	v_fma_f32 v15, v11, s6, -v12
	v_rndne_f32_e32 v16, v12
	v_fma_f32 v13, v8, s6, -v7
	v_rndne_f32_e32 v14, v7
	v_fmac_f32_e32 v15, 0x32a5705f, v11
	v_sub_f32_e32 v12, v12, v16
	v_fmac_f32_e32 v13, 0x32a5705f, v8
	v_sub_f32_e32 v7, v7, v14
	v_add_f32_e32 v12, v12, v15
	v_cvt_i32_f32_e32 v16, v16
	v_add_f32_e32 v7, v7, v13
	v_exp_f32_e32 v12, v12
	v_cvt_i32_f32_e32 v14, v14
	v_exp_f32_e32 v7, v7
	v_cmp_ngt_f32_e32 vcc, s7, v11
	v_ldexp_f32 v12, v12, v16
	v_cmp_ngt_f32_e64 s[0:1], s7, v8
	v_ldexp_f32 v7, v7, v14
	v_cndmask_b32_e32 v12, 0, v12, vcc
	v_cmp_nlt_f32_e32 vcc, s8, v11
	v_cndmask_b32_e64 v7, 0, v7, s[0:1]
	v_cmp_nlt_f32_e64 s[0:1], s8, v8
	v_cndmask_b32_e32 v12, v5, v12, vcc
	v_cmp_le_f32_e32 vcc, s12, v11
	v_cndmask_b32_e64 v7, v5, v7, s[0:1]
	v_cmp_le_f32_e64 s[0:1], s12, v8
	v_cndmask_b32_e32 v8, 0, v12, vcc
	s_add_i32 s4, s4, -4
	v_cndmask_b32_e64 v11, 0, v7, s[0:1]
	v_mul_f32_e32 v7, s15, v8
	v_add_u32_e32 v3, 0xfffffe40, v3
	s_cmp_le_i32 s11, s9
	v_fmac_f32_e32 v7, v10, v11
	s_waitcnt vmcnt(0)
	v_mul_f32_e32 v8, v4, v8
	v_fmac_f32_e32 v8, v9, v11
	s_cbranch_scc0 .LBB47_3
	s_branch .LBB47_5
.LBB47_4:
	s_waitcnt lgkmcnt(0)
	v_mov_b32_e32 v7, s5
.LBB47_5:
	s_waitcnt vmcnt(0)
	v_div_scale_f32 v0, s[0:1], v7, v7, v8
	v_div_scale_f32 v3, vcc, v8, v7, v8
	v_rcp_f32_e32 v4, v0
	v_fma_f32 v5, -v0, v4, 1.0
	v_fmac_f32_e32 v4, v5, v4
	v_mul_f32_e32 v5, v3, v4
	v_fma_f32 v6, -v0, v5, v3
	v_fmac_f32_e32 v5, v6, v4
	v_fma_f32 v0, -v0, v5, v3
	v_div_fmas_f32 v0, v0, v4, v5
	v_div_fixup_f32 v0, v0, v7, v8
	global_store_dword v[1:2], v0, off
.LBB47_6:
	s_endpgm
	.section	.rodata,"a",@progbits
	.p2align	6, 0x0
	.amdhsa_kernel _ZL33flash_attn_stream_k_fixup_uniformILi112ELi2ELi2EEvPfPK15HIP_vector_typeIfLj2EEiiiiiiS1_IjLj3EES5_S5_
		.amdhsa_group_segment_fixed_size 0
		.amdhsa_private_segment_fixed_size 0
		.amdhsa_kernarg_size 76
		.amdhsa_user_sgpr_count 6
		.amdhsa_user_sgpr_private_segment_buffer 1
		.amdhsa_user_sgpr_dispatch_ptr 0
		.amdhsa_user_sgpr_queue_ptr 0
		.amdhsa_user_sgpr_kernarg_segment_ptr 1
		.amdhsa_user_sgpr_dispatch_id 0
		.amdhsa_user_sgpr_flat_scratch_init 0
		.amdhsa_user_sgpr_private_segment_size 0
		.amdhsa_uses_dynamic_stack 0
		.amdhsa_system_sgpr_private_segment_wavefront_offset 0
		.amdhsa_system_sgpr_workgroup_id_x 1
		.amdhsa_system_sgpr_workgroup_id_y 1
		.amdhsa_system_sgpr_workgroup_id_z 1
		.amdhsa_system_sgpr_workgroup_info 0
		.amdhsa_system_vgpr_workitem_id 0
		.amdhsa_next_free_vgpr 17
		.amdhsa_next_free_sgpr 20
		.amdhsa_reserve_vcc 1
		.amdhsa_reserve_flat_scratch 0
		.amdhsa_float_round_mode_32 0
		.amdhsa_float_round_mode_16_64 0
		.amdhsa_float_denorm_mode_32 3
		.amdhsa_float_denorm_mode_16_64 3
		.amdhsa_dx10_clamp 1
		.amdhsa_ieee_mode 1
		.amdhsa_fp16_overflow 0
		.amdhsa_exception_fp_ieee_invalid_op 0
		.amdhsa_exception_fp_denorm_src 0
		.amdhsa_exception_fp_ieee_div_zero 0
		.amdhsa_exception_fp_ieee_overflow 0
		.amdhsa_exception_fp_ieee_underflow 0
		.amdhsa_exception_fp_ieee_inexact 0
		.amdhsa_exception_int_div_zero 0
	.end_amdhsa_kernel
	.section	.text._ZL33flash_attn_stream_k_fixup_uniformILi112ELi2ELi2EEvPfPK15HIP_vector_typeIfLj2EEiiiiiiS1_IjLj3EES5_S5_,"axG",@progbits,_ZL33flash_attn_stream_k_fixup_uniformILi112ELi2ELi2EEvPfPK15HIP_vector_typeIfLj2EEiiiiiiS1_IjLj3EES5_S5_,comdat
.Lfunc_end47:
	.size	_ZL33flash_attn_stream_k_fixup_uniformILi112ELi2ELi2EEvPfPK15HIP_vector_typeIfLj2EEiiiiiiS1_IjLj3EES5_S5_, .Lfunc_end47-_ZL33flash_attn_stream_k_fixup_uniformILi112ELi2ELi2EEvPfPK15HIP_vector_typeIfLj2EEiiiiiiS1_IjLj3EES5_S5_
                                        ; -- End function
	.set _ZL33flash_attn_stream_k_fixup_uniformILi112ELi2ELi2EEvPfPK15HIP_vector_typeIfLj2EEiiiiiiS1_IjLj3EES5_S5_.num_vgpr, 17
	.set _ZL33flash_attn_stream_k_fixup_uniformILi112ELi2ELi2EEvPfPK15HIP_vector_typeIfLj2EEiiiiiiS1_IjLj3EES5_S5_.num_agpr, 0
	.set _ZL33flash_attn_stream_k_fixup_uniformILi112ELi2ELi2EEvPfPK15HIP_vector_typeIfLj2EEiiiiiiS1_IjLj3EES5_S5_.numbered_sgpr, 20
	.set _ZL33flash_attn_stream_k_fixup_uniformILi112ELi2ELi2EEvPfPK15HIP_vector_typeIfLj2EEiiiiiiS1_IjLj3EES5_S5_.num_named_barrier, 0
	.set _ZL33flash_attn_stream_k_fixup_uniformILi112ELi2ELi2EEvPfPK15HIP_vector_typeIfLj2EEiiiiiiS1_IjLj3EES5_S5_.private_seg_size, 0
	.set _ZL33flash_attn_stream_k_fixup_uniformILi112ELi2ELi2EEvPfPK15HIP_vector_typeIfLj2EEiiiiiiS1_IjLj3EES5_S5_.uses_vcc, 1
	.set _ZL33flash_attn_stream_k_fixup_uniformILi112ELi2ELi2EEvPfPK15HIP_vector_typeIfLj2EEiiiiiiS1_IjLj3EES5_S5_.uses_flat_scratch, 0
	.set _ZL33flash_attn_stream_k_fixup_uniformILi112ELi2ELi2EEvPfPK15HIP_vector_typeIfLj2EEiiiiiiS1_IjLj3EES5_S5_.has_dyn_sized_stack, 0
	.set _ZL33flash_attn_stream_k_fixup_uniformILi112ELi2ELi2EEvPfPK15HIP_vector_typeIfLj2EEiiiiiiS1_IjLj3EES5_S5_.has_recursion, 0
	.set _ZL33flash_attn_stream_k_fixup_uniformILi112ELi2ELi2EEvPfPK15HIP_vector_typeIfLj2EEiiiiiiS1_IjLj3EES5_S5_.has_indirect_call, 0
	.section	.AMDGPU.csdata,"",@progbits
; Kernel info:
; codeLenInByte = 856
; TotalNumSgprs: 24
; NumVgprs: 17
; ScratchSize: 0
; MemoryBound: 0
; FloatMode: 240
; IeeeMode: 1
; LDSByteSize: 0 bytes/workgroup (compile time only)
; SGPRBlocks: 2
; VGPRBlocks: 4
; NumSGPRsForWavesPerEU: 24
; NumVGPRsForWavesPerEU: 17
; Occupancy: 10
; WaveLimiterHint : 0
; COMPUTE_PGM_RSRC2:SCRATCH_EN: 0
; COMPUTE_PGM_RSRC2:USER_SGPR: 6
; COMPUTE_PGM_RSRC2:TRAP_HANDLER: 0
; COMPUTE_PGM_RSRC2:TGID_X_EN: 1
; COMPUTE_PGM_RSRC2:TGID_Y_EN: 1
; COMPUTE_PGM_RSRC2:TGID_Z_EN: 1
; COMPUTE_PGM_RSRC2:TIDIG_COMP_CNT: 0
	.section	.text._ZL33flash_attn_stream_k_fixup_generalILi112ELi2ELi2EEvPfPK15HIP_vector_typeIfLj2EEiiiiS1_IjLj3EES5_S5_S5_,"axG",@progbits,_ZL33flash_attn_stream_k_fixup_generalILi112ELi2ELi2EEvPfPK15HIP_vector_typeIfLj2EEiiiiS1_IjLj3EES5_S5_S5_,comdat
	.globl	_ZL33flash_attn_stream_k_fixup_generalILi112ELi2ELi2EEvPfPK15HIP_vector_typeIfLj2EEiiiiS1_IjLj3EES5_S5_S5_ ; -- Begin function _ZL33flash_attn_stream_k_fixup_generalILi112ELi2ELi2EEvPfPK15HIP_vector_typeIfLj2EEiiiiS1_IjLj3EES5_S5_S5_
	.p2align	8
	.type	_ZL33flash_attn_stream_k_fixup_generalILi112ELi2ELi2EEvPfPK15HIP_vector_typeIfLj2EEiiiiS1_IjLj3EES5_S5_S5_,@function
_ZL33flash_attn_stream_k_fixup_generalILi112ELi2ELi2EEvPfPK15HIP_vector_typeIfLj2EEiiiiS1_IjLj3EES5_S5_S5_: ; @_ZL33flash_attn_stream_k_fixup_generalILi112ELi2ELi2EEvPfPK15HIP_vector_typeIfLj2EEiiiiS1_IjLj3EES5_S5_S5_
; %bb.0:
	s_load_dwordx4 s[0:3], s[4:5], 0x10
	s_load_dword s22, s[4:5], 0x50
	s_mov_b32 s12, 0
	s_waitcnt lgkmcnt(0)
	s_mul_hi_i32 s13, s3, s6
	s_cmp_lg_u64 s[12:13], 0
	s_mul_i32 s9, s3, s6
	s_cbranch_scc0 .LBB48_20
; %bb.1:
	s_add_u32 s10, s22, 0
	s_addc_u32 s11, 0, 0
	s_xor_b64 s[10:11], s[10:11], 0
	v_cvt_f32_u32_e32 v1, s10
	v_cvt_f32_u32_e32 v2, s11
	s_sub_u32 s12, 0, s10
	s_subb_u32 s18, 0, s11
	v_madmk_f32 v1, v2, 0x4f800000, v1
	v_rcp_f32_e32 v1, v1
	v_mul_f32_e32 v1, 0x5f7ffffc, v1
	v_mul_f32_e32 v2, 0x2f800000, v1
	v_trunc_f32_e32 v2, v2
	v_madmk_f32 v1, v2, 0xcf800000, v1
	v_cvt_u32_f32_e32 v2, v2
	v_cvt_u32_f32_e32 v1, v1
	v_readfirstlane_b32 s19, v2
	v_readfirstlane_b32 s14, v1
	s_mul_i32 s15, s12, s19
	s_mul_hi_u32 s21, s12, s14
	s_mul_i32 s20, s18, s14
	s_add_i32 s15, s21, s15
	s_add_i32 s15, s15, s20
	s_mul_i32 s23, s12, s14
	s_mul_i32 s21, s14, s15
	s_mul_hi_u32 s24, s14, s23
	s_mul_hi_u32 s20, s14, s15
	s_add_u32 s21, s24, s21
	s_addc_u32 s20, 0, s20
	s_mul_hi_u32 s25, s19, s23
	s_mul_i32 s23, s19, s23
	s_add_u32 s21, s21, s23
	s_mul_hi_u32 s24, s19, s15
	s_addc_u32 s20, s20, s25
	s_addc_u32 s21, s24, 0
	s_mul_i32 s15, s19, s15
	s_add_u32 s15, s20, s15
	s_addc_u32 s20, 0, s21
	s_add_u32 s21, s14, s15
	s_cselect_b64 s[14:15], -1, 0
	s_cmp_lg_u64 s[14:15], 0
	s_addc_u32 s19, s19, s20
	s_mul_i32 s14, s12, s19
	s_mul_hi_u32 s15, s12, s21
	s_add_i32 s14, s15, s14
	s_mul_i32 s18, s18, s21
	s_add_i32 s14, s14, s18
	s_mul_i32 s12, s12, s21
	s_mul_hi_u32 s18, s19, s12
	s_mul_i32 s20, s19, s12
	s_mul_i32 s24, s21, s14
	s_mul_hi_u32 s12, s21, s12
	s_mul_hi_u32 s23, s21, s14
	s_add_u32 s12, s12, s24
	s_addc_u32 s23, 0, s23
	s_add_u32 s12, s12, s20
	s_mul_hi_u32 s15, s19, s14
	s_addc_u32 s12, s23, s18
	s_addc_u32 s15, s15, 0
	s_mul_i32 s14, s19, s14
	s_add_u32 s12, s12, s14
	s_addc_u32 s18, 0, s15
	s_add_u32 s20, s21, s12
	s_cselect_b64 s[14:15], -1, 0
	s_cmp_lg_u64 s[14:15], 0
	s_addc_u32 s18, s19, s18
	s_ashr_i32 s14, s13, 31
	s_add_u32 s12, s9, s14
	s_mov_b32 s15, s14
	s_addc_u32 s13, s13, s14
	s_xor_b64 s[12:13], s[12:13], s[14:15]
	s_mul_i32 s21, s12, s18
	s_mul_hi_u32 s23, s12, s20
	s_mul_hi_u32 s19, s12, s18
	s_add_u32 s21, s23, s21
	s_addc_u32 s19, 0, s19
	s_mul_hi_u32 s24, s13, s20
	s_mul_i32 s20, s13, s20
	s_add_u32 s20, s21, s20
	s_mul_hi_u32 s23, s13, s18
	s_addc_u32 s19, s19, s24
	s_addc_u32 s20, s23, 0
	s_mul_i32 s18, s13, s18
	s_add_u32 s23, s19, s18
	s_addc_u32 s24, 0, s20
	s_mul_i32 s18, s10, s24
	s_mul_hi_u32 s19, s10, s23
	s_add_i32 s18, s19, s18
	s_mul_i32 s19, s11, s23
	s_add_i32 s25, s18, s19
	s_sub_i32 s20, s13, s25
	s_mul_i32 s18, s10, s23
	s_sub_u32 s12, s12, s18
	s_cselect_b64 s[18:19], -1, 0
	s_cmp_lg_u64 s[18:19], 0
	s_subb_u32 s26, s20, s11
	s_sub_u32 s27, s12, s10
	s_cselect_b64 s[20:21], -1, 0
	s_cmp_lg_u64 s[20:21], 0
	s_subb_u32 s20, s26, 0
	s_cmp_ge_u32 s20, s11
	s_cselect_b32 s21, -1, 0
	s_cmp_ge_u32 s27, s10
	s_cselect_b32 s26, -1, 0
	s_cmp_eq_u32 s20, s11
	s_cselect_b32 s20, s26, s21
	s_add_u32 s21, s23, 1
	s_addc_u32 s26, s24, 0
	s_add_u32 s27, s23, 2
	s_addc_u32 s28, s24, 0
	s_cmp_lg_u32 s20, 0
	s_cselect_b32 s20, s27, s21
	s_cselect_b32 s21, s28, s26
	s_cmp_lg_u64 s[18:19], 0
	s_subb_u32 s13, s13, s25
	s_cmp_ge_u32 s13, s11
	s_cselect_b32 s18, -1, 0
	s_cmp_ge_u32 s12, s10
	s_cselect_b32 s10, -1, 0
	s_cmp_eq_u32 s13, s11
	s_cselect_b32 s10, s10, s18
	s_cmp_lg_u32 s10, 0
	s_cselect_b32 s11, s21, s24
	s_cselect_b32 s10, s20, s23
	s_xor_b64 s[12:13], s[14:15], 0
	s_xor_b64 s[10:11], s[10:11], s[12:13]
	s_sub_u32 s10, s10, s12
	s_load_dwordx4 s[12:15], s[4:5], 0x44
	s_cbranch_execnz .LBB48_3
.LBB48_2:
	v_cvt_f32_u32_e32 v1, s22
	s_sub_i32 s10, 0, s22
	v_rcp_iflag_f32_e32 v1, v1
	v_mul_f32_e32 v1, 0x4f7ffffe, v1
	v_cvt_u32_f32_e32 v1, v1
	v_readfirstlane_b32 s11, v1
	s_mul_i32 s10, s10, s11
	s_mul_hi_u32 s10, s11, s10
	s_add_i32 s11, s11, s10
	s_mul_hi_u32 s10, s9, s11
	s_waitcnt lgkmcnt(0)
	s_mul_i32 s15, s10, s22
	s_sub_i32 s9, s9, s15
	s_add_i32 s11, s10, 1
	s_sub_i32 s15, s9, s22
	s_cmp_ge_u32 s9, s22
	s_cselect_b32 s10, s11, s10
	s_cselect_b32 s9, s15, s9
	s_add_i32 s11, s10, 1
	s_cmp_ge_u32 s9, s22
	s_cselect_b32 s10, s11, s10
.LBB48_3:
	s_add_i32 s9, s6, 1
	s_mul_hi_i32 s21, s3, s9
	s_mov_b32 s20, 0
	s_cmp_lg_u64 s[20:21], 0
	s_mul_i32 s9, s3, s9
	s_cbranch_scc0 .LBB48_21
; %bb.4:
	s_add_u32 s16, s22, 0
	s_addc_u32 s17, 0, 0
	s_xor_b64 s[18:19], s[16:17], 0
	v_cvt_f32_u32_e32 v1, s18
	v_cvt_f32_u32_e32 v2, s19
	s_sub_u32 s11, 0, s18
	s_waitcnt lgkmcnt(0)
	s_subb_u32 s15, 0, s19
	v_madmk_f32 v1, v2, 0x4f800000, v1
	v_rcp_f32_e32 v1, v1
	v_mul_f32_e32 v1, 0x5f7ffffc, v1
	v_mul_f32_e32 v2, 0x2f800000, v1
	v_trunc_f32_e32 v2, v2
	v_madmk_f32 v1, v2, 0xcf800000, v1
	v_cvt_u32_f32_e32 v2, v2
	v_cvt_u32_f32_e32 v1, v1
	v_readfirstlane_b32 s20, v2
	v_readfirstlane_b32 s23, v1
	s_mul_i32 s24, s11, s20
	s_mul_hi_u32 s26, s11, s23
	s_mul_i32 s25, s15, s23
	s_add_i32 s24, s26, s24
	s_add_i32 s24, s24, s25
	s_mul_i32 s27, s11, s23
	s_mul_i32 s26, s23, s24
	s_mul_hi_u32 s28, s23, s27
	s_mul_hi_u32 s25, s23, s24
	s_add_u32 s26, s28, s26
	s_addc_u32 s25, 0, s25
	s_mul_hi_u32 s29, s20, s27
	s_mul_i32 s27, s20, s27
	s_add_u32 s26, s26, s27
	s_mul_hi_u32 s28, s20, s24
	s_addc_u32 s25, s25, s29
	s_addc_u32 s26, s28, 0
	s_mul_i32 s24, s20, s24
	s_add_u32 s24, s25, s24
	s_addc_u32 s26, 0, s26
	s_add_u32 s23, s23, s24
	s_cselect_b64 s[24:25], -1, 0
	s_cmp_lg_u64 s[24:25], 0
	s_addc_u32 s20, s20, s26
	s_mul_i32 s24, s11, s20
	s_mul_hi_u32 s25, s11, s23
	s_add_i32 s24, s25, s24
	s_mul_i32 s15, s15, s23
	s_add_i32 s24, s24, s15
	s_mul_i32 s11, s11, s23
	s_mul_hi_u32 s25, s20, s11
	s_mul_i32 s26, s20, s11
	s_mul_i32 s28, s23, s24
	s_mul_hi_u32 s11, s23, s11
	s_mul_hi_u32 s27, s23, s24
	s_add_u32 s11, s11, s28
	s_addc_u32 s27, 0, s27
	s_add_u32 s11, s11, s26
	s_mul_hi_u32 s15, s20, s24
	s_addc_u32 s11, s27, s25
	s_addc_u32 s15, s15, 0
	s_mul_i32 s24, s20, s24
	s_add_u32 s11, s11, s24
	s_addc_u32 s15, 0, s15
	s_add_u32 s11, s23, s11
	s_cselect_b64 s[24:25], -1, 0
	s_cmp_lg_u64 s[24:25], 0
	s_addc_u32 s15, s20, s15
	s_ashr_i32 s24, s21, 31
	s_add_u32 s20, s9, s24
	s_mov_b32 s25, s24
	s_addc_u32 s21, s21, s24
	s_xor_b64 s[20:21], s[20:21], s[24:25]
	s_mul_i32 s26, s20, s15
	s_mul_hi_u32 s27, s20, s11
	s_mul_hi_u32 s23, s20, s15
	s_add_u32 s26, s27, s26
	s_addc_u32 s23, 0, s23
	s_mul_hi_u32 s28, s21, s11
	s_mul_i32 s11, s21, s11
	s_add_u32 s11, s26, s11
	s_mul_hi_u32 s27, s21, s15
	s_addc_u32 s11, s23, s28
	s_addc_u32 s23, s27, 0
	s_mul_i32 s15, s21, s15
	s_add_u32 s11, s11, s15
	s_addc_u32 s15, 0, s23
	s_mul_i32 s23, s18, s15
	s_mul_hi_u32 s26, s18, s11
	s_add_i32 s23, s26, s23
	s_mul_i32 s26, s19, s11
	s_add_i32 s23, s23, s26
	s_sub_i32 s28, s21, s23
	s_mul_i32 s26, s18, s11
	s_sub_u32 s20, s20, s26
	s_cselect_b64 s[26:27], -1, 0
	s_cmp_lg_u64 s[26:27], 0
	s_subb_u32 s30, s28, s19
	s_sub_u32 s31, s20, s18
	s_cselect_b64 s[28:29], -1, 0
	s_cmp_lg_u64 s[28:29], 0
	s_subb_u32 s28, s30, 0
	s_cmp_ge_u32 s28, s19
	s_cselect_b32 s29, -1, 0
	s_cmp_ge_u32 s31, s18
	s_cselect_b32 s30, -1, 0
	s_cmp_eq_u32 s28, s19
	s_cselect_b32 s28, s30, s29
	s_add_u32 s29, s11, 1
	s_addc_u32 s30, s15, 0
	s_add_u32 s31, s11, 2
	s_addc_u32 s33, s15, 0
	s_cmp_lg_u32 s28, 0
	s_cselect_b32 s28, s31, s29
	s_cselect_b32 s29, s33, s30
	s_cmp_lg_u64 s[26:27], 0
	s_subb_u32 s21, s21, s23
	s_cmp_ge_u32 s21, s19
	s_cselect_b32 s23, -1, 0
	s_cmp_ge_u32 s20, s18
	s_cselect_b32 s18, -1, 0
	s_cmp_eq_u32 s21, s19
	s_cselect_b32 s18, s18, s23
	s_cmp_lg_u32 s18, 0
	s_cselect_b32 s19, s29, s15
	s_cselect_b32 s18, s28, s11
	s_xor_b64 s[20:21], s[24:25], 0
	s_xor_b64 s[18:19], s[18:19], s[20:21]
	s_sub_u32 s18, s18, s20
	s_cbranch_execnz .LBB48_6
.LBB48_5:
	v_cvt_f32_u32_e32 v1, s22
	s_sub_i32 s11, 0, s22
	v_rcp_iflag_f32_e32 v1, v1
	v_mul_f32_e32 v1, 0x4f7ffffe, v1
	v_cvt_u32_f32_e32 v1, v1
	s_waitcnt lgkmcnt(0)
	v_readfirstlane_b32 s15, v1
	s_mul_i32 s11, s11, s15
	s_mul_hi_u32 s11, s15, s11
	s_add_i32 s15, s15, s11
	s_mul_hi_u32 s11, s9, s15
	s_mul_i32 s16, s11, s22
	s_sub_i32 s9, s9, s16
	s_add_i32 s15, s11, 1
	s_sub_i32 s16, s9, s22
	s_cmp_ge_u32 s9, s22
	s_cselect_b32 s11, s15, s11
	s_cselect_b32 s9, s16, s9
	s_add_i32 s15, s11, 1
	s_cmp_ge_u32 s9, s22
	s_cselect_b32 s18, s15, s11
.LBB48_6:
	s_cmp_eq_u32 s10, s18
	s_waitcnt lgkmcnt(0)
	s_mul_hi_u32 s9, s10, s12
	s_cselect_b64 s[16:17], -1, 0
	s_add_i32 s9, s9, s10
	s_lshr_b32 s11, s9, s13
	s_mul_i32 s9, s11, s14
	s_cmp_eq_u32 s9, s10
	s_mul_hi_u32 s9, s18, s12
	s_cselect_b64 s[20:21], -1, 0
	s_add_i32 s9, s9, s18
	s_lshr_b32 s9, s9, s13
	s_cmp_eq_u32 s11, s9
	s_mul_i32 s9, s9, s14
	s_cselect_b64 s[24:25], -1, 0
	s_cmp_lg_u32 s9, s18
	s_cselect_b64 s[18:19], -1, 0
	s_and_b64 s[18:19], s[24:25], s[18:19]
	s_or_b64 s[16:17], s[16:17], s[20:21]
	s_or_b64 s[16:17], s[16:17], s[18:19]
	s_and_b64 vcc, exec, s[16:17]
	s_cbranch_vccnz .LBB48_23
; %bb.7:
	s_load_dwordx8 s[24:31], s[4:5], 0x20
	s_load_dword s15, s[4:5], 0x40
	s_waitcnt lgkmcnt(0)
	s_mul_hi_u32 s9, s10, s24
	s_add_i32 s9, s9, s10
	s_lshr_b32 s9, s9, s25
	s_mul_i32 s16, s9, s26
	s_sub_i32 s16, s10, s16
	s_mul_hi_u32 s17, s16, s27
	s_add_i32 s17, s16, s17
	s_lshr_b32 s23, s17, s28
	s_mul_i32 s17, s23, s29
	s_sub_i32 s16, s16, s17
	;; [unrolled: 5-line block ×3, first 2 shown]
	s_mul_hi_u32 s16, s15, s12
	s_add_i32 s15, s15, s16
	s_lshr_b32 s24, s15, s13
	s_lshl_b32 s15, s24, 1
	s_lshl_b32 s25, s17, 1
	s_add_i32 s15, s15, s7
	s_cmp_lt_i32 s15, s0
	s_cselect_b64 s[16:17], -1, 0
	s_add_i32 s25, s25, s8
	s_cmp_lt_i32 s25, s2
	s_cselect_b64 s[18:19], -1, 0
	s_and_b64 s[16:17], s[16:17], s[18:19]
	s_andn2_b64 vcc, exec, s[16:17]
	s_cbranch_vccnz .LBB48_23
; %bb.8:
	s_load_dwordx4 s[16:19], s[4:5], 0x0
	s_mov_b32 s4, 0
	s_lshl_b32 s15, s7, 1
	s_lshl_b32 s20, s22, 4
	s_mov_b32 s21, s4
	s_add_i32 s15, s15, s8
	s_lshl_b64 s[20:21], s[20:21], 2
	s_waitcnt lgkmcnt(0)
	s_add_u32 s20, s18, s20
	s_mul_i32 s0, s9, s0
	s_addc_u32 s21, s19, s21
	s_mul_i32 s23, s23, s2
	s_add_i32 s0, s0, s7
	s_mul_i32 s2, s1, s24
	s_mul_i32 s0, s0, s1
	s_add_i32 s1, s25, s23
	s_add_i32 s0, s1, s0
	s_mulk_i32 s2, 0xe0
	s_mulk_i32 s0, 0x70
	s_add_i32 s2, s2, s0
	v_add_u32_e32 v1, s2, v0
	v_ashrrev_i32_e32 v2, 31, v1
	v_lshlrev_b64 v[1:2], 2, v[1:2]
	v_mov_b32_e32 v3, s17
	v_add_co_u32_e32 v1, vcc, s16, v1
	v_addc_co_u32_e32 v2, vcc, v3, v2, vcc
	global_load_dword v3, v[1:2], off
	v_cvt_f32_u32_e32 v4, s22
	s_lshl_b32 s0, s6, 2
	s_add_i32 s0, s15, s0
	s_ashr_i32 s1, s0, 31
	s_lshl_b64 s[0:1], s[0:1], 3
	v_rcp_iflag_f32_e32 v4, v4
	s_add_u32 s0, s18, s0
	s_addc_u32 s1, s19, s1
	s_load_dwordx2 s[0:1], s[0:1], 0x0
	v_mul_f32_e32 v4, 0x4f7ffffe, v4
	v_cvt_u32_f32_e32 v4, v4
	s_mul_i32 s2, s15, 0x70
	s_add_i32 s24, s6, -1
	v_add_u32_e32 v0, s2, v0
	s_waitcnt lgkmcnt(0)
	v_mov_b32_e32 v6, s1
	v_mov_b32_e32 v7, s0
	s_mov_b32 s2, 0x3fb8aa3b
	s_mov_b32 s16, 0xc2ce8ed0
	;; [unrolled: 1-line block ×4, first 2 shown]
	v_mov_b32_e32 v5, 0x7f800000
	s_mul_hi_i32 s5, s24, s3
	s_cmp_lg_u64 s[4:5], 0
	s_mul_i32 s8, s24, s3
	s_cbranch_scc0 .LBB48_19
.LBB48_9:
	s_add_u32 s0, s22, 0
	s_addc_u32 s1, 0, 0
	s_xor_b64 s[0:1], s[0:1], 0
	v_cvt_f32_u32_e32 v8, s0
	v_cvt_f32_u32_e32 v9, s1
	s_sub_u32 s9, 0, s0
	s_subb_u32 s25, 0, s1
	v_mac_f32_e32 v8, 0x4f800000, v9
	v_rcp_f32_e32 v8, v8
	v_mul_f32_e32 v8, 0x5f7ffffc, v8
	v_mul_f32_e32 v9, 0x2f800000, v8
	v_trunc_f32_e32 v9, v9
	v_mac_f32_e32 v8, 0xcf800000, v9
	v_cvt_u32_f32_e32 v9, v9
	v_cvt_u32_f32_e32 v8, v8
	v_readfirstlane_b32 s26, v9
	v_readfirstlane_b32 s6, v8
	s_mul_i32 s7, s9, s26
	s_mul_hi_u32 s28, s9, s6
	s_mul_i32 s27, s25, s6
	s_add_i32 s7, s28, s7
	s_mul_i32 s29, s9, s6
	s_add_i32 s7, s7, s27
	s_mul_i32 s28, s6, s7
	s_mul_hi_u32 s30, s6, s29
	s_mul_hi_u32 s27, s6, s7
	s_add_u32 s28, s30, s28
	s_addc_u32 s27, 0, s27
	s_mul_hi_u32 s31, s26, s29
	s_mul_i32 s29, s26, s29
	s_add_u32 s28, s28, s29
	s_mul_hi_u32 s30, s26, s7
	s_addc_u32 s27, s27, s31
	s_addc_u32 s28, s30, 0
	s_mul_i32 s7, s26, s7
	s_add_u32 s7, s27, s7
	s_addc_u32 s27, 0, s28
	s_add_u32 s28, s6, s7
	s_cselect_b64 s[6:7], -1, 0
	s_cmp_lg_u64 s[6:7], 0
	s_addc_u32 s26, s26, s27
	s_mul_i32 s6, s9, s26
	s_mul_hi_u32 s7, s9, s28
	s_add_i32 s6, s7, s6
	s_mul_i32 s25, s25, s28
	s_add_i32 s6, s6, s25
	s_mul_i32 s9, s9, s28
	s_mul_hi_u32 s25, s26, s9
	s_mul_i32 s27, s26, s9
	s_mul_i32 s30, s28, s6
	s_mul_hi_u32 s9, s28, s9
	s_mul_hi_u32 s29, s28, s6
	s_add_u32 s9, s9, s30
	s_addc_u32 s29, 0, s29
	s_add_u32 s9, s9, s27
	s_mul_hi_u32 s7, s26, s6
	s_addc_u32 s9, s29, s25
	s_addc_u32 s7, s7, 0
	s_mul_i32 s6, s26, s6
	s_add_u32 s6, s9, s6
	s_addc_u32 s9, 0, s7
	s_add_u32 s25, s28, s6
	s_cselect_b64 s[6:7], -1, 0
	s_cmp_lg_u64 s[6:7], 0
	s_addc_u32 s9, s26, s9
	s_ashr_i32 s6, s5, 31
	s_add_u32 s26, s8, s6
	s_mov_b32 s7, s6
	s_addc_u32 s27, s5, s6
	s_xor_b64 s[26:27], s[26:27], s[6:7]
	s_mul_i32 s28, s26, s9
	s_mul_hi_u32 s29, s26, s25
	s_mul_hi_u32 s5, s26, s9
	s_add_u32 s28, s29, s28
	s_addc_u32 s5, 0, s5
	s_mul_hi_u32 s30, s27, s25
	s_mul_i32 s25, s27, s25
	s_add_u32 s25, s28, s25
	s_mul_hi_u32 s29, s27, s9
	s_addc_u32 s5, s5, s30
	s_addc_u32 s25, s29, 0
	s_mul_i32 s9, s27, s9
	s_add_u32 s5, s5, s9
	s_addc_u32 s9, 0, s25
	s_mul_i32 s25, s0, s9
	s_mul_hi_u32 s28, s0, s5
	s_add_i32 s25, s28, s25
	s_mul_i32 s28, s1, s5
	s_add_i32 s25, s25, s28
	s_sub_i32 s30, s27, s25
	s_mul_i32 s28, s0, s5
	s_sub_u32 s26, s26, s28
	s_cselect_b64 s[28:29], -1, 0
	s_cmp_lg_u64 s[28:29], 0
	s_subb_u32 s33, s30, s1
	s_sub_u32 s34, s26, s0
	s_cselect_b64 s[30:31], -1, 0
	s_cmp_lg_u64 s[30:31], 0
	s_subb_u32 s30, s33, 0
	s_cmp_ge_u32 s30, s1
	s_cselect_b32 s31, -1, 0
	s_cmp_ge_u32 s34, s0
	s_cselect_b32 s33, -1, 0
	s_cmp_eq_u32 s30, s1
	s_cselect_b32 s30, s33, s31
	s_add_u32 s31, s5, 1
	s_addc_u32 s33, s9, 0
	s_add_u32 s34, s5, 2
	s_addc_u32 s35, s9, 0
	s_cmp_lg_u32 s30, 0
	s_cselect_b32 s30, s34, s31
	s_cselect_b32 s31, s35, s33
	s_cmp_lg_u64 s[28:29], 0
	s_subb_u32 s25, s27, s25
	s_cmp_ge_u32 s25, s1
	s_cselect_b32 s27, -1, 0
	s_cmp_ge_u32 s26, s0
	s_cselect_b32 s0, -1, 0
	s_cmp_eq_u32 s25, s1
	s_cselect_b32 s0, s0, s27
	s_cmp_lg_u32 s0, 0
	s_cselect_b32 s1, s31, s9
	s_cselect_b32 s0, s30, s5
	s_xor_b64 s[6:7], s[6:7], 0
	s_xor_b64 s[0:1], s[0:1], s[6:7]
	s_sub_u32 s6, s0, s6
	s_cbranch_execnz .LBB48_11
.LBB48_10:
	s_sub_i32 s0, 0, s22
	v_readfirstlane_b32 s1, v4
	s_mul_i32 s0, s0, s1
	s_mul_hi_u32 s0, s1, s0
	s_add_i32 s1, s1, s0
	s_mul_hi_u32 s0, s8, s1
	s_mul_i32 s5, s0, s22
	s_sub_i32 s5, s8, s5
	s_add_i32 s1, s0, 1
	s_sub_i32 s6, s5, s22
	s_cmp_ge_u32 s5, s22
	s_cselect_b32 s0, s1, s0
	s_cselect_b32 s5, s6, s5
	s_add_i32 s1, s0, 1
	s_cmp_ge_u32 s5, s22
	s_cselect_b32 s6, s1, s0
.LBB48_11:
	s_cmp_lg_u32 s10, s6
	s_mov_b64 s[8:9], -1
                                        ; implicit-def: $sgpr0_sgpr1
                                        ; implicit-def: $vgpr10
                                        ; implicit-def: $vgpr8
                                        ; implicit-def: $vgpr9
                                        ; implicit-def: $sgpr5
                                        ; implicit-def: $sgpr7
	s_cbranch_scc1 .LBB48_14
; %bb.12:
	s_andn2_b64 vcc, exec, s[8:9]
	s_cbranch_vccz .LBB48_17
.LBB48_13:
	s_andn2_b64 vcc, exec, s[0:1]
	s_cbranch_vccnz .LBB48_18
	s_branch .LBB48_22
.LBB48_14:
	s_add_i32 s0, s24, s22
	s_lshl_b32 s0, s0, 2
	s_add_i32 s0, s0, s15
	s_mov_b32 s1, s4
	s_lshl_b64 s[0:1], s[0:1], 3
	s_add_u32 s8, s18, s0
	s_mul_hi_u32 s0, s6, s12
	s_addc_u32 s9, s19, s1
	s_add_i32 s0, s0, s6
	s_lshr_b32 s5, s0, s13
	s_mul_i32 s0, s5, s14
	s_cmp_eq_u32 s0, s6
	s_cselect_b64 s[0:1], -1, 0
	s_cmp_lt_u32 s5, s11
	s_cselect_b64 s[26:27], -1, 0
	s_or_b64 s[26:27], s[26:27], s[0:1]
	s_mov_b64 s[0:1], -1
	s_and_b64 vcc, exec, s[26:27]
	s_mov_b32 s5, s24
	s_mov_b32 s7, s10
	s_cbranch_vccnz .LBB48_16
; %bb.15:
	s_add_i32 s5, s24, -1
	s_mov_b64 s[0:1], 0
	s_mov_b32 s7, s6
.LBB48_16:
	s_mul_i32 s6, s24, 0x1c0
	v_add_u32_e32 v8, s6, v0
	v_ashrrev_i32_e32 v9, 31, v8
	v_lshlrev_b64 v[8:9], 2, v[8:9]
	v_mov_b32_e32 v10, s21
	v_add_co_u32_e32 v8, vcc, s20, v8
	v_addc_co_u32_e32 v9, vcc, v10, v9, vcc
	global_load_dword v10, v[8:9], off
	s_load_dwordx2 s[8:9], s[8:9], 0x0
	v_max_f32_e32 v8, v7, v7
	s_waitcnt lgkmcnt(0)
	v_max_f32_e64 v9, s8, s8
	v_max_f32_e32 v8, v8, v9
	v_sub_f32_e32 v9, v7, v8
	v_sub_f32_e32 v11, s8, v8
	v_mul_f32_e32 v12, 0x3fb8aa3b, v9
	v_mul_f32_e32 v13, 0x3fb8aa3b, v11
	v_fma_f32 v14, v9, s2, -v12
	v_rndne_f32_e32 v15, v12
	v_fma_f32 v16, v11, s2, -v13
	v_rndne_f32_e32 v17, v13
	v_fmac_f32_e32 v14, 0x32a5705f, v9
	v_sub_f32_e32 v12, v12, v15
	v_fmac_f32_e32 v16, 0x32a5705f, v11
	v_sub_f32_e32 v13, v13, v17
	v_add_f32_e32 v12, v12, v14
	v_cvt_i32_f32_e32 v15, v15
	v_add_f32_e32 v13, v13, v16
	v_exp_f32_e32 v12, v12
	v_cvt_i32_f32_e32 v17, v17
	v_exp_f32_e32 v13, v13
	v_cmp_ngt_f32_e32 vcc, s16, v9
	v_ldexp_f32 v12, v12, v15
	v_cndmask_b32_e32 v12, 0, v12, vcc
	v_ldexp_f32 v13, v13, v17
	v_cmp_ngt_f32_e32 vcc, s16, v11
	v_cndmask_b32_e32 v13, 0, v13, vcc
	v_cmp_nlt_f32_e32 vcc, s17, v9
	v_cndmask_b32_e32 v12, v5, v12, vcc
	v_cmp_nlt_f32_e32 vcc, s17, v11
	v_cndmask_b32_e32 v13, v5, v13, vcc
	v_cmp_le_f32_e32 vcc, s23, v9
	v_cndmask_b32_e32 v12, 0, v12, vcc
	v_cmp_le_f32_e32 vcc, s23, v11
	v_cndmask_b32_e32 v11, 0, v13, vcc
	v_mul_f32_e32 v9, s9, v11
	v_fmac_f32_e32 v9, v6, v12
	s_waitcnt vmcnt(0)
	v_mul_f32_e32 v10, v10, v11
	v_fmac_f32_e32 v10, v3, v12
	s_cbranch_execnz .LBB48_13
.LBB48_17:
	s_add_i32 s5, s24, -1
	s_mov_b32 s7, s10
	v_mov_b32_e32 v9, v6
	v_mov_b32_e32 v8, v7
	s_waitcnt vmcnt(0)
	v_mov_b32_e32 v10, v3
	s_cbranch_execz .LBB48_22
.LBB48_18:
	s_mov_b32 s10, s7
	s_mov_b32 s24, s5
	v_mov_b32_e32 v6, v9
	v_mov_b32_e32 v7, v8
	s_waitcnt vmcnt(0)
	v_mov_b32_e32 v3, v10
	s_mul_hi_i32 s5, s24, s3
	s_cmp_lg_u64 s[4:5], 0
	s_mul_i32 s8, s24, s3
	s_cbranch_scc1 .LBB48_9
.LBB48_19:
                                        ; implicit-def: $sgpr6_sgpr7
	s_branch .LBB48_10
.LBB48_20:
                                        ; implicit-def: $sgpr10_sgpr11
	s_load_dwordx4 s[12:15], s[4:5], 0x44
	s_branch .LBB48_2
.LBB48_21:
                                        ; implicit-def: $sgpr18_sgpr19
	s_branch .LBB48_5
.LBB48_22:
	v_div_scale_f32 v0, s[0:1], v9, v9, v10
	s_waitcnt vmcnt(0)
	v_div_scale_f32 v3, vcc, v10, v9, v10
	v_rcp_f32_e32 v4, v0
	v_fma_f32 v5, -v0, v4, 1.0
	v_fmac_f32_e32 v4, v5, v4
	v_mul_f32_e32 v5, v3, v4
	v_fma_f32 v6, -v0, v5, v3
	v_fmac_f32_e32 v5, v6, v4
	v_fma_f32 v0, -v0, v5, v3
	v_div_fmas_f32 v0, v0, v4, v5
	v_div_fixup_f32 v0, v0, v9, v10
	global_store_dword v[1:2], v0, off
.LBB48_23:
	s_endpgm
	.section	.rodata,"a",@progbits
	.p2align	6, 0x0
	.amdhsa_kernel _ZL33flash_attn_stream_k_fixup_generalILi112ELi2ELi2EEvPfPK15HIP_vector_typeIfLj2EEiiiiS1_IjLj3EES5_S5_S5_
		.amdhsa_group_segment_fixed_size 0
		.amdhsa_private_segment_fixed_size 0
		.amdhsa_kernarg_size 336
		.amdhsa_user_sgpr_count 6
		.amdhsa_user_sgpr_private_segment_buffer 1
		.amdhsa_user_sgpr_dispatch_ptr 0
		.amdhsa_user_sgpr_queue_ptr 0
		.amdhsa_user_sgpr_kernarg_segment_ptr 1
		.amdhsa_user_sgpr_dispatch_id 0
		.amdhsa_user_sgpr_flat_scratch_init 0
		.amdhsa_user_sgpr_private_segment_size 0
		.amdhsa_uses_dynamic_stack 0
		.amdhsa_system_sgpr_private_segment_wavefront_offset 0
		.amdhsa_system_sgpr_workgroup_id_x 1
		.amdhsa_system_sgpr_workgroup_id_y 1
		.amdhsa_system_sgpr_workgroup_id_z 1
		.amdhsa_system_sgpr_workgroup_info 0
		.amdhsa_system_vgpr_workitem_id 0
		.amdhsa_next_free_vgpr 18
		.amdhsa_next_free_sgpr 36
		.amdhsa_reserve_vcc 1
		.amdhsa_reserve_flat_scratch 0
		.amdhsa_float_round_mode_32 0
		.amdhsa_float_round_mode_16_64 0
		.amdhsa_float_denorm_mode_32 3
		.amdhsa_float_denorm_mode_16_64 3
		.amdhsa_dx10_clamp 1
		.amdhsa_ieee_mode 1
		.amdhsa_fp16_overflow 0
		.amdhsa_exception_fp_ieee_invalid_op 0
		.amdhsa_exception_fp_denorm_src 0
		.amdhsa_exception_fp_ieee_div_zero 0
		.amdhsa_exception_fp_ieee_overflow 0
		.amdhsa_exception_fp_ieee_underflow 0
		.amdhsa_exception_fp_ieee_inexact 0
		.amdhsa_exception_int_div_zero 0
	.end_amdhsa_kernel
	.section	.text._ZL33flash_attn_stream_k_fixup_generalILi112ELi2ELi2EEvPfPK15HIP_vector_typeIfLj2EEiiiiS1_IjLj3EES5_S5_S5_,"axG",@progbits,_ZL33flash_attn_stream_k_fixup_generalILi112ELi2ELi2EEvPfPK15HIP_vector_typeIfLj2EEiiiiS1_IjLj3EES5_S5_S5_,comdat
.Lfunc_end48:
	.size	_ZL33flash_attn_stream_k_fixup_generalILi112ELi2ELi2EEvPfPK15HIP_vector_typeIfLj2EEiiiiS1_IjLj3EES5_S5_S5_, .Lfunc_end48-_ZL33flash_attn_stream_k_fixup_generalILi112ELi2ELi2EEvPfPK15HIP_vector_typeIfLj2EEiiiiS1_IjLj3EES5_S5_S5_
                                        ; -- End function
	.set _ZL33flash_attn_stream_k_fixup_generalILi112ELi2ELi2EEvPfPK15HIP_vector_typeIfLj2EEiiiiS1_IjLj3EES5_S5_S5_.num_vgpr, 18
	.set _ZL33flash_attn_stream_k_fixup_generalILi112ELi2ELi2EEvPfPK15HIP_vector_typeIfLj2EEiiiiS1_IjLj3EES5_S5_S5_.num_agpr, 0
	.set _ZL33flash_attn_stream_k_fixup_generalILi112ELi2ELi2EEvPfPK15HIP_vector_typeIfLj2EEiiiiS1_IjLj3EES5_S5_S5_.numbered_sgpr, 36
	.set _ZL33flash_attn_stream_k_fixup_generalILi112ELi2ELi2EEvPfPK15HIP_vector_typeIfLj2EEiiiiS1_IjLj3EES5_S5_S5_.num_named_barrier, 0
	.set _ZL33flash_attn_stream_k_fixup_generalILi112ELi2ELi2EEvPfPK15HIP_vector_typeIfLj2EEiiiiS1_IjLj3EES5_S5_S5_.private_seg_size, 0
	.set _ZL33flash_attn_stream_k_fixup_generalILi112ELi2ELi2EEvPfPK15HIP_vector_typeIfLj2EEiiiiS1_IjLj3EES5_S5_S5_.uses_vcc, 1
	.set _ZL33flash_attn_stream_k_fixup_generalILi112ELi2ELi2EEvPfPK15HIP_vector_typeIfLj2EEiiiiS1_IjLj3EES5_S5_S5_.uses_flat_scratch, 0
	.set _ZL33flash_attn_stream_k_fixup_generalILi112ELi2ELi2EEvPfPK15HIP_vector_typeIfLj2EEiiiiS1_IjLj3EES5_S5_S5_.has_dyn_sized_stack, 0
	.set _ZL33flash_attn_stream_k_fixup_generalILi112ELi2ELi2EEvPfPK15HIP_vector_typeIfLj2EEiiiiS1_IjLj3EES5_S5_S5_.has_recursion, 0
	.set _ZL33flash_attn_stream_k_fixup_generalILi112ELi2ELi2EEvPfPK15HIP_vector_typeIfLj2EEiiiiS1_IjLj3EES5_S5_S5_.has_indirect_call, 0
	.section	.AMDGPU.csdata,"",@progbits
; Kernel info:
; codeLenInByte = 2944
; TotalNumSgprs: 40
; NumVgprs: 18
; ScratchSize: 0
; MemoryBound: 0
; FloatMode: 240
; IeeeMode: 1
; LDSByteSize: 0 bytes/workgroup (compile time only)
; SGPRBlocks: 4
; VGPRBlocks: 4
; NumSGPRsForWavesPerEU: 40
; NumVGPRsForWavesPerEU: 18
; Occupancy: 10
; WaveLimiterHint : 0
; COMPUTE_PGM_RSRC2:SCRATCH_EN: 0
; COMPUTE_PGM_RSRC2:USER_SGPR: 6
; COMPUTE_PGM_RSRC2:TRAP_HANDLER: 0
; COMPUTE_PGM_RSRC2:TGID_X_EN: 1
; COMPUTE_PGM_RSRC2:TGID_Y_EN: 1
; COMPUTE_PGM_RSRC2:TGID_Z_EN: 1
; COMPUTE_PGM_RSRC2:TIDIG_COMP_CNT: 0
	.section	.text._ZL15flash_attn_tileILi112ELi112ELi1ELi2ELb0EEvPKcS1_S1_S1_S1_PKiPfP15HIP_vector_typeIfLj2EEffffjfiS5_IjLj3EEiiiiiiiiiiiliiliiiiil,"axG",@progbits,_ZL15flash_attn_tileILi112ELi112ELi1ELi2ELb0EEvPKcS1_S1_S1_S1_PKiPfP15HIP_vector_typeIfLj2EEffffjfiS5_IjLj3EEiiiiiiiiiiiliiliiiiil,comdat
	.globl	_ZL15flash_attn_tileILi112ELi112ELi1ELi2ELb0EEvPKcS1_S1_S1_S1_PKiPfP15HIP_vector_typeIfLj2EEffffjfiS5_IjLj3EEiiiiiiiiiiiliiliiiiil ; -- Begin function _ZL15flash_attn_tileILi112ELi112ELi1ELi2ELb0EEvPKcS1_S1_S1_S1_PKiPfP15HIP_vector_typeIfLj2EEffffjfiS5_IjLj3EEiiiiiiiiiiiliiliiiiil
	.p2align	8
	.type	_ZL15flash_attn_tileILi112ELi112ELi1ELi2ELb0EEvPKcS1_S1_S1_S1_PKiPfP15HIP_vector_typeIfLj2EEffffjfiS5_IjLj3EEiiiiiiiiiiiliiliiiiil,@function
_ZL15flash_attn_tileILi112ELi112ELi1ELi2ELb0EEvPKcS1_S1_S1_S1_PKiPfP15HIP_vector_typeIfLj2EEffffjfiS5_IjLj3EEiiiiiiiiiiiliiliiiiil: ; @_ZL15flash_attn_tileILi112ELi112ELi1ELi2ELb0EEvPKcS1_S1_S1_S1_PKiPfP15HIP_vector_typeIfLj2EEffffjfiS5_IjLj3EEiiiiiiiiiiiliiliiiiil
; %bb.0:
	s_load_dwordx4 s[24:27], s[4:5], 0x5c
	s_load_dwordx2 s[34:35], s[4:5], 0x80
	s_mov_b64 s[36:37], 0
	s_waitcnt lgkmcnt(0)
	s_lshr_b32 s0, s27, 31
	s_add_i32 s0, s27, s0
	s_ashr_i32 s0, s0, 1
	v_cvt_f32_u32_e32 v2, s0
	s_sub_i32 s1, 0, s0
	v_rcp_iflag_f32_e32 v2, v2
	v_mul_f32_e32 v2, 0x4f7ffffe, v2
	v_cvt_u32_f32_e32 v2, v2
	v_readfirstlane_b32 s2, v2
	s_mul_i32 s1, s1, s2
	s_mul_hi_u32 s1, s2, s1
	s_add_i32 s2, s2, s1
	s_mul_hi_u32 s1, s8, s2
	s_mul_i32 s2, s1, s0
	s_sub_i32 s2, s8, s2
	s_add_i32 s3, s1, 1
	s_sub_i32 s9, s2, s0
	s_cmp_ge_u32 s2, s0
	s_cselect_b32 s1, s3, s1
	s_cselect_b32 s2, s9, s2
	s_add_i32 s3, s1, 1
	s_cmp_ge_u32 s2, s0
	s_cselect_b32 s33, s3, s1
	s_abs_i32 s1, s35
	v_cvt_f32_u32_e32 v2, s1
	s_lshl_b32 s0, s8, 1
	s_sub_i32 s8, 0, s1
	s_abs_i32 s3, s27
	v_rcp_iflag_f32_e32 v2, v2
	s_xor_b32 s2, s27, s35
	s_ashr_i32 s2, s2, 31
	v_mul_f32_e32 v2, 0x4f7ffffe, v2
	v_cvt_u32_f32_e32 v2, v2
	v_readfirstlane_b32 s9, v2
	s_mul_i32 s8, s8, s9
	s_mul_hi_u32 s8, s9, s8
	s_add_i32 s9, s9, s8
	s_mul_hi_u32 s8, s3, s9
	s_mul_i32 s9, s8, s1
	s_sub_i32 s3, s3, s9
	s_add_i32 s10, s8, 1
	s_sub_i32 s9, s3, s1
	s_cmp_ge_u32 s3, s1
	s_cselect_b32 s8, s10, s8
	s_cselect_b32 s3, s9, s3
	s_add_i32 s9, s8, 1
	s_cmp_ge_u32 s3, s1
	s_cselect_b32 s1, s9, s8
	s_xor_b32 s1, s1, s2
	s_sub_i32 s39, s1, s2
	s_abs_i32 s38, s39
	v_cvt_f32_u32_e32 v2, s38
	s_load_dwordx16 s[8:23], s[4:5], 0x0
	s_load_dwordx2 s[2:3], s[4:5], 0xb8
	s_mul_i32 s1, s33, s27
	v_rcp_iflag_f32_e32 v2, v2
	s_waitcnt lgkmcnt(0)
	s_cmp_eq_u64 s[14:15], 0
	v_mul_f32_e32 v2, 0x4f7ffffe, v2
	v_cvt_u32_f32_e32 v2, v2
	v_readfirstlane_b32 s40, v2
	s_cbranch_scc1 .LBB49_2
; %bb.1:
	s_abs_i32 s2, s2
	v_cvt_f32_u32_e32 v2, s2
	s_sub_i32 s35, 0, s2
	s_abs_i32 s31, s33
	s_ashr_i32 s30, s33, 31
	v_rcp_iflag_f32_e32 v2, v2
	s_load_dwordx2 s[28:29], s[4:5], 0xc8
	v_mul_f32_e32 v2, 0x4f7ffffe, v2
	v_cvt_u32_f32_e32 v2, v2
	v_readfirstlane_b32 s36, v2
	s_mul_i32 s35, s35, s36
	s_mul_hi_u32 s35, s36, s35
	s_add_i32 s36, s36, s35
	s_mul_hi_u32 s35, s31, s36
	s_mul_i32 s35, s35, s2
	s_sub_i32 s31, s31, s35
	s_sub_i32 s35, s31, s2
	s_cmp_ge_u32 s31, s2
	s_cselect_b32 s31, s35, s31
	s_sub_i32 s35, s31, s2
	s_cmp_ge_u32 s31, s2
	s_cselect_b32 s2, s35, s31
	s_xor_b32 s2, s2, s30
	s_sub_i32 s2, s2, s30
	s_ashr_i32 s30, s2, 31
	s_waitcnt lgkmcnt(0)
	s_mul_hi_u32 s31, s28, s2
	s_mul_i32 s30, s28, s30
	s_mul_i32 s29, s29, s2
	s_add_i32 s30, s31, s30
	s_add_i32 s30, s30, s29
	s_mul_i32 s2, s28, s2
	s_add_u32 s36, s14, s2
	s_addc_u32 s37, s15, s30
.LBB49_2:
	s_movk_i32 s2, 0xe0
	v_mov_b32_e32 v2, 0x1040
	s_sub_i32 s35, s0, s1
	v_cmp_gt_u32_e64 s[0:1], 28, v0
	v_mad_u32_u24 v61, v1, s2, v2
	v_lshlrev_b32_e32 v62, 3, v0
	v_and_b32_e32 v59, 1, v1
	v_lshrrev_b32_e32 v60, 1, v1
	s_and_saveexec_b64 s[14:15], s[0:1]
	s_cbranch_execz .LBB49_4
; %bb.3:
	s_load_dwordx4 s[28:31], s[4:5], 0x70
	v_add_u32_e32 v4, s6, v60
	v_mul_hi_u32 v2, s24, v4
	s_waitcnt lgkmcnt(0)
	s_mul_i32 s2, s33, s30
	s_ashr_i32 s41, s2, 31
	s_mul_i32 s31, s35, s29
	s_add_u32 s2, s8, s2
	v_add_u32_e32 v2, v4, v2
	s_addc_u32 s8, s9, s41
	s_ashr_i32 s9, s31, 31
	v_lshrrev_b32_e32 v2, s25, v2
	s_add_u32 s2, s2, s31
	v_mul_lo_u32 v5, v2, s26
	s_mov_b32 s30, s29
	s_addc_u32 s41, s8, s9
	s_ashr_i32 s31, s29, 31
	s_lshr_b64 s[8:9], s[30:31], 2
	s_lshr_b32 s9, s31, 2
	s_ashr_i32 s29, s28, 31
	v_mul_lo_u32 v3, s9, v59
	v_mul_lo_u32 v2, s8, v59
	s_lshr_b64 s[8:9], s[28:29], 2
	v_sub_u32_e32 v6, v4, v5
	v_mad_u64_u32 v[4:5], s[8:9], s8, v6, 0
	s_lshr_b32 s8, s29, 2
	v_lshlrev_b64 v[2:3], 2, v[2:3]
	v_mad_u64_u32 v[5:6], s[8:9], s8, v6, v[5:6]
	v_mov_b32_e32 v7, s41
	v_add_co_u32_e32 v6, vcc, s2, v2
	v_addc_co_u32_e32 v7, vcc, v7, v3, vcc
	v_lshlrev_b64 v[2:3], 2, v[4:5]
	v_lshlrev_b32_e32 v4, 4, v0
	v_add_co_u32_e32 v2, vcc, v6, v2
	v_addc_co_u32_e32 v3, vcc, v7, v3, vcc
	v_add_co_u32_e32 v2, vcc, v2, v4
	v_addc_co_u32_e32 v3, vcc, 0, v3, vcc
	global_load_dwordx4 v[2:5], v[2:3], off
	s_load_dword s2, s[4:5], 0x40
	v_add_u32_e32 v6, v61, v62
	s_waitcnt vmcnt(0) lgkmcnt(0)
	v_fma_mixlo_f16 v2, s2, v2, 0
	v_fma_mixlo_f16 v3, s2, v3, 0
	;; [unrolled: 1-line block ×4, first 2 shown]
	v_lshlrev_b32_e32 v3, 16, v3
	v_and_b32_e32 v2, 0xffff, v2
	v_lshlrev_b32_e32 v5, 16, v5
	v_and_b32_e32 v4, 0xffff, v4
	v_or_b32_e32 v2, v3, v2
	v_or3_b32 v3, v5, v4, 0
	v_or3_b32 v2, 0, 0, v2
	ds_write_b64 v6, v[2:3]
.LBB49_4:
	s_or_b64 exec, exec, s[14:15]
	s_cmp_eq_u64 s[18:19], 0
	s_waitcnt lgkmcnt(0)
	; wave barrier
	s_cbranch_scc1 .LBB49_6
; %bb.5:
	s_load_dword s2, s[4:5], 0xd0
	s_mov_b32 s9, 0
	s_waitcnt lgkmcnt(0)
	s_mul_i32 s2, s2, s33
	s_add_i32 s8, s2, s6
	s_lshl_b64 s[8:9], s[8:9], 2
	s_add_u32 s8, s18, s8
	s_addc_u32 s9, s19, s9
	s_load_dword s34, s[8:9], 0x0
.LBB49_6:
	s_lshl_b32 s28, s7, 5
	s_waitcnt lgkmcnt(0)
	s_cmp_lt_i32 s28, s34
	v_mbcnt_lo_u32_b32 v2, -1, 0
	s_cbranch_scc1 .LBB49_16
; %bb.7:
	v_mbcnt_hi_u32_b32 v64, -1, v2
	v_and_b32_e32 v3, 0x60, v64
	v_add_u32_e32 v82, 32, v3
	v_xor_b32_e32 v83, 16, v64
	v_xor_b32_e32 v84, 8, v64
	;; [unrolled: 1-line block ×5, first 2 shown]
	s_cbranch_execz .LBB49_17
; %bb.8:
	v_mov_b32_e32 v67, 0
	v_mov_b32_e32 v88, 0
	;; [unrolled: 1-line block ×4, first 2 shown]
.LBB49_9:
	v_cmp_lt_i32_e32 vcc, v83, v82
	v_cndmask_b32_e32 v1, v64, v83, vcc
	v_lshlrev_b32_e32 v1, 2, v1
	ds_bpermute_b32 v1, v1, v88
	v_cmp_lt_i32_e32 vcc, v84, v82
	v_cndmask_b32_e32 v2, v64, v84, vcc
	v_lshlrev_b32_e32 v2, 2, v2
	v_cmp_lt_i32_e32 vcc, v85, v82
	s_waitcnt lgkmcnt(0)
	v_add_f32_e32 v1, v88, v1
	ds_bpermute_b32 v2, v2, v1
	v_cndmask_b32_e32 v3, v64, v85, vcc
	v_lshlrev_b32_e32 v3, 2, v3
	v_cmp_lt_i32_e32 vcc, v86, v82
	s_cmp_lg_u64 s[16:17], 0
	s_waitcnt lgkmcnt(0)
	v_add_f32_e32 v1, v1, v2
	ds_bpermute_b32 v2, v3, v1
	v_cndmask_b32_e32 v3, v64, v86, vcc
	v_lshlrev_b32_e32 v3, 2, v3
	v_cmp_lt_i32_e32 vcc, v87, v82
	v_cndmask_b32_e32 v4, v64, v87, vcc
	s_waitcnt lgkmcnt(0)
	v_add_f32_e32 v2, v1, v2
	ds_bpermute_b32 v3, v3, v2
	v_lshlrev_b32_e32 v4, 2, v4
	s_cselect_b64 s[2:3], -1, 0
	s_cmp_eq_u32 s7, 0
	s_cselect_b64 s[8:9], -1, 0
	s_waitcnt lgkmcnt(0)
	v_add_f32_e32 v2, v2, v3
	ds_bpermute_b32 v3, v4, v2
	s_and_b64 s[2:3], s[8:9], s[2:3]
	v_add_u32_e32 v1, s35, v59
	s_and_b64 vcc, exec, s[2:3]
	s_waitcnt lgkmcnt(0)
	v_add_f32_e32 v59, v2, v3
	s_cbranch_vccz .LBB49_11
; %bb.10:
	v_ashrrev_i32_e32 v2, 31, v1
	v_lshlrev_b64 v[2:3], 2, v[1:2]
	v_mov_b32_e32 v4, s17
	v_add_co_u32_e32 v2, vcc, s16, v2
	v_addc_co_u32_e32 v3, vcc, v4, v3, vcc
	global_load_dword v2, v[2:3], off
	v_max_f32_e32 v3, v58, v58
	s_mov_b32 s2, 0x3fb8aa3b
	s_mov_b32 s3, 0xc2ce8ed0
	s_waitcnt vmcnt(0)
	v_max_f32_e32 v4, v2, v2
	v_max_f32_e32 v3, v3, v4
	v_sub_f32_e32 v4, v58, v3
	v_sub_f32_e32 v2, v2, v3
	v_mul_f32_e32 v5, 0x3fb8aa3b, v4
	v_mul_f32_e32 v6, 0x3fb8aa3b, v2
	v_fma_f32 v7, v4, s2, -v5
	v_rndne_f32_e32 v8, v5
	v_fma_f32 v9, v2, s2, -v6
	v_rndne_f32_e32 v10, v6
	v_fmac_f32_e32 v7, 0x32a5705f, v4
	v_sub_f32_e32 v5, v5, v8
	v_fmac_f32_e32 v9, 0x32a5705f, v2
	v_sub_f32_e32 v6, v6, v10
	v_add_f32_e32 v5, v5, v7
	v_cvt_i32_f32_e32 v8, v8
	v_add_f32_e32 v6, v6, v9
	v_exp_f32_e32 v5, v5
	v_cvt_i32_f32_e32 v10, v10
	v_exp_f32_e32 v6, v6
	v_cmp_ngt_f32_e32 vcc, s3, v4
	v_ldexp_f32 v5, v5, v8
	s_mov_b32 s2, 0x42b17218
	v_ldexp_f32 v6, v6, v10
	v_cndmask_b32_e32 v5, 0, v5, vcc
	v_cmp_ngt_f32_e32 vcc, s3, v2
	v_mov_b32_e32 v7, 0x7f800000
	v_cndmask_b32_e32 v6, 0, v6, vcc
	v_cmp_nlt_f32_e32 vcc, s2, v4
	v_cndmask_b32_e32 v4, v7, v5, vcc
	v_cvt_f16_f32_e32 v5, v4
	v_cmp_nlt_f32_e32 vcc, s2, v2
	v_cndmask_b32_e32 v2, v7, v6, vcc
	v_fmac_f32_e32 v2, v59, v4
	v_mov_b32_e32 v59, v2
	v_mul_u32_u24_e32 v2, 0x10001, v5
	v_pk_mul_f16 v63, v63, v2
	v_pk_mul_f16 v67, v67, v2
	v_mov_b32_e32 v58, v3
.LBB49_11:
	s_load_dword s8, s[4:5], 0xd4
	s_mul_i32 s4, s33, s26
	s_waitcnt lgkmcnt(0)
	s_cmp_lg_u32 s8, 1
	s_cselect_b64 s[2:3], -1, 0
	s_add_i32 s4, s4, s6
	v_add_u32_e32 v2, s4, v60
	v_mad_u64_u32 v[1:2], s[4:5], v2, s27, v[1:2]
	v_mul_lo_u32 v1, s8, v1
	v_add_u32_e32 v1, s7, v1
	s_and_saveexec_b64 s[4:5], s[0:1]
	s_cbranch_execz .LBB49_13
; %bb.12:
	v_div_scale_f32 v2, s[0:1], v59, v59, 1.0
	v_div_scale_f32 v3, vcc, 1.0, v59, 1.0
	s_movk_i32 s0, 0x70
	v_cvt_f32_f16_sdwa v8, v67 dst_sel:DWORD dst_unused:UNUSED_PAD src0_sel:WORD_1
	v_cvt_f32_f16_e32 v9, v67
	v_cvt_f32_f16_sdwa v10, v63 dst_sel:DWORD dst_unused:UNUSED_PAD src0_sel:WORD_1
	v_cvt_f32_f16_e32 v11, v63
	v_rcp_f32_e32 v4, v2
	v_fma_f32 v5, -v2, v4, 1.0
	v_fmac_f32_e32 v4, v5, v4
	v_mul_f32_e32 v5, v3, v4
	v_fma_f32 v6, -v2, v5, v3
	v_fmac_f32_e32 v5, v6, v4
	v_fma_f32 v2, -v2, v5, v3
	v_div_fmas_f32 v4, v2, v4, v5
	v_mul_lo_u32 v2, v1, s0
	v_mov_b32_e32 v3, 0
	v_mov_b32_e32 v5, s21
	v_lshl_add_u32 v2, v0, 2, v2
	v_lshlrev_b64 v[2:3], 2, v[2:3]
	v_add_co_u32_e32 v6, vcc, s20, v2
	v_addc_co_u32_e32 v7, vcc, v5, v3, vcc
	v_div_fixup_f32 v2, v4, v59, 1.0
	v_cndmask_b32_e64 v2, v2, 1.0, s[2:3]
	v_mul_f32_e32 v5, v2, v8
	v_mul_f32_e32 v4, v2, v9
	;; [unrolled: 1-line block ×4, first 2 shown]
	global_store_dwordx4 v[6:7], v[2:5], off
.LBB49_13:
	s_or_b64 exec, exec, s[4:5]
	v_cmp_eq_u32_e32 vcc, 0, v0
	s_and_b64 s[0:1], vcc, s[2:3]
	s_and_saveexec_b64 s[2:3], s[0:1]
	s_cbranch_execz .LBB49_15
; %bb.14:
	v_ashrrev_i32_e32 v2, 31, v1
	v_lshlrev_b64 v[0:1], 3, v[1:2]
	v_mov_b32_e32 v2, s23
	v_add_co_u32_e32 v0, vcc, s22, v0
	v_addc_co_u32_e32 v1, vcc, v2, v1, vcc
	global_store_dwordx2 v[0:1], v[58:59], off
.LBB49_15:
	s_endpgm
.LBB49_16:
                                        ; implicit-def: $vgpr64
                                        ; implicit-def: $vgpr82
                                        ; implicit-def: $vgpr83
                                        ; implicit-def: $vgpr84
                                        ; implicit-def: $vgpr85
                                        ; implicit-def: $vgpr86
                                        ; implicit-def: $vgpr87
.LBB49_17:
	s_sub_i32 s2, 0, s38
	s_mul_i32 s2, s2, s40
	s_mul_hi_u32 s2, s40, s2
	s_add_i32 s2, s40, s2
	s_load_dwordx2 s[8:9], s[4:5], 0x8c
	s_load_dwordx4 s[40:43], s[4:5], 0x98
	s_ashr_i32 s31, s39, 31
	s_abs_i32 s18, s35
	s_ashr_i32 s19, s35, 31
	s_waitcnt lgkmcnt(0)
	s_ashr_i32 s30, s8, 2
	s_ashr_i32 s8, s33, 31
	;; [unrolled: 1-line block ×3, first 2 shown]
	s_mul_hi_u32 s39, s40, s33
	s_mul_i32 s42, s40, s8
	s_add_i32 s39, s39, s42
	s_mul_i32 s41, s41, s33
	s_ashr_i32 s3, s3, 1
	s_add_i32 s39, s39, s41
	s_mul_i32 s40, s40, s33
	s_mul_hi_u32 s2, s18, s2
	s_add_u32 s10, s10, s40
	s_addc_u32 s11, s11, s39
	s_xor_b32 s19, s19, s31
	s_mul_i32 s31, s2, s38
	s_sub_i32 s18, s18, s31
	s_add_i32 s31, s2, 1
	s_sub_i32 s39, s18, s38
	s_cmp_ge_u32 s18, s38
	s_cselect_b32 s2, s31, s2
	s_cselect_b32 s18, s39, s18
	s_add_i32 s31, s2, 1
	v_add_u32_e32 v12, s6, v60
	s_cmp_ge_u32 s18, s38
	v_mul_hi_u32 v9, s24, v12
	s_load_dwordx2 s[14:15], s[4:5], 0xa8
	s_cselect_b32 s2, s31, s2
	s_xor_b32 s2, s2, s19
	s_sub_i32 s2, s2, s19
	v_lshl_add_u32 v7, v1, 5, v0
	s_mul_i32 s9, s2, s9
	v_cmp_gt_u32_e32 vcc, 32, v7
	v_mul_lo_u32 v10, s30, v7
	v_add_u32_e32 v7, v12, v9
	s_ashr_i32 s18, s9, 31
	v_lshrrev_b32_e32 v7, s25, v7
	s_add_u32 s31, s10, s9
	s_waitcnt lgkmcnt(0)
	s_mul_hi_u32 s9, s14, s33
	s_mul_i32 s8, s14, s8
	v_mul_lo_u32 v7, v7, s26
	s_addc_u32 s38, s11, s18
	s_add_i32 s8, s9, s8
	s_mul_i32 s9, s15, s33
	s_add_i32 s8, s8, s9
	s_mul_i32 s9, s14, s33
	s_add_u32 s9, s12, s9
	s_mul_i32 s2, s2, s43
	s_addc_u32 s8, s13, s8
	s_ashr_i32 s10, s2, 31
	v_sub_u32_e32 v7, v12, v7
	s_add_u32 s39, s9, s2
	v_mad_u64_u32 v[41:42], s[2:3], v7, s3, v[0:1]
	v_mov_b32_e32 v7, 0x1200
	v_lshrrev_b32_e32 v3, 1, v0
	v_lshrrev_b32_e32 v5, 2, v0
	v_lshl_add_u32 v71, v1, 6, v7
	v_lshrrev_b32_e32 v7, 3, v0
	v_lshl_add_u32 v19, v1, 4, v3
	v_lshl_add_u32 v13, v1, 3, v5
	;; [unrolled: 1-line block ×3, first 2 shown]
	v_mul_lo_u32 v5, s30, v13
	v_mul_lo_u32 v14, s29, v1
	v_lshlrev_b32_e32 v20, 2, v0
	v_mul_lo_u32 v3, s30, v19
	v_mul_lo_u32 v12, s29, v13
	;; [unrolled: 1-line block ×3, first 2 shown]
	v_and_b32_e32 v21, 4, v20
	v_lshlrev_b32_e32 v4, 7, v19
	v_lshlrev_b32_e32 v22, 2, v21
	v_and_b32_e32 v23, 12, v20
	v_cmp_gt_u32_e64 s[2:3], 16, v19
	v_mul_u32_u24_e32 v19, 0xe0, v19
	v_lshlrev_b32_e32 v24, 2, v23
	v_lshl_add_u32 v8, s30, 4, v5
	v_mul_u32_u24_e32 v7, 0xe0, v13
	v_lshl_add_u32 v16, s29, 3, v14
	v_or_b32_e32 v19, v19, v22
	s_movk_i32 s9, 0x80
	v_and_b32_e32 v20, 28, v20
	s_addc_u32 s40, s8, s10
	v_or3_b32 v66, v4, v22, 64
	v_ashrrev_i32_e32 v4, 31, v3
	v_lshl_or_b32 v68, v13, 7, v24
	v_ashrrev_i32_e32 v6, 31, v5
	v_ashrrev_i32_e32 v9, 31, v8
	;; [unrolled: 1-line block ×3, first 2 shown]
	s_movk_i32 s8, 0xe0
	v_ashrrev_i32_e32 v13, 31, v12
	v_ashrrev_i32_e32 v15, 31, v14
	;; [unrolled: 1-line block ×3, first 2 shown]
	v_add_u32_e32 v73, 0xc0, v19
	v_ashrrev_i32_e32 v19, 31, v18
	v_add3_u32 v74, v7, v24, s9
	v_lshlrev_b32_e32 v7, 2, v20
	v_lshlrev_b32_e32 v65, 7, v0
	v_mad_u32_u24 v75, v1, s8, v7
	s_add_u32 s14, s4, 0xd0
	v_lshlrev_b64 v[42:43], 2, v[3:4]
	v_lshlrev_b64 v[44:45], 2, v[5:6]
	v_lshlrev_b64 v[46:47], 2, v[8:9]
	v_lshlrev_b64 v[48:49], 2, v[10:11]
	v_lshlrev_b64 v[50:51], 2, v[18:19]
	v_lshlrev_b64 v[52:53], 2, v[12:13]
	v_lshlrev_b64 v[54:55], 2, v[14:15]
	v_lshlrev_b64 v[56:57], 2, v[16:17]
	v_mov_b32_e32 v63, 0
	v_add_u32_e32 v69, 0x800, v68
	v_or_b32_e32 v70, 0x60, v65
	v_lshl_add_u32 v72, v0, 1, v71
	v_add_u32_e32 v76, 0x700, v75
	s_addc_u32 s15, s5, 0
	v_mov_b32_e32 v7, 0xfeffffff
	v_lshlrev_b32_e32 v77, 2, v21
	v_lshlrev_b32_e32 v78, 2, v23
	s_mov_b32 s24, 0x3fb8aa3b
	s_mov_b32 s25, 0xc2ce8ed0
	;; [unrolled: 1-line block ×4, first 2 shown]
	v_lshlrev_b32_e32 v79, 2, v20
	v_mbcnt_hi_u32_b32 v64, -1, v2
	v_mov_b32_e32 v80, 0x7f800000
	v_mov_b32_e32 v67, 0
	;; [unrolled: 1-line block ×3, first 2 shown]
.LBB49_18:                              ; =>This Inner Loop Header: Depth=1
	s_mul_hi_i32 s9, s28, s30
	s_mul_i32 s8, s28, s30
	s_lshl_b64 s[8:9], s[8:9], 2
	s_add_u32 s12, s31, s8
	s_addc_u32 s13, s38, s9
	s_and_saveexec_b64 s[10:11], vcc
	s_cbranch_execz .LBB49_20
; %bb.19:                               ;   in Loop: Header=BB49_18 Depth=1
	v_mov_b32_e32 v2, s13
	v_add_co_u32_e64 v1, s[8:9], s12, v48
	v_addc_co_u32_e64 v2, s[8:9], v2, v49, s[8:9]
	global_load_dwordx4 v[1:4], v[1:2], off offset:96
	s_waitcnt vmcnt(0)
	ds_write_b128 v70, v[1:4]
.LBB49_20:                              ;   in Loop: Header=BB49_18 Depth=1
	s_or_b64 exec, exec, s[10:11]
	v_mov_b32_e32 v1, s13
	v_add_co_u32_e64 v2, s[8:9], s12, v42
	v_addc_co_u32_e64 v3, s[8:9], v1, v43, s[8:9]
	v_add_co_u32_e64 v1, s[8:9], v2, v77
	v_addc_co_u32_e64 v2, s[8:9], 0, v3, s[8:9]
	v_mov_b32_e32 v3, s13
	v_add_co_u32_e64 v4, s[8:9], s12, v44
	v_addc_co_u32_e64 v5, s[8:9], v3, v45, s[8:9]
	v_add_co_u32_e64 v3, s[8:9], v4, v78
	v_addc_co_u32_e64 v4, s[8:9], 0, v5, s[8:9]
	v_mov_b32_e32 v5, s13
	v_add_co_u32_e64 v6, s[8:9], s12, v46
	v_addc_co_u32_e64 v16, s[8:9], v5, v47, s[8:9]
	global_load_dwordx4 v[8:11], v[1:2], off offset:64
	global_load_dwordx4 v[12:15], v[3:4], off
	v_add_co_u32_e64 v5, s[8:9], v6, v78
	v_addc_co_u32_e64 v6, s[8:9], 0, v16, s[8:9]
	global_load_dwordx4 v[16:19], v[5:6], off
	s_waitcnt vmcnt(2)
	ds_write_b128 v66, v[8:11]
	s_waitcnt vmcnt(1)
	ds_write_b128 v68, v[12:15]
	;; [unrolled: 2-line block ×3, first 2 shown]
	s_waitcnt lgkmcnt(0)
	; wave barrier
	ds_read_b128 v[9:12], v65
	ds_read_b128 v[13:16], v61
	v_mov_b32_e32 v8, 0
	s_waitcnt lgkmcnt(0)
	;;#ASMSTART
	v_dot2_f32_f16 v8, v9, v13, v8
	;;#ASMEND
	;;#ASMSTART
	v_dot2_f32_f16 v8, v10, v14, v8
	;;#ASMEND
	;;#ASMSTART
	v_dot2_f32_f16 v8, v11, v15, v8
	;;#ASMEND
	;;#ASMSTART
	v_dot2_f32_f16 v8, v12, v16, v8
	;;#ASMEND
	ds_read_b128 v[9:12], v65 offset:16
	ds_read_b128 v[13:16], v61 offset:16
	s_waitcnt lgkmcnt(0)
	;;#ASMSTART
	v_dot2_f32_f16 v8, v9, v13, v8
	;;#ASMEND
	;;#ASMSTART
	v_dot2_f32_f16 v8, v10, v14, v8
	;;#ASMEND
	;;#ASMSTART
	v_dot2_f32_f16 v8, v11, v15, v8
	;;#ASMEND
	;;#ASMSTART
	v_dot2_f32_f16 v8, v12, v16, v8
	;;#ASMEND
	ds_read_b128 v[9:12], v65 offset:32
	ds_read_b128 v[13:16], v61 offset:32
	;; [unrolled: 15-line block ×6, first 2 shown]
	s_waitcnt lgkmcnt(0)
	;;#ASMSTART
	v_dot2_f32_f16 v8, v9, v13, v8
	;;#ASMEND
	;;#ASMSTART
	v_dot2_f32_f16 v8, v10, v14, v8
	;;#ASMEND
	;; [unrolled: 3-line block ×4, first 2 shown]
	; wave barrier
	s_and_saveexec_b64 s[10:11], vcc
	s_cbranch_execz .LBB49_22
; %bb.21:                               ;   in Loop: Header=BB49_18 Depth=1
	v_mov_b32_e32 v10, s13
	v_add_co_u32_e64 v9, s[8:9], s12, v48
	v_addc_co_u32_e64 v10, s[8:9], v10, v49, s[8:9]
	global_load_dwordx4 v[9:12], v[9:10], off offset:208
	s_waitcnt vmcnt(0)
	ds_write_b128 v70, v[9:12]
.LBB49_22:                              ;   in Loop: Header=BB49_18 Depth=1
	s_or_b64 exec, exec, s[10:11]
	global_load_dwordx4 v[9:12], v[1:2], off offset:176
	global_load_dwordx4 v[13:16], v[3:4], off offset:112
	;; [unrolled: 1-line block ×3, first 2 shown]
	v_add_u32_e32 v5, s28, v41
	v_ashrrev_i32_e32 v6, 31, v5
	v_lshlrev_b64 v[5:6], 1, v[5:6]
	v_xor_b32_e32 v83, 16, v64
	v_add_co_u32_e64 v5, s[8:9], s36, v5
	v_xor_b32_e32 v84, 8, v64
	v_xor_b32_e32 v85, 4, v64
	v_xor_b32_e32 v86, 2, v64
	v_xor_b32_e32 v87, 1, v64
	s_waitcnt vmcnt(2)
	ds_write_b128 v66, v[9:12]
	s_waitcnt vmcnt(1)
	ds_write_b128 v68, v[13:16]
	;; [unrolled: 2-line block ×3, first 2 shown]
	s_waitcnt lgkmcnt(0)
	; wave barrier
	ds_read_b128 v[1:4], v65
	ds_read_b128 v[9:12], v61 offset:112
	v_mov_b32_e32 v13, s37
	s_waitcnt lgkmcnt(0)
	;;#ASMSTART
	v_dot2_f32_f16 v8, v1, v9, v8
	;;#ASMEND
	;;#ASMSTART
	v_dot2_f32_f16 v8, v2, v10, v8
	;;#ASMEND
	;;#ASMSTART
	v_dot2_f32_f16 v8, v3, v11, v8
	;;#ASMEND
	;;#ASMSTART
	v_dot2_f32_f16 v8, v4, v12, v8
	;;#ASMEND
	ds_read_b128 v[1:4], v65 offset:16
	ds_read_b128 v[9:12], v61 offset:128
	s_waitcnt lgkmcnt(0)
	;;#ASMSTART
	v_dot2_f32_f16 v8, v1, v9, v8
	;;#ASMEND
	;;#ASMSTART
	v_dot2_f32_f16 v8, v2, v10, v8
	;;#ASMEND
	;;#ASMSTART
	v_dot2_f32_f16 v8, v3, v11, v8
	;;#ASMEND
	;;#ASMSTART
	v_dot2_f32_f16 v8, v4, v12, v8
	;;#ASMEND
	ds_read_b128 v[1:4], v65 offset:32
	ds_read_b128 v[9:12], v61 offset:144
	;; [unrolled: 15-line block ×6, first 2 shown]
	s_waitcnt lgkmcnt(0)
	;;#ASMSTART
	v_dot2_f32_f16 v8, v1, v9, v8
	;;#ASMEND
	;;#ASMSTART
	v_dot2_f32_f16 v8, v2, v10, v8
	;;#ASMEND
	v_addc_co_u32_e64 v6, s[8:9], v13, v6, s[8:9]
	;;#ASMSTART
	v_dot2_f32_f16 v8, v3, v11, v8
	;;#ASMEND
	;;#ASMSTART
	v_dot2_f32_f16 v8, v4, v12, v8
	;;#ASMEND
	global_load_ushort v1, v[5:6], off
	v_and_b32_e32 v2, 0x60, v64
	v_add_u32_e32 v82, 32, v2
	v_cmp_lt_i32_e64 s[8:9], v83, v82
	v_max_f32_e32 v3, v7, v7
	v_cndmask_b32_e64 v2, v64, v83, s[8:9]
	v_lshlrev_b32_e32 v2, 2, v2
	v_cmp_lt_i32_e64 s[8:9], v84, v82
	s_waitcnt vmcnt(0)
	; wave barrier
	v_cvt_f32_f16_e32 v1, v1
	v_add_f32_e32 v1, v8, v1
	v_add_f32_e32 v4, 0x40051340, v1
	v_max_f32_e32 v3, v3, v4
	ds_bpermute_b32 v2, v2, v3
	v_cndmask_b32_e64 v4, v64, v84, s[8:9]
	v_lshlrev_b32_e32 v4, 2, v4
	v_cmp_lt_i32_e64 s[8:9], v85, v82
	s_waitcnt lgkmcnt(0)
	v_max_f32_e32 v2, v2, v2
	v_max_f32_e32 v2, v3, v2
	ds_bpermute_b32 v3, v4, v2
	v_cndmask_b32_e64 v4, v64, v85, s[8:9]
	v_lshlrev_b32_e32 v4, 2, v4
	v_cmp_lt_i32_e64 s[8:9], v86, v82
	s_waitcnt lgkmcnt(0)
	v_max_f32_e32 v3, v3, v3
	;; [unrolled: 7-line block ×3, first 2 shown]
	v_max_f32_e32 v2, v2, v3
	ds_bpermute_b32 v3, v4, v2
	v_cndmask_b32_e64 v4, v64, v87, s[8:9]
	v_lshlrev_b32_e32 v4, 2, v4
	s_mul_hi_i32 s9, s28, s29
	s_mul_i32 s8, s28, s29
	s_waitcnt lgkmcnt(0)
	v_max_f32_e32 v3, v3, v3
	v_max_f32_e32 v2, v2, v3
	ds_bpermute_b32 v3, v4, v2
	s_lshl_b64 s[10:11], s[8:9], 2
	s_add_u32 s12, s39, s10
	s_addc_u32 s13, s40, s11
	s_waitcnt lgkmcnt(0)
	v_max_f32_e32 v3, v3, v3
	v_max_f32_e32 v58, v2, v3
	v_sub_f32_e32 v1, v1, v58
	v_mul_f32_e32 v2, 0x3fb8aa3b, v1
	v_fma_f32 v3, v1, s24, -v2
	v_rndne_f32_e32 v4, v2
	v_fmac_f32_e32 v3, 0x32a5705f, v1
	v_sub_f32_e32 v2, v2, v4
	v_add_f32_e32 v2, v2, v3
	v_cvt_i32_f32_e32 v4, v4
	v_exp_f32_e32 v2, v2
	v_cmp_ngt_f32_e64 s[8:9], s25, v1
	v_ldexp_f32 v2, v2, v4
	v_cndmask_b32_e64 v2, 0, v2, s[8:9]
	v_cmp_nlt_f32_e64 s[8:9], s41, v1
	v_cndmask_b32_e64 v88, v80, v2, s[8:9]
	v_cvt_f16_f32_e32 v1, v88
	ds_write_b16 v72, v1
	s_and_saveexec_b64 s[10:11], s[2:3]
	s_cbranch_execz .LBB49_24
; %bb.23:                               ;   in Loop: Header=BB49_18 Depth=1
	v_mov_b32_e32 v1, s13
	v_add_co_u32_e64 v2, s[8:9], s12, v50
	v_addc_co_u32_e64 v3, s[8:9], v1, v51, s[8:9]
	v_add_co_u32_e64 v1, s[8:9], v2, v77
	v_addc_co_u32_e64 v2, s[8:9], 0, v3, s[8:9]
	global_load_dwordx4 v[1:4], v[1:2], off offset:192
	s_waitcnt vmcnt(0)
	ds_write_b128 v73, v[1:4]
.LBB49_24:                              ;   in Loop: Header=BB49_18 Depth=1
	s_or_b64 exec, exec, s[10:11]
	v_mov_b32_e32 v1, s13
	v_add_co_u32_e64 v2, s[8:9], s12, v52
	v_addc_co_u32_e64 v1, s[8:9], v1, v53, s[8:9]
	v_add_co_u32_e64 v5, s[8:9], v2, v78
	v_addc_co_u32_e64 v6, s[8:9], 0, v1, s[8:9]
	v_mov_b32_e32 v1, s13
	v_add_co_u32_e64 v2, s[8:9], s12, v54
	v_addc_co_u32_e64 v1, s[8:9], v1, v55, s[8:9]
	v_add_co_u32_e64 v12, s[8:9], v2, v79
	v_addc_co_u32_e64 v13, s[8:9], 0, v1, s[8:9]
	global_load_dwordx4 v[1:4], v[5:6], off offset:128
	global_load_dwordx4 v[8:11], v[12:13], off
	v_mov_b32_e32 v5, s13
	v_add_co_u32_e64 v6, s[8:9], s12, v56
	v_addc_co_u32_e64 v12, s[8:9], v5, v57, s[8:9]
	v_add_co_u32_e64 v5, s[8:9], v6, v79
	v_addc_co_u32_e64 v6, s[8:9], 0, v12, s[8:9]
	global_load_dwordx4 v[12:15], v[5:6], off
	v_sub_f32_e32 v90, v7, v58
	v_add_u32_e32 v89, 0x800, v62
	s_or_b32 s12, s28, 16
	s_mul_hi_i32 s13, s12, s29
	s_mul_i32 s12, s12, s29
	s_lshl_b64 s[12:13], s[12:13], 2
	s_add_u32 s43, s39, s12
	v_cmp_ngt_f32_e64 s[10:11], s25, v90
	v_cmp_nlt_f32_e64 s[8:9], s41, v90
	s_addc_u32 s44, s40, s13
	s_waitcnt vmcnt(2)
	ds_write_b128 v74, v[1:4]
	s_waitcnt vmcnt(1)
	ds_write_b128 v75, v[8:11]
	;; [unrolled: 2-line block ×3, first 2 shown]
	s_waitcnt lgkmcnt(0)
	; wave barrier
	ds_read2_b64 v[29:32], v62 offset1:28
	ds_read_b128 v[37:40], v71
	ds_read_b128 v[33:36], v71 offset:16
	ds_read2_b64 v[25:28], v62 offset0:56 offset1:84
	ds_read2_b64 v[21:24], v62 offset0:112 offset1:140
	;; [unrolled: 1-line block ×7, first 2 shown]
	s_waitcnt lgkmcnt(0)
	; wave barrier
	s_and_saveexec_b64 s[18:19], s[2:3]
	s_cbranch_execz .LBB49_26
; %bb.25:                               ;   in Loop: Header=BB49_18 Depth=1
	v_mov_b32_e32 v91, s44
	v_add_co_u32_e64 v92, s[12:13], s43, v50
	v_addc_co_u32_e64 v93, s[12:13], v91, v51, s[12:13]
	v_add_co_u32_e64 v91, s[12:13], v92, v77
	v_addc_co_u32_e64 v92, s[12:13], 0, v93, s[12:13]
	global_load_dwordx4 v[91:94], v[91:92], off offset:192
	s_waitcnt vmcnt(0)
	ds_write_b128 v73, v[91:94]
.LBB49_26:                              ;   in Loop: Header=BB49_18 Depth=1
	s_or_b64 exec, exec, s[18:19]
	v_mov_b32_e32 v91, s44
	v_add_co_u32_e64 v92, s[12:13], s43, v52
	v_addc_co_u32_e64 v93, s[12:13], v91, v53, s[12:13]
	v_add_co_u32_e64 v91, s[12:13], v92, v78
	v_addc_co_u32_e64 v92, s[12:13], 0, v93, s[12:13]
	v_mov_b32_e32 v93, s44
	v_add_co_u32_e64 v94, s[12:13], s43, v54
	v_addc_co_u32_e64 v93, s[12:13], v93, v55, s[12:13]
	v_add_co_u32_e64 v95, s[12:13], v94, v79
	v_addc_co_u32_e64 v96, s[12:13], 0, v93, s[12:13]
	v_mov_b32_e32 v99, s44
	v_add_co_u32_e64 v100, s[12:13], s43, v56
	v_addc_co_u32_e64 v101, s[12:13], v99, v57, s[12:13]
	global_load_dwordx4 v[91:94], v[91:92], off offset:128
	s_nop 0
	global_load_dwordx4 v[95:98], v[95:96], off
	v_add_co_u32_e64 v99, s[12:13], v100, v79
	v_addc_co_u32_e64 v100, s[12:13], 0, v101, s[12:13]
	global_load_dwordx4 v[99:102], v[99:100], off
	v_mul_f32_e32 v103, 0x3fb8aa3b, v90
	v_fma_f32 v104, v90, s24, -v103
	v_fmac_f32_e32 v104, 0x32a5705f, v90
	v_rndne_f32_e32 v90, v103
	v_sub_f32_e32 v103, v103, v90
	v_add_f32_e32 v103, v103, v104
	v_exp_f32_e32 v103, v103
	v_cvt_i32_f32_e32 v90, v90
	v_mul_u32_u24_sdwa v104, v37, s42 dst_sel:DWORD dst_unused:UNUSED_PAD src0_sel:WORD_0 src1_sel:DWORD
	v_pk_mul_f16 v29, v29, v104
	v_pk_mul_f16 v30, v30, v104
	v_ldexp_f32 v90, v103, v90
	v_cndmask_b32_e64 v90, 0, v90, s[10:11]
	v_cndmask_b32_e64 v90, v80, v90, s[8:9]
	v_cvt_f16_f32_e32 v103, v90
	v_mul_u32_u24_sdwa v37, v37, s42 dst_sel:DWORD dst_unused:UNUSED_PAD src0_sel:WORD_1 src1_sel:DWORD
	v_mul_u32_u24_sdwa v105, v38, s42 dst_sel:DWORD dst_unused:UNUSED_PAD src0_sel:WORD_0 src1_sel:DWORD
	v_mul_u32_u24_sdwa v38, v38, s42 dst_sel:DWORD dst_unused:UNUSED_PAD src0_sel:WORD_1 src1_sel:DWORD
	v_mul_u32_u24_e32 v103, 0x10001, v103
	v_pk_fma_f16 v29, v63, v103, v29
	v_pk_fma_f16 v30, v67, v103, v30
	;; [unrolled: 1-line block ×6, first 2 shown]
	v_mul_u32_u24_sdwa v106, v39, s42 dst_sel:DWORD dst_unused:UNUSED_PAD src0_sel:WORD_0 src1_sel:DWORD
	v_pk_fma_f16 v25, v27, v38, v25
	v_pk_fma_f16 v26, v28, v38, v26
	v_mul_u32_u24_sdwa v39, v39, s42 dst_sel:DWORD dst_unused:UNUSED_PAD src0_sel:WORD_1 src1_sel:DWORD
	v_pk_fma_f16 v21, v21, v106, v25
	v_pk_fma_f16 v22, v22, v106, v26
	v_mul_u32_u24_sdwa v107, v40, s42 dst_sel:DWORD dst_unused:UNUSED_PAD src0_sel:WORD_0 src1_sel:DWORD
	v_pk_fma_f16 v21, v23, v39, v21
	v_pk_fma_f16 v22, v24, v39, v22
	v_mul_u32_u24_sdwa v40, v40, s42 dst_sel:DWORD dst_unused:UNUSED_PAD src0_sel:WORD_1 src1_sel:DWORD
	v_pk_fma_f16 v17, v17, v107, v21
	v_pk_fma_f16 v18, v18, v107, v22
	;; [unrolled: 6-line block ×5, first 2 shown]
	v_mul_u32_u24_sdwa v111, v36, s42 dst_sel:DWORD dst_unused:UNUSED_PAD src0_sel:WORD_0 src1_sel:DWORD
	v_pk_fma_f16 v5, v7, v35, v5
	v_pk_fma_f16 v6, v8, v35, v6
	;; [unrolled: 1-line block ×4, first 2 shown]
	v_mul_u32_u24_sdwa v36, v36, s42 dst_sel:DWORD dst_unused:UNUSED_PAD src0_sel:WORD_1 src1_sel:DWORD
	s_waitcnt vmcnt(2)
	ds_write_b128 v74, v[91:94]
	s_waitcnt vmcnt(1)
	ds_write_b128 v75, v[95:98]
	;; [unrolled: 2-line block ×3, first 2 shown]
	s_waitcnt lgkmcnt(0)
	; wave barrier
	ds_read_b128 v[5:8], v71 offset:32
	ds_read2_b64 v[9:12], v62 offset1:28
	v_pk_fma_f16 v13, v3, v36, v1
	v_pk_fma_f16 v14, v4, v36, v2
	ds_read_b128 v[1:4], v71 offset:48
	s_waitcnt lgkmcnt(2)
	v_mul_u32_u24_sdwa v15, v5, s42 dst_sel:DWORD dst_unused:UNUSED_PAD src0_sel:WORD_0 src1_sel:DWORD
	s_waitcnt lgkmcnt(1)
	v_pk_fma_f16 v9, v9, v15, v13
	v_pk_fma_f16 v10, v10, v15, v14
	ds_read2_b64 v[13:16], v62 offset0:56 offset1:84
	v_mul_u32_u24_sdwa v5, v5, s42 dst_sel:DWORD dst_unused:UNUSED_PAD src0_sel:WORD_1 src1_sel:DWORD
	v_pk_fma_f16 v9, v11, v5, v9
	v_pk_fma_f16 v5, v12, v5, v10
	v_mul_u32_u24_sdwa v10, v6, s42 dst_sel:DWORD dst_unused:UNUSED_PAD src0_sel:WORD_0 src1_sel:DWORD
	s_waitcnt lgkmcnt(0)
	v_pk_fma_f16 v13, v13, v10, v9
	v_pk_fma_f16 v5, v14, v10, v5
	ds_read2_b64 v[9:12], v62 offset0:112 offset1:140
	v_mul_u32_u24_sdwa v6, v6, s42 dst_sel:DWORD dst_unused:UNUSED_PAD src0_sel:WORD_1 src1_sel:DWORD
	v_pk_fma_f16 v13, v15, v6, v13
	v_pk_fma_f16 v5, v16, v6, v5
	v_mul_u32_u24_sdwa v6, v7, s42 dst_sel:DWORD dst_unused:UNUSED_PAD src0_sel:WORD_0 src1_sel:DWORD
	s_waitcnt lgkmcnt(0)
	v_pk_fma_f16 v9, v9, v6, v13
	ds_read2_b64 v[13:16], v62 offset0:168 offset1:196
	v_pk_fma_f16 v5, v10, v6, v5
	v_mul_u32_u24_sdwa v6, v7, s42 dst_sel:DWORD dst_unused:UNUSED_PAD src0_sel:WORD_1 src1_sel:DWORD
	v_pk_fma_f16 v7, v11, v6, v9
	v_pk_fma_f16 v5, v12, v6, v5
	ds_read2_b64 v[9:12], v62 offset0:224 offset1:252
	v_mul_u32_u24_sdwa v6, v8, s42 dst_sel:DWORD dst_unused:UNUSED_PAD src0_sel:WORD_0 src1_sel:DWORD
	s_waitcnt lgkmcnt(1)
	v_pk_fma_f16 v7, v13, v6, v7
	v_pk_fma_f16 v5, v14, v6, v5
	v_mul_u32_u24_sdwa v6, v8, s42 dst_sel:DWORD dst_unused:UNUSED_PAD src0_sel:WORD_1 src1_sel:DWORD
	v_pk_fma_f16 v7, v15, v6, v7
	v_pk_fma_f16 v5, v16, v6, v5
	v_mul_u32_u24_sdwa v6, v1, s42 dst_sel:DWORD dst_unused:UNUSED_PAD src0_sel:WORD_0 src1_sel:DWORD
	s_waitcnt lgkmcnt(0)
	v_pk_fma_f16 v9, v9, v6, v7
	v_pk_fma_f16 v10, v10, v6, v5
	ds_read2_b64 v[5:8], v89 offset0:24 offset1:52
	v_mul_u32_u24_sdwa v1, v1, s42 dst_sel:DWORD dst_unused:UNUSED_PAD src0_sel:WORD_1 src1_sel:DWORD
	v_pk_fma_f16 v9, v11, v1, v9
	v_pk_fma_f16 v1, v12, v1, v10
	v_mul_u32_u24_sdwa v10, v2, s42 dst_sel:DWORD dst_unused:UNUSED_PAD src0_sel:WORD_0 src1_sel:DWORD
	s_waitcnt lgkmcnt(0)
	v_pk_fma_f16 v5, v5, v10, v9
	v_pk_fma_f16 v1, v6, v10, v1
	ds_read2_b64 v[9:12], v89 offset0:80 offset1:108
	v_mul_u32_u24_sdwa v2, v2, s42 dst_sel:DWORD dst_unused:UNUSED_PAD src0_sel:WORD_1 src1_sel:DWORD
	v_pk_fma_f16 v5, v7, v2, v5
	v_pk_fma_f16 v1, v8, v2, v1
	v_mul_u32_u24_sdwa v2, v3, s42 dst_sel:DWORD dst_unused:UNUSED_PAD src0_sel:WORD_0 src1_sel:DWORD
	s_waitcnt lgkmcnt(0)
	v_pk_fma_f16 v5, v9, v2, v5
	v_pk_fma_f16 v1, v10, v2, v1
	v_mul_u32_u24_sdwa v2, v3, s42 dst_sel:DWORD dst_unused:UNUSED_PAD src0_sel:WORD_1 src1_sel:DWORD
	v_pk_fma_f16 v3, v11, v2, v5
	ds_read2_b64 v[5:8], v89 offset0:136 offset1:164
	s_waitcnt lgkmcnt(0)
	; wave barrier
	s_load_dword s8, s[14:15], 0x4
	v_pk_fma_f16 v1, v12, v2, v1
	v_mul_u32_u24_sdwa v2, v4, s42 dst_sel:DWORD dst_unused:UNUSED_PAD src0_sel:WORD_0 src1_sel:DWORD
	v_pk_fma_f16 v3, v5, v2, v3
	v_pk_fma_f16 v1, v6, v2, v1
	s_waitcnt lgkmcnt(0)
	s_lshl_b32 s8, s8, 5
	v_mul_u32_u24_sdwa v2, v4, s42 dst_sel:DWORD dst_unused:UNUSED_PAD src0_sel:WORD_1 src1_sel:DWORD
	s_add_i32 s28, s8, s28
	v_fmac_f32_e32 v88, v81, v90
	v_pk_fma_f16 v63, v7, v2, v3
	s_cmp_ge_i32 s28, s34
	v_pk_fma_f16 v67, v8, v2, v1
	s_cbranch_scc1 .LBB49_9
; %bb.27:                               ;   in Loop: Header=BB49_18 Depth=1
	v_mov_b32_e32 v7, v58
	v_mov_b32_e32 v81, v88
	s_branch .LBB49_18
	.section	.rodata,"a",@progbits
	.p2align	6, 0x0
	.amdhsa_kernel _ZL15flash_attn_tileILi112ELi112ELi1ELi2ELb0EEvPKcS1_S1_S1_S1_PKiPfP15HIP_vector_typeIfLj2EEffffjfiS5_IjLj3EEiiiiiiiiiiiliiliiiiil
		.amdhsa_group_segment_fixed_size 4736
		.amdhsa_private_segment_fixed_size 0
		.amdhsa_kernarg_size 464
		.amdhsa_user_sgpr_count 6
		.amdhsa_user_sgpr_private_segment_buffer 1
		.amdhsa_user_sgpr_dispatch_ptr 0
		.amdhsa_user_sgpr_queue_ptr 0
		.amdhsa_user_sgpr_kernarg_segment_ptr 1
		.amdhsa_user_sgpr_dispatch_id 0
		.amdhsa_user_sgpr_flat_scratch_init 0
		.amdhsa_user_sgpr_private_segment_size 0
		.amdhsa_uses_dynamic_stack 0
		.amdhsa_system_sgpr_private_segment_wavefront_offset 0
		.amdhsa_system_sgpr_workgroup_id_x 1
		.amdhsa_system_sgpr_workgroup_id_y 1
		.amdhsa_system_sgpr_workgroup_id_z 1
		.amdhsa_system_sgpr_workgroup_info 0
		.amdhsa_system_vgpr_workitem_id 1
		.amdhsa_next_free_vgpr 112
		.amdhsa_next_free_sgpr 98
		.amdhsa_reserve_vcc 1
		.amdhsa_reserve_flat_scratch 0
		.amdhsa_float_round_mode_32 0
		.amdhsa_float_round_mode_16_64 0
		.amdhsa_float_denorm_mode_32 3
		.amdhsa_float_denorm_mode_16_64 3
		.amdhsa_dx10_clamp 1
		.amdhsa_ieee_mode 1
		.amdhsa_fp16_overflow 0
		.amdhsa_exception_fp_ieee_invalid_op 0
		.amdhsa_exception_fp_denorm_src 0
		.amdhsa_exception_fp_ieee_div_zero 0
		.amdhsa_exception_fp_ieee_overflow 0
		.amdhsa_exception_fp_ieee_underflow 0
		.amdhsa_exception_fp_ieee_inexact 0
		.amdhsa_exception_int_div_zero 0
	.end_amdhsa_kernel
	.section	.text._ZL15flash_attn_tileILi112ELi112ELi1ELi2ELb0EEvPKcS1_S1_S1_S1_PKiPfP15HIP_vector_typeIfLj2EEffffjfiS5_IjLj3EEiiiiiiiiiiiliiliiiiil,"axG",@progbits,_ZL15flash_attn_tileILi112ELi112ELi1ELi2ELb0EEvPKcS1_S1_S1_S1_PKiPfP15HIP_vector_typeIfLj2EEffffjfiS5_IjLj3EEiiiiiiiiiiiliiliiiiil,comdat
.Lfunc_end49:
	.size	_ZL15flash_attn_tileILi112ELi112ELi1ELi2ELb0EEvPKcS1_S1_S1_S1_PKiPfP15HIP_vector_typeIfLj2EEffffjfiS5_IjLj3EEiiiiiiiiiiiliiliiiiil, .Lfunc_end49-_ZL15flash_attn_tileILi112ELi112ELi1ELi2ELb0EEvPKcS1_S1_S1_S1_PKiPfP15HIP_vector_typeIfLj2EEffffjfiS5_IjLj3EEiiiiiiiiiiiliiliiiiil
                                        ; -- End function
	.set _ZL15flash_attn_tileILi112ELi112ELi1ELi2ELb0EEvPKcS1_S1_S1_S1_PKiPfP15HIP_vector_typeIfLj2EEffffjfiS5_IjLj3EEiiiiiiiiiiiliiliiiiil.num_vgpr, 112
	.set _ZL15flash_attn_tileILi112ELi112ELi1ELi2ELb0EEvPKcS1_S1_S1_S1_PKiPfP15HIP_vector_typeIfLj2EEffffjfiS5_IjLj3EEiiiiiiiiiiiliiliiiiil.num_agpr, 0
	.set _ZL15flash_attn_tileILi112ELi112ELi1ELi2ELb0EEvPKcS1_S1_S1_S1_PKiPfP15HIP_vector_typeIfLj2EEffffjfiS5_IjLj3EEiiiiiiiiiiiliiliiiiil.numbered_sgpr, 45
	.set _ZL15flash_attn_tileILi112ELi112ELi1ELi2ELb0EEvPKcS1_S1_S1_S1_PKiPfP15HIP_vector_typeIfLj2EEffffjfiS5_IjLj3EEiiiiiiiiiiiliiliiiiil.num_named_barrier, 0
	.set _ZL15flash_attn_tileILi112ELi112ELi1ELi2ELb0EEvPKcS1_S1_S1_S1_PKiPfP15HIP_vector_typeIfLj2EEffffjfiS5_IjLj3EEiiiiiiiiiiiliiliiiiil.private_seg_size, 0
	.set _ZL15flash_attn_tileILi112ELi112ELi1ELi2ELb0EEvPKcS1_S1_S1_S1_PKiPfP15HIP_vector_typeIfLj2EEffffjfiS5_IjLj3EEiiiiiiiiiiiliiliiiiil.uses_vcc, 1
	.set _ZL15flash_attn_tileILi112ELi112ELi1ELi2ELb0EEvPKcS1_S1_S1_S1_PKiPfP15HIP_vector_typeIfLj2EEffffjfiS5_IjLj3EEiiiiiiiiiiiliiliiiiil.uses_flat_scratch, 0
	.set _ZL15flash_attn_tileILi112ELi112ELi1ELi2ELb0EEvPKcS1_S1_S1_S1_PKiPfP15HIP_vector_typeIfLj2EEffffjfiS5_IjLj3EEiiiiiiiiiiiliiliiiiil.has_dyn_sized_stack, 0
	.set _ZL15flash_attn_tileILi112ELi112ELi1ELi2ELb0EEvPKcS1_S1_S1_S1_PKiPfP15HIP_vector_typeIfLj2EEffffjfiS5_IjLj3EEiiiiiiiiiiiliiliiiiil.has_recursion, 0
	.set _ZL15flash_attn_tileILi112ELi112ELi1ELi2ELb0EEvPKcS1_S1_S1_S1_PKiPfP15HIP_vector_typeIfLj2EEffffjfiS5_IjLj3EEiiiiiiiiiiiliiliiiiil.has_indirect_call, 0
	.section	.AMDGPU.csdata,"",@progbits
; Kernel info:
; codeLenInByte = 5540
; TotalNumSgprs: 49
; NumVgprs: 112
; ScratchSize: 0
; MemoryBound: 0
; FloatMode: 240
; IeeeMode: 1
; LDSByteSize: 4736 bytes/workgroup (compile time only)
; SGPRBlocks: 12
; VGPRBlocks: 27
; NumSGPRsForWavesPerEU: 102
; NumVGPRsForWavesPerEU: 112
; Occupancy: 2
; WaveLimiterHint : 1
; COMPUTE_PGM_RSRC2:SCRATCH_EN: 0
; COMPUTE_PGM_RSRC2:USER_SGPR: 6
; COMPUTE_PGM_RSRC2:TRAP_HANDLER: 0
; COMPUTE_PGM_RSRC2:TGID_X_EN: 1
; COMPUTE_PGM_RSRC2:TGID_Y_EN: 1
; COMPUTE_PGM_RSRC2:TGID_Z_EN: 1
; COMPUTE_PGM_RSRC2:TIDIG_COMP_CNT: 1
	.section	.text._ZL33flash_attn_stream_k_fixup_uniformILi112ELi1ELi2EEvPfPK15HIP_vector_typeIfLj2EEiiiiiiS1_IjLj3EES5_S5_,"axG",@progbits,_ZL33flash_attn_stream_k_fixup_uniformILi112ELi1ELi2EEvPfPK15HIP_vector_typeIfLj2EEiiiiiiS1_IjLj3EES5_S5_,comdat
	.globl	_ZL33flash_attn_stream_k_fixup_uniformILi112ELi1ELi2EEvPfPK15HIP_vector_typeIfLj2EEiiiiiiS1_IjLj3EES5_S5_ ; -- Begin function _ZL33flash_attn_stream_k_fixup_uniformILi112ELi1ELi2EEvPfPK15HIP_vector_typeIfLj2EEiiiiiiS1_IjLj3EES5_S5_
	.p2align	8
	.type	_ZL33flash_attn_stream_k_fixup_uniformILi112ELi1ELi2EEvPfPK15HIP_vector_typeIfLj2EEiiiiiiS1_IjLj3EES5_S5_,@function
_ZL33flash_attn_stream_k_fixup_uniformILi112ELi1ELi2EEvPfPK15HIP_vector_typeIfLj2EEiiiiiiS1_IjLj3EES5_S5_: ; @_ZL33flash_attn_stream_k_fixup_uniformILi112ELi1ELi2EEvPfPK15HIP_vector_typeIfLj2EEiiiiiiS1_IjLj3EES5_S5_
; %bb.0:
	s_load_dwordx8 s[12:19], s[4:5], 0x1c
	s_load_dwordx2 s[10:11], s[4:5], 0x10
	s_load_dwordx4 s[0:3], s[4:5], 0x3c
	s_waitcnt lgkmcnt(0)
	s_mul_hi_u32 s9, s15, s6
	s_add_i32 s9, s6, s9
	s_lshr_b32 s9, s9, s16
	s_mul_i32 s15, s9, s17
	s_sub_i32 s16, s6, s15
	s_mul_hi_u32 s15, s16, s18
	s_add_i32 s15, s16, s15
	s_lshr_b32 s15, s15, s19
	s_mul_i32 s0, s15, s0
	s_sub_i32 s0, s16, s0
	;; [unrolled: 5-line block ×3, first 2 shown]
	s_lshl_b32 s17, s1, 1
	s_add_i32 s16, s16, s7
	s_cmp_lt_i32 s16, s10
	s_cselect_b64 s[0:1], -1, 0
	s_add_i32 s17, s17, s8
	s_cmp_lt_i32 s17, s13
	s_cselect_b64 s[2:3], -1, 0
	s_and_b64 s[0:1], s[0:1], s[2:3]
	s_andn2_b64 vcc, exec, s[0:1]
	s_cbranch_vccnz .LBB50_6
; %bb.1:
	s_mul_i32 s9, s9, s10
	s_load_dwordx4 s[0:3], s[4:5], 0x0
	s_mul_i32 s15, s15, s13
	s_add_i32 s4, s16, s9
	s_mul_i32 s4, s4, s11
	s_add_i32 s5, s17, s15
	s_add_i32 s4, s5, s4
	s_mulk_i32 s4, 0x70
	v_add_u32_e32 v1, s4, v0
	v_ashrrev_i32_e32 v2, 31, v1
	v_lshlrev_b64 v[1:2], 2, v[1:2]
	s_waitcnt lgkmcnt(0)
	v_mov_b32_e32 v3, s1
	v_add_co_u32_e32 v1, vcc, s0, v1
	v_addc_co_u32_e32 v2, vcc, v3, v2, vcc
	global_load_dword v8, v[1:2], off
	s_mul_i32 s9, s14, s6
	s_add_i32 s4, s9, s14
	s_add_i32 s0, s7, s4
	s_lshl_b32 s0, s0, 1
	s_add_i32 s0, s0, s8
	s_add_i32 s0, s0, -2
	s_ashr_i32 s1, s0, 31
	s_lshl_b64 s[0:1], s[0:1], 3
	s_add_u32 s0, s2, s0
	s_addc_u32 s1, s3, s1
	s_load_dword s5, s[0:1], 0x4
	s_add_i32 s10, s4, -2
	s_cmp_lt_i32 s10, s9
	s_cbranch_scc1 .LBB50_4
; %bb.2:
	s_lshl_b32 s10, s12, 3
	s_ashr_i32 s11, s10, 31
	s_lshl_b64 s[10:11], s[10:11], 2
	s_add_u32 s10, s2, s10
	s_addc_u32 s13, s3, s11
	s_add_i32 s6, s6, 1
	s_load_dword s0, s[0:1], 0x0
	s_mul_i32 s1, s14, s6
	s_mul_i32 s6, s7, 0xe0
	;; [unrolled: 1-line block ×3, first 2 shown]
	s_mulk_i32 s1, 0xe0
	s_add_i32 s6, s14, s6
	s_add_i32 s6, s6, s1
	;; [unrolled: 1-line block ×4, first 2 shown]
	s_lshl_b32 s1, s1, 1
	v_add_u32_e32 v0, s6, v0
	s_add_i32 s1, s8, s1
	s_add_i32 s11, s4, -1
	v_add_u32_e32 v3, 0xfffffe40, v0
	s_add_i32 s4, s1, -4
	s_waitcnt lgkmcnt(0)
	v_mov_b32_e32 v7, s5
	v_mov_b32_e32 v6, s0
	;; [unrolled: 1-line block ×3, first 2 shown]
	s_mov_b32 s6, 0x3fb8aa3b
	s_mov_b32 s7, 0xc2ce8ed0
	;; [unrolled: 1-line block ×3, first 2 shown]
	v_mov_b32_e32 v5, 0x7f800000
	s_mov_b32 s12, 0xc1a00000
.LBB50_3:                               ; =>This Inner Loop Header: Depth=1
	v_ashrrev_i32_e32 v4, 31, v3
	v_lshlrev_b64 v[9:10], 2, v[3:4]
	s_ashr_i32 s5, s4, 31
	v_add_co_u32_e32 v9, vcc, s10, v9
	v_addc_co_u32_e32 v10, vcc, v0, v10, vcc
	global_load_dword v4, v[9:10], off
	s_lshl_b64 s[0:1], s[4:5], 3
	s_add_u32 s0, s2, s0
	s_addc_u32 s1, s3, s1
	s_load_dwordx2 s[14:15], s[0:1], 0x0
	s_waitcnt vmcnt(1)
	v_mov_b32_e32 v9, v8
	v_max_f32_e32 v8, v6, v6
	v_mov_b32_e32 v10, v7
	s_add_i32 s11, s11, -1
	s_waitcnt lgkmcnt(0)
	v_max_f32_e64 v7, s14, s14
	v_max_f32_e32 v7, v8, v7
	v_sub_f32_e32 v11, s14, v7
	v_sub_f32_e32 v8, v6, v7
	v_mul_f32_e32 v12, 0x3fb8aa3b, v11
	v_mov_b32_e32 v6, v7
	v_mul_f32_e32 v7, 0x3fb8aa3b, v8
	v_fma_f32 v15, v11, s6, -v12
	v_rndne_f32_e32 v16, v12
	v_fma_f32 v13, v8, s6, -v7
	v_rndne_f32_e32 v14, v7
	v_fmac_f32_e32 v15, 0x32a5705f, v11
	v_sub_f32_e32 v12, v12, v16
	v_fmac_f32_e32 v13, 0x32a5705f, v8
	v_sub_f32_e32 v7, v7, v14
	v_add_f32_e32 v12, v12, v15
	v_cvt_i32_f32_e32 v16, v16
	v_add_f32_e32 v7, v7, v13
	v_exp_f32_e32 v12, v12
	v_cvt_i32_f32_e32 v14, v14
	v_exp_f32_e32 v7, v7
	v_cmp_ngt_f32_e32 vcc, s7, v11
	v_ldexp_f32 v12, v12, v16
	v_cmp_ngt_f32_e64 s[0:1], s7, v8
	v_ldexp_f32 v7, v7, v14
	v_cndmask_b32_e32 v12, 0, v12, vcc
	v_cmp_nlt_f32_e32 vcc, s8, v11
	v_cndmask_b32_e64 v7, 0, v7, s[0:1]
	v_cmp_nlt_f32_e64 s[0:1], s8, v8
	v_cndmask_b32_e32 v12, v5, v12, vcc
	v_cmp_le_f32_e32 vcc, s12, v11
	v_cndmask_b32_e64 v7, v5, v7, s[0:1]
	v_cmp_le_f32_e64 s[0:1], s12, v8
	v_cndmask_b32_e32 v8, 0, v12, vcc
	s_add_i32 s4, s4, -2
	v_cndmask_b32_e64 v11, 0, v7, s[0:1]
	v_mul_f32_e32 v7, s15, v8
	v_add_u32_e32 v3, 0xffffff20, v3
	s_cmp_le_i32 s11, s9
	v_fmac_f32_e32 v7, v10, v11
	s_waitcnt vmcnt(0)
	v_mul_f32_e32 v8, v4, v8
	v_fmac_f32_e32 v8, v9, v11
	s_cbranch_scc0 .LBB50_3
	s_branch .LBB50_5
.LBB50_4:
	s_waitcnt lgkmcnt(0)
	v_mov_b32_e32 v7, s5
.LBB50_5:
	s_waitcnt vmcnt(0)
	v_div_scale_f32 v0, s[0:1], v7, v7, v8
	v_div_scale_f32 v3, vcc, v8, v7, v8
	v_rcp_f32_e32 v4, v0
	v_fma_f32 v5, -v0, v4, 1.0
	v_fmac_f32_e32 v4, v5, v4
	v_mul_f32_e32 v5, v3, v4
	v_fma_f32 v6, -v0, v5, v3
	v_fmac_f32_e32 v5, v6, v4
	v_fma_f32 v0, -v0, v5, v3
	v_div_fmas_f32 v0, v0, v4, v5
	v_div_fixup_f32 v0, v0, v7, v8
	global_store_dword v[1:2], v0, off
.LBB50_6:
	s_endpgm
	.section	.rodata,"a",@progbits
	.p2align	6, 0x0
	.amdhsa_kernel _ZL33flash_attn_stream_k_fixup_uniformILi112ELi1ELi2EEvPfPK15HIP_vector_typeIfLj2EEiiiiiiS1_IjLj3EES5_S5_
		.amdhsa_group_segment_fixed_size 0
		.amdhsa_private_segment_fixed_size 0
		.amdhsa_kernarg_size 76
		.amdhsa_user_sgpr_count 6
		.amdhsa_user_sgpr_private_segment_buffer 1
		.amdhsa_user_sgpr_dispatch_ptr 0
		.amdhsa_user_sgpr_queue_ptr 0
		.amdhsa_user_sgpr_kernarg_segment_ptr 1
		.amdhsa_user_sgpr_dispatch_id 0
		.amdhsa_user_sgpr_flat_scratch_init 0
		.amdhsa_user_sgpr_private_segment_size 0
		.amdhsa_uses_dynamic_stack 0
		.amdhsa_system_sgpr_private_segment_wavefront_offset 0
		.amdhsa_system_sgpr_workgroup_id_x 1
		.amdhsa_system_sgpr_workgroup_id_y 1
		.amdhsa_system_sgpr_workgroup_id_z 1
		.amdhsa_system_sgpr_workgroup_info 0
		.amdhsa_system_vgpr_workitem_id 0
		.amdhsa_next_free_vgpr 17
		.amdhsa_next_free_sgpr 20
		.amdhsa_reserve_vcc 1
		.amdhsa_reserve_flat_scratch 0
		.amdhsa_float_round_mode_32 0
		.amdhsa_float_round_mode_16_64 0
		.amdhsa_float_denorm_mode_32 3
		.amdhsa_float_denorm_mode_16_64 3
		.amdhsa_dx10_clamp 1
		.amdhsa_ieee_mode 1
		.amdhsa_fp16_overflow 0
		.amdhsa_exception_fp_ieee_invalid_op 0
		.amdhsa_exception_fp_denorm_src 0
		.amdhsa_exception_fp_ieee_div_zero 0
		.amdhsa_exception_fp_ieee_overflow 0
		.amdhsa_exception_fp_ieee_underflow 0
		.amdhsa_exception_fp_ieee_inexact 0
		.amdhsa_exception_int_div_zero 0
	.end_amdhsa_kernel
	.section	.text._ZL33flash_attn_stream_k_fixup_uniformILi112ELi1ELi2EEvPfPK15HIP_vector_typeIfLj2EEiiiiiiS1_IjLj3EES5_S5_,"axG",@progbits,_ZL33flash_attn_stream_k_fixup_uniformILi112ELi1ELi2EEvPfPK15HIP_vector_typeIfLj2EEiiiiiiS1_IjLj3EES5_S5_,comdat
.Lfunc_end50:
	.size	_ZL33flash_attn_stream_k_fixup_uniformILi112ELi1ELi2EEvPfPK15HIP_vector_typeIfLj2EEiiiiiiS1_IjLj3EES5_S5_, .Lfunc_end50-_ZL33flash_attn_stream_k_fixup_uniformILi112ELi1ELi2EEvPfPK15HIP_vector_typeIfLj2EEiiiiiiS1_IjLj3EES5_S5_
                                        ; -- End function
	.set _ZL33flash_attn_stream_k_fixup_uniformILi112ELi1ELi2EEvPfPK15HIP_vector_typeIfLj2EEiiiiiiS1_IjLj3EES5_S5_.num_vgpr, 17
	.set _ZL33flash_attn_stream_k_fixup_uniformILi112ELi1ELi2EEvPfPK15HIP_vector_typeIfLj2EEiiiiiiS1_IjLj3EES5_S5_.num_agpr, 0
	.set _ZL33flash_attn_stream_k_fixup_uniformILi112ELi1ELi2EEvPfPK15HIP_vector_typeIfLj2EEiiiiiiS1_IjLj3EES5_S5_.numbered_sgpr, 20
	.set _ZL33flash_attn_stream_k_fixup_uniformILi112ELi1ELi2EEvPfPK15HIP_vector_typeIfLj2EEiiiiiiS1_IjLj3EES5_S5_.num_named_barrier, 0
	.set _ZL33flash_attn_stream_k_fixup_uniformILi112ELi1ELi2EEvPfPK15HIP_vector_typeIfLj2EEiiiiiiS1_IjLj3EES5_S5_.private_seg_size, 0
	.set _ZL33flash_attn_stream_k_fixup_uniformILi112ELi1ELi2EEvPfPK15HIP_vector_typeIfLj2EEiiiiiiS1_IjLj3EES5_S5_.uses_vcc, 1
	.set _ZL33flash_attn_stream_k_fixup_uniformILi112ELi1ELi2EEvPfPK15HIP_vector_typeIfLj2EEiiiiiiS1_IjLj3EES5_S5_.uses_flat_scratch, 0
	.set _ZL33flash_attn_stream_k_fixup_uniformILi112ELi1ELi2EEvPfPK15HIP_vector_typeIfLj2EEiiiiiiS1_IjLj3EES5_S5_.has_dyn_sized_stack, 0
	.set _ZL33flash_attn_stream_k_fixup_uniformILi112ELi1ELi2EEvPfPK15HIP_vector_typeIfLj2EEiiiiiiS1_IjLj3EES5_S5_.has_recursion, 0
	.set _ZL33flash_attn_stream_k_fixup_uniformILi112ELi1ELi2EEvPfPK15HIP_vector_typeIfLj2EEiiiiiiS1_IjLj3EES5_S5_.has_indirect_call, 0
	.section	.AMDGPU.csdata,"",@progbits
; Kernel info:
; codeLenInByte = 836
; TotalNumSgprs: 24
; NumVgprs: 17
; ScratchSize: 0
; MemoryBound: 0
; FloatMode: 240
; IeeeMode: 1
; LDSByteSize: 0 bytes/workgroup (compile time only)
; SGPRBlocks: 2
; VGPRBlocks: 4
; NumSGPRsForWavesPerEU: 24
; NumVGPRsForWavesPerEU: 17
; Occupancy: 10
; WaveLimiterHint : 0
; COMPUTE_PGM_RSRC2:SCRATCH_EN: 0
; COMPUTE_PGM_RSRC2:USER_SGPR: 6
; COMPUTE_PGM_RSRC2:TRAP_HANDLER: 0
; COMPUTE_PGM_RSRC2:TGID_X_EN: 1
; COMPUTE_PGM_RSRC2:TGID_Y_EN: 1
; COMPUTE_PGM_RSRC2:TGID_Z_EN: 1
; COMPUTE_PGM_RSRC2:TIDIG_COMP_CNT: 0
	.section	.text._ZL33flash_attn_stream_k_fixup_generalILi112ELi1ELi2EEvPfPK15HIP_vector_typeIfLj2EEiiiiS1_IjLj3EES5_S5_S5_,"axG",@progbits,_ZL33flash_attn_stream_k_fixup_generalILi112ELi1ELi2EEvPfPK15HIP_vector_typeIfLj2EEiiiiS1_IjLj3EES5_S5_S5_,comdat
	.globl	_ZL33flash_attn_stream_k_fixup_generalILi112ELi1ELi2EEvPfPK15HIP_vector_typeIfLj2EEiiiiS1_IjLj3EES5_S5_S5_ ; -- Begin function _ZL33flash_attn_stream_k_fixup_generalILi112ELi1ELi2EEvPfPK15HIP_vector_typeIfLj2EEiiiiS1_IjLj3EES5_S5_S5_
	.p2align	8
	.type	_ZL33flash_attn_stream_k_fixup_generalILi112ELi1ELi2EEvPfPK15HIP_vector_typeIfLj2EEiiiiS1_IjLj3EES5_S5_S5_,@function
_ZL33flash_attn_stream_k_fixup_generalILi112ELi1ELi2EEvPfPK15HIP_vector_typeIfLj2EEiiiiS1_IjLj3EES5_S5_S5_: ; @_ZL33flash_attn_stream_k_fixup_generalILi112ELi1ELi2EEvPfPK15HIP_vector_typeIfLj2EEiiiiS1_IjLj3EES5_S5_S5_
; %bb.0:
	s_load_dwordx4 s[0:3], s[4:5], 0x10
	s_load_dword s9, s[4:5], 0x50
	s_mov_b32 s12, 0
	s_waitcnt lgkmcnt(0)
	s_mul_hi_i32 s13, s3, s6
	s_cmp_lg_u64 s[12:13], 0
	s_mul_i32 s18, s3, s6
	s_cbranch_scc0 .LBB51_20
; %bb.1:
	s_add_u32 s10, s9, 0
	s_addc_u32 s11, 0, 0
	s_xor_b64 s[10:11], s[10:11], 0
	v_cvt_f32_u32_e32 v1, s10
	v_cvt_f32_u32_e32 v2, s11
	s_sub_u32 s12, 0, s10
	s_subb_u32 s19, 0, s11
	v_madmk_f32 v1, v2, 0x4f800000, v1
	v_rcp_f32_e32 v1, v1
	v_mul_f32_e32 v1, 0x5f7ffffc, v1
	v_mul_f32_e32 v2, 0x2f800000, v1
	v_trunc_f32_e32 v2, v2
	v_madmk_f32 v1, v2, 0xcf800000, v1
	v_cvt_u32_f32_e32 v2, v2
	v_cvt_u32_f32_e32 v1, v1
	v_readfirstlane_b32 s20, v2
	v_readfirstlane_b32 s14, v1
	s_mul_i32 s15, s12, s20
	s_mul_hi_u32 s22, s12, s14
	s_mul_i32 s21, s19, s14
	s_add_i32 s15, s22, s15
	s_add_i32 s15, s15, s21
	s_mul_i32 s23, s12, s14
	s_mul_i32 s22, s14, s15
	s_mul_hi_u32 s24, s14, s23
	s_mul_hi_u32 s21, s14, s15
	s_add_u32 s22, s24, s22
	s_addc_u32 s21, 0, s21
	s_mul_hi_u32 s25, s20, s23
	s_mul_i32 s23, s20, s23
	s_add_u32 s22, s22, s23
	s_mul_hi_u32 s24, s20, s15
	s_addc_u32 s21, s21, s25
	s_addc_u32 s22, s24, 0
	s_mul_i32 s15, s20, s15
	s_add_u32 s15, s21, s15
	s_addc_u32 s21, 0, s22
	s_add_u32 s22, s14, s15
	s_cselect_b64 s[14:15], -1, 0
	s_cmp_lg_u64 s[14:15], 0
	s_addc_u32 s20, s20, s21
	s_mul_i32 s14, s12, s20
	s_mul_hi_u32 s15, s12, s22
	s_add_i32 s14, s15, s14
	s_mul_i32 s19, s19, s22
	s_add_i32 s14, s14, s19
	s_mul_i32 s12, s12, s22
	s_mul_hi_u32 s19, s20, s12
	s_mul_i32 s21, s20, s12
	s_mul_i32 s24, s22, s14
	s_mul_hi_u32 s12, s22, s12
	s_mul_hi_u32 s23, s22, s14
	s_add_u32 s12, s12, s24
	s_addc_u32 s23, 0, s23
	s_add_u32 s12, s12, s21
	s_mul_hi_u32 s15, s20, s14
	s_addc_u32 s12, s23, s19
	s_addc_u32 s15, s15, 0
	s_mul_i32 s14, s20, s14
	s_add_u32 s12, s12, s14
	s_addc_u32 s19, 0, s15
	s_add_u32 s21, s22, s12
	s_cselect_b64 s[14:15], -1, 0
	s_cmp_lg_u64 s[14:15], 0
	s_addc_u32 s19, s20, s19
	s_ashr_i32 s14, s13, 31
	s_add_u32 s12, s18, s14
	s_mov_b32 s15, s14
	s_addc_u32 s13, s13, s14
	s_xor_b64 s[12:13], s[12:13], s[14:15]
	s_mul_i32 s22, s12, s19
	s_mul_hi_u32 s23, s12, s21
	s_mul_hi_u32 s20, s12, s19
	s_add_u32 s22, s23, s22
	s_addc_u32 s20, 0, s20
	s_mul_hi_u32 s24, s13, s21
	s_mul_i32 s21, s13, s21
	s_add_u32 s21, s22, s21
	s_mul_hi_u32 s23, s13, s19
	s_addc_u32 s20, s20, s24
	s_addc_u32 s21, s23, 0
	s_mul_i32 s19, s13, s19
	s_add_u32 s19, s20, s19
	s_addc_u32 s24, 0, s21
	s_mul_i32 s20, s10, s24
	s_mul_hi_u32 s21, s10, s19
	s_add_i32 s20, s21, s20
	s_mul_i32 s21, s11, s19
	s_add_i32 s25, s20, s21
	s_sub_i32 s22, s13, s25
	s_mul_i32 s20, s10, s19
	s_sub_u32 s12, s12, s20
	s_cselect_b64 s[20:21], -1, 0
	s_cmp_lg_u64 s[20:21], 0
	s_subb_u32 s26, s22, s11
	s_sub_u32 s27, s12, s10
	s_cselect_b64 s[22:23], -1, 0
	s_cmp_lg_u64 s[22:23], 0
	s_subb_u32 s22, s26, 0
	s_cmp_ge_u32 s22, s11
	s_cselect_b32 s23, -1, 0
	s_cmp_ge_u32 s27, s10
	s_cselect_b32 s26, -1, 0
	s_cmp_eq_u32 s22, s11
	s_cselect_b32 s22, s26, s23
	s_add_u32 s23, s19, 1
	s_addc_u32 s26, s24, 0
	s_add_u32 s27, s19, 2
	s_addc_u32 s28, s24, 0
	s_cmp_lg_u32 s22, 0
	s_cselect_b32 s22, s27, s23
	s_cselect_b32 s23, s28, s26
	s_cmp_lg_u64 s[20:21], 0
	s_subb_u32 s13, s13, s25
	s_cmp_ge_u32 s13, s11
	s_cselect_b32 s20, -1, 0
	s_cmp_ge_u32 s12, s10
	s_cselect_b32 s10, -1, 0
	s_cmp_eq_u32 s13, s11
	s_cselect_b32 s10, s10, s20
	s_cmp_lg_u32 s10, 0
	s_cselect_b32 s11, s23, s24
	s_cselect_b32 s10, s22, s19
	s_xor_b64 s[12:13], s[14:15], 0
	s_xor_b64 s[10:11], s[10:11], s[12:13]
	s_sub_u32 s10, s10, s12
	s_load_dwordx4 s[12:15], s[4:5], 0x44
	s_cbranch_execnz .LBB51_3
.LBB51_2:
	v_cvt_f32_u32_e32 v1, s9
	s_sub_i32 s10, 0, s9
	v_rcp_iflag_f32_e32 v1, v1
	v_mul_f32_e32 v1, 0x4f7ffffe, v1
	v_cvt_u32_f32_e32 v1, v1
	v_readfirstlane_b32 s11, v1
	s_mul_i32 s10, s10, s11
	s_mul_hi_u32 s10, s11, s10
	s_add_i32 s11, s11, s10
	s_mul_hi_u32 s10, s18, s11
	s_waitcnt lgkmcnt(0)
	s_mul_i32 s15, s10, s9
	s_sub_i32 s15, s18, s15
	s_add_i32 s11, s10, 1
	s_sub_i32 s16, s15, s9
	s_cmp_ge_u32 s15, s9
	s_cselect_b32 s10, s11, s10
	s_cselect_b32 s15, s16, s15
	s_add_i32 s11, s10, 1
	s_cmp_ge_u32 s15, s9
	s_cselect_b32 s10, s11, s10
.LBB51_3:
	s_add_i32 s11, s6, 1
	s_mul_hi_i32 s21, s3, s11
	s_mov_b32 s20, 0
	s_cmp_lg_u64 s[20:21], 0
	s_mul_i32 s11, s3, s11
	s_cbranch_scc0 .LBB51_21
; %bb.4:
	s_add_u32 s16, s9, 0
	s_addc_u32 s17, 0, 0
	s_xor_b64 s[18:19], s[16:17], 0
	v_cvt_f32_u32_e32 v1, s18
	v_cvt_f32_u32_e32 v2, s19
	s_waitcnt lgkmcnt(0)
	s_sub_u32 s15, 0, s18
	s_subb_u32 s20, 0, s19
	v_madmk_f32 v1, v2, 0x4f800000, v1
	v_rcp_f32_e32 v1, v1
	v_mul_f32_e32 v1, 0x5f7ffffc, v1
	v_mul_f32_e32 v2, 0x2f800000, v1
	v_trunc_f32_e32 v2, v2
	v_madmk_f32 v1, v2, 0xcf800000, v1
	v_cvt_u32_f32_e32 v2, v2
	v_cvt_u32_f32_e32 v1, v1
	v_readfirstlane_b32 s24, v2
	v_readfirstlane_b32 s22, v1
	s_mul_i32 s23, s15, s24
	s_mul_hi_u32 s26, s15, s22
	s_mul_i32 s25, s20, s22
	s_add_i32 s23, s26, s23
	s_add_i32 s23, s23, s25
	s_mul_i32 s27, s15, s22
	s_mul_i32 s26, s22, s23
	s_mul_hi_u32 s28, s22, s27
	s_mul_hi_u32 s25, s22, s23
	s_add_u32 s26, s28, s26
	s_addc_u32 s25, 0, s25
	s_mul_hi_u32 s29, s24, s27
	s_mul_i32 s27, s24, s27
	s_add_u32 s26, s26, s27
	s_mul_hi_u32 s28, s24, s23
	s_addc_u32 s25, s25, s29
	s_addc_u32 s26, s28, 0
	s_mul_i32 s23, s24, s23
	s_add_u32 s23, s25, s23
	s_addc_u32 s25, 0, s26
	s_add_u32 s26, s22, s23
	s_cselect_b64 s[22:23], -1, 0
	s_cmp_lg_u64 s[22:23], 0
	s_addc_u32 s24, s24, s25
	s_mul_i32 s22, s15, s24
	s_mul_hi_u32 s23, s15, s26
	s_add_i32 s22, s23, s22
	s_mul_i32 s20, s20, s26
	s_add_i32 s22, s22, s20
	s_mul_i32 s15, s15, s26
	s_mul_hi_u32 s23, s24, s15
	s_mul_i32 s25, s24, s15
	s_mul_i32 s28, s26, s22
	s_mul_hi_u32 s15, s26, s15
	s_mul_hi_u32 s27, s26, s22
	s_add_u32 s15, s15, s28
	s_addc_u32 s27, 0, s27
	s_add_u32 s15, s15, s25
	s_mul_hi_u32 s20, s24, s22
	s_addc_u32 s15, s27, s23
	s_addc_u32 s20, s20, 0
	s_mul_i32 s22, s24, s22
	s_add_u32 s15, s15, s22
	s_addc_u32 s20, 0, s20
	s_add_u32 s15, s26, s15
	s_cselect_b64 s[22:23], -1, 0
	s_cmp_lg_u64 s[22:23], 0
	s_addc_u32 s24, s24, s20
	s_ashr_i32 s22, s21, 31
	s_add_u32 s20, s11, s22
	s_mov_b32 s23, s22
	s_addc_u32 s21, s21, s22
	s_xor_b64 s[20:21], s[20:21], s[22:23]
	s_mul_i32 s26, s20, s24
	s_mul_hi_u32 s27, s20, s15
	s_mul_hi_u32 s25, s20, s24
	s_add_u32 s26, s27, s26
	s_addc_u32 s25, 0, s25
	s_mul_hi_u32 s28, s21, s15
	s_mul_i32 s15, s21, s15
	s_add_u32 s15, s26, s15
	s_mul_hi_u32 s27, s21, s24
	s_addc_u32 s15, s25, s28
	s_addc_u32 s25, s27, 0
	s_mul_i32 s24, s21, s24
	s_add_u32 s15, s15, s24
	s_addc_u32 s28, 0, s25
	s_mul_i32 s24, s18, s28
	s_mul_hi_u32 s25, s18, s15
	s_add_i32 s24, s25, s24
	s_mul_i32 s25, s19, s15
	s_add_i32 s29, s24, s25
	s_sub_i32 s26, s21, s29
	s_mul_i32 s24, s18, s15
	s_sub_u32 s20, s20, s24
	s_cselect_b64 s[24:25], -1, 0
	s_cmp_lg_u64 s[24:25], 0
	s_subb_u32 s30, s26, s19
	s_sub_u32 s31, s20, s18
	s_cselect_b64 s[26:27], -1, 0
	s_cmp_lg_u64 s[26:27], 0
	s_subb_u32 s26, s30, 0
	s_cmp_ge_u32 s26, s19
	s_cselect_b32 s27, -1, 0
	s_cmp_ge_u32 s31, s18
	s_cselect_b32 s30, -1, 0
	s_cmp_eq_u32 s26, s19
	s_cselect_b32 s26, s30, s27
	s_add_u32 s27, s15, 1
	s_addc_u32 s30, s28, 0
	s_add_u32 s31, s15, 2
	s_addc_u32 s33, s28, 0
	s_cmp_lg_u32 s26, 0
	s_cselect_b32 s26, s31, s27
	s_cselect_b32 s27, s33, s30
	s_cmp_lg_u64 s[24:25], 0
	s_subb_u32 s21, s21, s29
	s_cmp_ge_u32 s21, s19
	s_cselect_b32 s24, -1, 0
	s_cmp_ge_u32 s20, s18
	s_cselect_b32 s18, -1, 0
	s_cmp_eq_u32 s21, s19
	s_cselect_b32 s18, s18, s24
	s_cmp_lg_u32 s18, 0
	s_cselect_b32 s19, s27, s28
	s_cselect_b32 s18, s26, s15
	s_xor_b64 s[20:21], s[22:23], 0
	s_xor_b64 s[18:19], s[18:19], s[20:21]
	s_sub_u32 s18, s18, s20
	s_cbranch_execnz .LBB51_6
.LBB51_5:
	v_cvt_f32_u32_e32 v1, s9
	s_waitcnt lgkmcnt(0)
	s_sub_i32 s15, 0, s9
	v_rcp_iflag_f32_e32 v1, v1
	v_mul_f32_e32 v1, 0x4f7ffffe, v1
	v_cvt_u32_f32_e32 v1, v1
	v_readfirstlane_b32 s16, v1
	s_mul_i32 s15, s15, s16
	s_mul_hi_u32 s15, s16, s15
	s_add_i32 s16, s16, s15
	s_mul_hi_u32 s15, s11, s16
	s_mul_i32 s17, s15, s9
	s_sub_i32 s11, s11, s17
	s_add_i32 s16, s15, 1
	s_sub_i32 s17, s11, s9
	s_cmp_ge_u32 s11, s9
	s_cselect_b32 s15, s16, s15
	s_cselect_b32 s11, s17, s11
	s_add_i32 s16, s15, 1
	s_cmp_ge_u32 s11, s9
	s_cselect_b32 s18, s16, s15
.LBB51_6:
	s_cmp_eq_u32 s10, s18
	s_waitcnt lgkmcnt(0)
	s_mul_hi_u32 s11, s10, s12
	s_cselect_b64 s[16:17], -1, 0
	s_add_i32 s11, s11, s10
	s_lshr_b32 s11, s11, s13
	s_mul_i32 s15, s11, s14
	s_cmp_eq_u32 s15, s10
	s_mul_hi_u32 s15, s18, s12
	s_cselect_b64 s[20:21], -1, 0
	s_add_i32 s15, s15, s18
	s_lshr_b32 s15, s15, s13
	s_cmp_eq_u32 s11, s15
	s_mul_i32 s15, s15, s14
	s_cselect_b64 s[22:23], -1, 0
	s_cmp_lg_u32 s15, s18
	s_cselect_b64 s[18:19], -1, 0
	s_and_b64 s[18:19], s[22:23], s[18:19]
	s_or_b64 s[16:17], s[16:17], s[20:21]
	s_or_b64 s[16:17], s[16:17], s[18:19]
	s_and_b64 vcc, exec, s[16:17]
	s_cbranch_vccnz .LBB51_23
; %bb.7:
	s_load_dwordx8 s[20:27], s[4:5], 0x20
	s_load_dword s15, s[4:5], 0x40
	s_waitcnt lgkmcnt(0)
	s_mul_hi_u32 s16, s10, s20
	s_add_i32 s16, s16, s10
	s_lshr_b32 s21, s16, s21
	s_mul_i32 s16, s21, s22
	s_sub_i32 s16, s10, s16
	s_mul_hi_u32 s17, s16, s23
	s_add_i32 s17, s16, s17
	s_lshr_b32 s22, s17, s24
	s_mul_i32 s17, s22, s25
	s_sub_i32 s16, s16, s17
	s_mul_hi_u32 s17, s16, s26
	s_add_i32 s17, s16, s17
	s_lshr_b32 s17, s17, s27
	s_mul_i32 s15, s17, s15
	s_sub_i32 s15, s16, s15
	s_mul_hi_u32 s16, s15, s12
	s_add_i32 s15, s15, s16
	s_lshr_b32 s23, s15, s13
	s_lshl_b32 s24, s17, 1
	s_add_i32 s23, s23, s7
	s_cmp_lt_i32 s23, s0
	s_cselect_b64 s[16:17], -1, 0
	s_add_i32 s24, s24, s8
	s_cmp_lt_i32 s24, s2
	s_cselect_b64 s[18:19], -1, 0
	s_and_b64 s[16:17], s[16:17], s[18:19]
	s_andn2_b64 vcc, exec, s[16:17]
	s_cbranch_vccnz .LBB51_23
; %bb.8:
	s_load_dwordx4 s[16:19], s[4:5], 0x0
	s_lshl_b32 s4, s7, 1
	s_add_i32 s5, s4, s8
	s_mov_b32 s4, 0
	s_lshl_b32 s26, s9, 3
	s_mov_b32 s27, s4
	s_lshl_b64 s[26:27], s[26:27], 2
	s_waitcnt lgkmcnt(0)
	s_add_u32 s15, s18, s26
	s_mul_i32 s21, s21, s0
	s_addc_u32 s20, s19, s27
	s_mul_i32 s22, s22, s2
	s_add_i32 s0, s23, s21
	s_mul_i32 s0, s0, s1
	s_add_i32 s1, s24, s22
	s_add_i32 s0, s1, s0
	s_mulk_i32 s0, 0x70
	v_add_u32_e32 v1, s0, v0
	v_ashrrev_i32_e32 v2, 31, v1
	v_lshlrev_b64 v[1:2], 2, v[1:2]
	v_mov_b32_e32 v3, s17
	v_add_co_u32_e32 v1, vcc, s16, v1
	v_addc_co_u32_e32 v2, vcc, v3, v2, vcc
	global_load_dword v3, v[1:2], off
	s_add_i32 s0, s7, s6
	v_cvt_f32_u32_e32 v4, s9
	s_lshl_b32 s0, s0, 1
	s_add_i32 s0, s0, s8
	s_ashr_i32 s1, s0, 31
	s_lshl_b64 s[0:1], s[0:1], 3
	v_rcp_iflag_f32_e32 v4, v4
	s_add_u32 s0, s18, s0
	s_addc_u32 s1, s19, s1
	s_load_dwordx2 s[0:1], s[0:1], 0x0
	v_mul_f32_e32 v4, 0x4f7ffffe, v4
	v_cvt_u32_f32_e32 v4, v4
	s_mulk_i32 s5, 0x70
	s_add_i32 s25, s6, -1
	v_add_u32_e32 v0, s5, v0
	s_add_i32 s2, s9, s7
	s_waitcnt lgkmcnt(0)
	v_mov_b32_e32 v6, s1
	v_mov_b32_e32 v7, s0
	s_mov_b32 s21, 0x3fb8aa3b
	s_mov_b32 s22, 0xc2ce8ed0
	;; [unrolled: 1-line block ×4, first 2 shown]
	v_mov_b32_e32 v5, 0x7f800000
	s_mul_hi_i32 s5, s25, s3
	s_cmp_lg_u64 s[4:5], 0
	s_mul_i32 s16, s25, s3
	s_cbranch_scc0 .LBB51_19
.LBB51_9:
	s_add_u32 s0, s9, 0
	s_addc_u32 s1, 0, 0
	s_xor_b64 s[0:1], s[0:1], 0
	v_cvt_f32_u32_e32 v8, s0
	v_cvt_f32_u32_e32 v9, s1
	s_sub_u32 s17, 0, s0
	s_subb_u32 s26, 0, s1
	v_mac_f32_e32 v8, 0x4f800000, v9
	v_rcp_f32_e32 v8, v8
	v_mul_f32_e32 v8, 0x5f7ffffc, v8
	v_mul_f32_e32 v9, 0x2f800000, v8
	v_trunc_f32_e32 v9, v9
	v_mac_f32_e32 v8, 0xcf800000, v9
	v_cvt_u32_f32_e32 v9, v9
	v_cvt_u32_f32_e32 v8, v8
	v_readfirstlane_b32 s27, v9
	v_readfirstlane_b32 s6, v8
	s_mul_i32 s7, s17, s27
	s_mul_hi_u32 s29, s17, s6
	s_mul_i32 s28, s26, s6
	s_add_i32 s7, s29, s7
	s_mul_i32 s30, s17, s6
	s_add_i32 s7, s7, s28
	s_mul_i32 s29, s6, s7
	s_mul_hi_u32 s31, s6, s30
	s_mul_hi_u32 s28, s6, s7
	s_add_u32 s29, s31, s29
	s_addc_u32 s28, 0, s28
	s_mul_hi_u32 s33, s27, s30
	s_mul_i32 s30, s27, s30
	s_add_u32 s29, s29, s30
	s_mul_hi_u32 s31, s27, s7
	s_addc_u32 s28, s28, s33
	s_addc_u32 s29, s31, 0
	s_mul_i32 s7, s27, s7
	s_add_u32 s7, s28, s7
	s_addc_u32 s28, 0, s29
	s_add_u32 s29, s6, s7
	s_cselect_b64 s[6:7], -1, 0
	s_cmp_lg_u64 s[6:7], 0
	s_addc_u32 s27, s27, s28
	s_mul_i32 s6, s17, s27
	s_mul_hi_u32 s7, s17, s29
	s_add_i32 s6, s7, s6
	s_mul_i32 s26, s26, s29
	s_add_i32 s6, s6, s26
	s_mul_i32 s17, s17, s29
	s_mul_hi_u32 s26, s27, s17
	s_mul_i32 s28, s27, s17
	s_mul_i32 s31, s29, s6
	s_mul_hi_u32 s17, s29, s17
	s_mul_hi_u32 s30, s29, s6
	s_add_u32 s17, s17, s31
	s_addc_u32 s30, 0, s30
	s_add_u32 s17, s17, s28
	s_mul_hi_u32 s7, s27, s6
	s_addc_u32 s17, s30, s26
	s_addc_u32 s7, s7, 0
	s_mul_i32 s6, s27, s6
	s_add_u32 s6, s17, s6
	s_addc_u32 s17, 0, s7
	s_add_u32 s28, s29, s6
	s_cselect_b64 s[6:7], -1, 0
	s_cmp_lg_u64 s[6:7], 0
	s_addc_u32 s17, s27, s17
	s_ashr_i32 s6, s5, 31
	s_add_u32 s26, s16, s6
	s_mov_b32 s7, s6
	s_addc_u32 s27, s5, s6
	s_xor_b64 s[26:27], s[26:27], s[6:7]
	s_mul_i32 s29, s26, s17
	s_mul_hi_u32 s30, s26, s28
	s_mul_hi_u32 s5, s26, s17
	s_add_u32 s29, s30, s29
	s_addc_u32 s5, 0, s5
	s_mul_hi_u32 s31, s27, s28
	s_mul_i32 s28, s27, s28
	s_add_u32 s28, s29, s28
	s_mul_hi_u32 s30, s27, s17
	s_addc_u32 s5, s5, s31
	s_addc_u32 s28, s30, 0
	s_mul_i32 s17, s27, s17
	s_add_u32 s5, s5, s17
	s_addc_u32 s17, 0, s28
	s_mul_i32 s28, s0, s17
	s_mul_hi_u32 s29, s0, s5
	s_add_i32 s28, s29, s28
	s_mul_i32 s29, s1, s5
	s_add_i32 s33, s28, s29
	s_sub_i32 s30, s27, s33
	s_mul_i32 s28, s0, s5
	s_sub_u32 s26, s26, s28
	s_cselect_b64 s[28:29], -1, 0
	s_cmp_lg_u64 s[28:29], 0
	s_subb_u32 s34, s30, s1
	s_sub_u32 s35, s26, s0
	s_cselect_b64 s[30:31], -1, 0
	s_cmp_lg_u64 s[30:31], 0
	s_subb_u32 s30, s34, 0
	s_cmp_ge_u32 s30, s1
	s_cselect_b32 s31, -1, 0
	s_cmp_ge_u32 s35, s0
	s_cselect_b32 s34, -1, 0
	s_cmp_eq_u32 s30, s1
	s_cselect_b32 s30, s34, s31
	s_add_u32 s31, s5, 1
	s_addc_u32 s34, s17, 0
	s_add_u32 s35, s5, 2
	s_addc_u32 s36, s17, 0
	s_cmp_lg_u32 s30, 0
	s_cselect_b32 s30, s35, s31
	s_cselect_b32 s31, s36, s34
	s_cmp_lg_u64 s[28:29], 0
	s_subb_u32 s27, s27, s33
	s_cmp_ge_u32 s27, s1
	s_cselect_b32 s28, -1, 0
	s_cmp_ge_u32 s26, s0
	s_cselect_b32 s0, -1, 0
	s_cmp_eq_u32 s27, s1
	s_cselect_b32 s0, s0, s28
	s_cmp_lg_u32 s0, 0
	s_cselect_b32 s1, s31, s17
	s_cselect_b32 s0, s30, s5
	s_xor_b64 s[6:7], s[6:7], 0
	s_xor_b64 s[0:1], s[0:1], s[6:7]
	s_sub_u32 s6, s0, s6
	s_cbranch_execnz .LBB51_11
.LBB51_10:
	s_sub_i32 s0, 0, s9
	v_readfirstlane_b32 s1, v4
	s_mul_i32 s0, s0, s1
	s_mul_hi_u32 s0, s1, s0
	s_add_i32 s1, s1, s0
	s_mul_hi_u32 s0, s16, s1
	s_mul_i32 s5, s0, s9
	s_sub_i32 s5, s16, s5
	s_add_i32 s1, s0, 1
	s_sub_i32 s6, s5, s9
	s_cmp_ge_u32 s5, s9
	s_cselect_b32 s0, s1, s0
	s_cselect_b32 s5, s6, s5
	s_add_i32 s1, s0, 1
	s_cmp_ge_u32 s5, s9
	s_cselect_b32 s6, s1, s0
.LBB51_11:
	s_cmp_lg_u32 s10, s6
	s_mov_b64 s[16:17], -1
                                        ; implicit-def: $sgpr0_sgpr1
                                        ; implicit-def: $vgpr10
                                        ; implicit-def: $vgpr8
                                        ; implicit-def: $vgpr9
                                        ; implicit-def: $sgpr5
                                        ; implicit-def: $sgpr7
	s_cbranch_scc1 .LBB51_14
; %bb.12:
	s_andn2_b64 vcc, exec, s[16:17]
	s_cbranch_vccz .LBB51_17
.LBB51_13:
	s_andn2_b64 vcc, exec, s[0:1]
	s_cbranch_vccnz .LBB51_18
	s_branch .LBB51_22
.LBB51_14:
	s_add_i32 s0, s2, s25
	s_lshl_b32 s0, s0, 1
	s_add_i32 s0, s0, s8
	s_mov_b32 s1, s4
	s_lshl_b64 s[0:1], s[0:1], 3
	s_add_u32 s16, s18, s0
	s_mul_hi_u32 s0, s6, s12
	s_addc_u32 s17, s19, s1
	s_add_i32 s0, s0, s6
	s_lshr_b32 s5, s0, s13
	s_mul_i32 s0, s5, s14
	s_cmp_eq_u32 s0, s6
	s_cselect_b64 s[0:1], -1, 0
	s_cmp_lt_u32 s5, s11
	s_cselect_b64 s[26:27], -1, 0
	s_or_b64 s[26:27], s[26:27], s[0:1]
	s_mov_b64 s[0:1], -1
	s_and_b64 vcc, exec, s[26:27]
	s_mov_b32 s5, s25
	s_mov_b32 s7, s10
	s_cbranch_vccnz .LBB51_16
; %bb.15:
	s_add_i32 s5, s25, -1
	s_mov_b64 s[0:1], 0
	s_mov_b32 s7, s6
.LBB51_16:
	s_mul_i32 s6, s25, 0xe0
	v_add_u32_e32 v8, s6, v0
	v_ashrrev_i32_e32 v9, 31, v8
	v_lshlrev_b64 v[8:9], 2, v[8:9]
	v_mov_b32_e32 v10, s20
	v_add_co_u32_e32 v8, vcc, s15, v8
	v_addc_co_u32_e32 v9, vcc, v10, v9, vcc
	global_load_dword v10, v[8:9], off
	s_load_dwordx2 s[16:17], s[16:17], 0x0
	v_max_f32_e32 v8, v7, v7
	s_waitcnt lgkmcnt(0)
	v_max_f32_e64 v9, s16, s16
	v_max_f32_e32 v8, v8, v9
	v_sub_f32_e32 v9, v7, v8
	v_sub_f32_e32 v11, s16, v8
	v_mul_f32_e32 v12, 0x3fb8aa3b, v9
	v_mul_f32_e32 v13, 0x3fb8aa3b, v11
	v_fma_f32 v14, v9, s21, -v12
	v_rndne_f32_e32 v15, v12
	v_fma_f32 v16, v11, s21, -v13
	v_rndne_f32_e32 v17, v13
	v_fmac_f32_e32 v14, 0x32a5705f, v9
	v_sub_f32_e32 v12, v12, v15
	v_fmac_f32_e32 v16, 0x32a5705f, v11
	v_sub_f32_e32 v13, v13, v17
	v_add_f32_e32 v12, v12, v14
	v_cvt_i32_f32_e32 v15, v15
	v_add_f32_e32 v13, v13, v16
	v_exp_f32_e32 v12, v12
	v_cvt_i32_f32_e32 v17, v17
	v_exp_f32_e32 v13, v13
	v_cmp_ngt_f32_e32 vcc, s22, v9
	v_ldexp_f32 v12, v12, v15
	v_cndmask_b32_e32 v12, 0, v12, vcc
	v_ldexp_f32 v13, v13, v17
	v_cmp_ngt_f32_e32 vcc, s22, v11
	v_cndmask_b32_e32 v13, 0, v13, vcc
	v_cmp_nlt_f32_e32 vcc, s23, v9
	v_cndmask_b32_e32 v12, v5, v12, vcc
	v_cmp_nlt_f32_e32 vcc, s23, v11
	v_cndmask_b32_e32 v13, v5, v13, vcc
	v_cmp_le_f32_e32 vcc, s24, v9
	v_cndmask_b32_e32 v12, 0, v12, vcc
	v_cmp_le_f32_e32 vcc, s24, v11
	v_cndmask_b32_e32 v11, 0, v13, vcc
	v_mul_f32_e32 v9, s17, v11
	v_fmac_f32_e32 v9, v6, v12
	s_waitcnt vmcnt(0)
	v_mul_f32_e32 v10, v10, v11
	v_fmac_f32_e32 v10, v3, v12
	s_cbranch_execnz .LBB51_13
.LBB51_17:
	s_add_i32 s5, s25, -1
	s_mov_b32 s7, s10
	v_mov_b32_e32 v9, v6
	v_mov_b32_e32 v8, v7
	s_waitcnt vmcnt(0)
	v_mov_b32_e32 v10, v3
	s_cbranch_execz .LBB51_22
.LBB51_18:
	s_mov_b32 s10, s7
	s_mov_b32 s25, s5
	v_mov_b32_e32 v6, v9
	v_mov_b32_e32 v7, v8
	s_waitcnt vmcnt(0)
	v_mov_b32_e32 v3, v10
	s_mul_hi_i32 s5, s25, s3
	s_cmp_lg_u64 s[4:5], 0
	s_mul_i32 s16, s25, s3
	s_cbranch_scc1 .LBB51_9
.LBB51_19:
                                        ; implicit-def: $sgpr6_sgpr7
	s_branch .LBB51_10
.LBB51_20:
                                        ; implicit-def: $sgpr10_sgpr11
	s_load_dwordx4 s[12:15], s[4:5], 0x44
	s_branch .LBB51_2
.LBB51_21:
                                        ; implicit-def: $sgpr18_sgpr19
	s_branch .LBB51_5
.LBB51_22:
	v_div_scale_f32 v0, s[0:1], v9, v9, v10
	s_waitcnt vmcnt(0)
	v_div_scale_f32 v3, vcc, v10, v9, v10
	v_rcp_f32_e32 v4, v0
	v_fma_f32 v5, -v0, v4, 1.0
	v_fmac_f32_e32 v4, v5, v4
	v_mul_f32_e32 v5, v3, v4
	v_fma_f32 v6, -v0, v5, v3
	v_fmac_f32_e32 v5, v6, v4
	v_fma_f32 v0, -v0, v5, v3
	v_div_fmas_f32 v0, v0, v4, v5
	v_div_fixup_f32 v0, v0, v9, v10
	global_store_dword v[1:2], v0, off
.LBB51_23:
	s_endpgm
	.section	.rodata,"a",@progbits
	.p2align	6, 0x0
	.amdhsa_kernel _ZL33flash_attn_stream_k_fixup_generalILi112ELi1ELi2EEvPfPK15HIP_vector_typeIfLj2EEiiiiS1_IjLj3EES5_S5_S5_
		.amdhsa_group_segment_fixed_size 0
		.amdhsa_private_segment_fixed_size 0
		.amdhsa_kernarg_size 336
		.amdhsa_user_sgpr_count 6
		.amdhsa_user_sgpr_private_segment_buffer 1
		.amdhsa_user_sgpr_dispatch_ptr 0
		.amdhsa_user_sgpr_queue_ptr 0
		.amdhsa_user_sgpr_kernarg_segment_ptr 1
		.amdhsa_user_sgpr_dispatch_id 0
		.amdhsa_user_sgpr_flat_scratch_init 0
		.amdhsa_user_sgpr_private_segment_size 0
		.amdhsa_uses_dynamic_stack 0
		.amdhsa_system_sgpr_private_segment_wavefront_offset 0
		.amdhsa_system_sgpr_workgroup_id_x 1
		.amdhsa_system_sgpr_workgroup_id_y 1
		.amdhsa_system_sgpr_workgroup_id_z 1
		.amdhsa_system_sgpr_workgroup_info 0
		.amdhsa_system_vgpr_workitem_id 0
		.amdhsa_next_free_vgpr 18
		.amdhsa_next_free_sgpr 37
		.amdhsa_reserve_vcc 1
		.amdhsa_reserve_flat_scratch 0
		.amdhsa_float_round_mode_32 0
		.amdhsa_float_round_mode_16_64 0
		.amdhsa_float_denorm_mode_32 3
		.amdhsa_float_denorm_mode_16_64 3
		.amdhsa_dx10_clamp 1
		.amdhsa_ieee_mode 1
		.amdhsa_fp16_overflow 0
		.amdhsa_exception_fp_ieee_invalid_op 0
		.amdhsa_exception_fp_denorm_src 0
		.amdhsa_exception_fp_ieee_div_zero 0
		.amdhsa_exception_fp_ieee_overflow 0
		.amdhsa_exception_fp_ieee_underflow 0
		.amdhsa_exception_fp_ieee_inexact 0
		.amdhsa_exception_int_div_zero 0
	.end_amdhsa_kernel
	.section	.text._ZL33flash_attn_stream_k_fixup_generalILi112ELi1ELi2EEvPfPK15HIP_vector_typeIfLj2EEiiiiS1_IjLj3EES5_S5_S5_,"axG",@progbits,_ZL33flash_attn_stream_k_fixup_generalILi112ELi1ELi2EEvPfPK15HIP_vector_typeIfLj2EEiiiiS1_IjLj3EES5_S5_S5_,comdat
.Lfunc_end51:
	.size	_ZL33flash_attn_stream_k_fixup_generalILi112ELi1ELi2EEvPfPK15HIP_vector_typeIfLj2EEiiiiS1_IjLj3EES5_S5_S5_, .Lfunc_end51-_ZL33flash_attn_stream_k_fixup_generalILi112ELi1ELi2EEvPfPK15HIP_vector_typeIfLj2EEiiiiS1_IjLj3EES5_S5_S5_
                                        ; -- End function
	.set _ZL33flash_attn_stream_k_fixup_generalILi112ELi1ELi2EEvPfPK15HIP_vector_typeIfLj2EEiiiiS1_IjLj3EES5_S5_S5_.num_vgpr, 18
	.set _ZL33flash_attn_stream_k_fixup_generalILi112ELi1ELi2EEvPfPK15HIP_vector_typeIfLj2EEiiiiS1_IjLj3EES5_S5_S5_.num_agpr, 0
	.set _ZL33flash_attn_stream_k_fixup_generalILi112ELi1ELi2EEvPfPK15HIP_vector_typeIfLj2EEiiiiS1_IjLj3EES5_S5_S5_.numbered_sgpr, 37
	.set _ZL33flash_attn_stream_k_fixup_generalILi112ELi1ELi2EEvPfPK15HIP_vector_typeIfLj2EEiiiiS1_IjLj3EES5_S5_S5_.num_named_barrier, 0
	.set _ZL33flash_attn_stream_k_fixup_generalILi112ELi1ELi2EEvPfPK15HIP_vector_typeIfLj2EEiiiiS1_IjLj3EES5_S5_S5_.private_seg_size, 0
	.set _ZL33flash_attn_stream_k_fixup_generalILi112ELi1ELi2EEvPfPK15HIP_vector_typeIfLj2EEiiiiS1_IjLj3EES5_S5_S5_.uses_vcc, 1
	.set _ZL33flash_attn_stream_k_fixup_generalILi112ELi1ELi2EEvPfPK15HIP_vector_typeIfLj2EEiiiiS1_IjLj3EES5_S5_S5_.uses_flat_scratch, 0
	.set _ZL33flash_attn_stream_k_fixup_generalILi112ELi1ELi2EEvPfPK15HIP_vector_typeIfLj2EEiiiiS1_IjLj3EES5_S5_S5_.has_dyn_sized_stack, 0
	.set _ZL33flash_attn_stream_k_fixup_generalILi112ELi1ELi2EEvPfPK15HIP_vector_typeIfLj2EEiiiiS1_IjLj3EES5_S5_S5_.has_recursion, 0
	.set _ZL33flash_attn_stream_k_fixup_generalILi112ELi1ELi2EEvPfPK15HIP_vector_typeIfLj2EEiiiiS1_IjLj3EES5_S5_S5_.has_indirect_call, 0
	.section	.AMDGPU.csdata,"",@progbits
; Kernel info:
; codeLenInByte = 2932
; TotalNumSgprs: 41
; NumVgprs: 18
; ScratchSize: 0
; MemoryBound: 0
; FloatMode: 240
; IeeeMode: 1
; LDSByteSize: 0 bytes/workgroup (compile time only)
; SGPRBlocks: 5
; VGPRBlocks: 4
; NumSGPRsForWavesPerEU: 41
; NumVGPRsForWavesPerEU: 18
; Occupancy: 10
; WaveLimiterHint : 0
; COMPUTE_PGM_RSRC2:SCRATCH_EN: 0
; COMPUTE_PGM_RSRC2:USER_SGPR: 6
; COMPUTE_PGM_RSRC2:TRAP_HANDLER: 0
; COMPUTE_PGM_RSRC2:TGID_X_EN: 1
; COMPUTE_PGM_RSRC2:TGID_Y_EN: 1
; COMPUTE_PGM_RSRC2:TGID_Z_EN: 1
; COMPUTE_PGM_RSRC2:TIDIG_COMP_CNT: 0
	.section	.text._ZL15flash_attn_tileILi112ELi112ELi64ELi1ELb0EEvPKcS1_S1_S1_S1_PKiPfP15HIP_vector_typeIfLj2EEffffjfiS5_IjLj3EEiiiiiiiiiiiliiliiiiil,"axG",@progbits,_ZL15flash_attn_tileILi112ELi112ELi64ELi1ELb0EEvPKcS1_S1_S1_S1_PKiPfP15HIP_vector_typeIfLj2EEffffjfiS5_IjLj3EEiiiiiiiiiiiliiliiiiil,comdat
	.globl	_ZL15flash_attn_tileILi112ELi112ELi64ELi1ELb0EEvPKcS1_S1_S1_S1_PKiPfP15HIP_vector_typeIfLj2EEffffjfiS5_IjLj3EEiiiiiiiiiiiliiliiiiil ; -- Begin function _ZL15flash_attn_tileILi112ELi112ELi64ELi1ELb0EEvPKcS1_S1_S1_S1_PKiPfP15HIP_vector_typeIfLj2EEffffjfiS5_IjLj3EEiiiiiiiiiiiliiliiiiil
	.p2align	8
	.type	_ZL15flash_attn_tileILi112ELi112ELi64ELi1ELb0EEvPKcS1_S1_S1_S1_PKiPfP15HIP_vector_typeIfLj2EEffffjfiS5_IjLj3EEiiiiiiiiiiiliiliiiiil,@function
_ZL15flash_attn_tileILi112ELi112ELi64ELi1ELb0EEvPKcS1_S1_S1_S1_PKiPfP15HIP_vector_typeIfLj2EEffffjfiS5_IjLj3EEiiiiiiiiiiiliiliiiiil: ; @_ZL15flash_attn_tileILi112ELi112ELi64ELi1ELb0EEvPKcS1_S1_S1_S1_PKiPfP15HIP_vector_typeIfLj2EEffffjfiS5_IjLj3EEiiiiiiiiiiiliiliiiiil
; %bb.0:
	s_add_u32 flat_scratch_lo, s6, s11
	s_addc_u32 flat_scratch_hi, s7, 0
	s_add_u32 s0, s0, s11
	s_addc_u32 s1, s1, 0
	buffer_store_dword v1, off, s[0:3], 0 offset:328 ; 4-byte Folded Spill
	buffer_store_dword v0, off, s[0:3], 0 offset:200 ; 4-byte Folded Spill
	s_load_dwordx4 s[64:67], s[4:5], 0x5c
	s_load_dwordx2 s[72:73], s[4:5], 0x80
	s_load_dwordx16 s[48:63], s[4:5], 0x0
	s_load_dwordx2 s[16:17], s[4:5], 0xb8
	s_mov_b64 s[70:71], 0
	s_waitcnt lgkmcnt(0)
	v_cvt_f32_u32_e32 v0, s67
	s_sub_i32 s6, 0, s67
	v_rcp_iflag_f32_e32 v0, v0
	v_mul_f32_e32 v0, 0x4f7ffffe, v0
	v_cvt_u32_f32_e32 v0, v0
	v_readfirstlane_b32 s7, v0
	s_mul_i32 s6, s6, s7
	s_mul_hi_u32 s6, s7, s6
	s_add_i32 s7, s7, s6
	s_mul_hi_u32 s6, s10, s7
	s_mul_i32 s7, s6, s67
	s_sub_i32 s7, s10, s7
	s_add_i32 s11, s6, 1
	s_sub_i32 s12, s7, s67
	s_cmp_ge_u32 s7, s67
	s_cselect_b32 s6, s11, s6
	s_cselect_b32 s7, s12, s7
	s_add_i32 s11, s6, 1
	s_cmp_ge_u32 s7, s67
	s_cselect_b32 s78, s11, s6
	s_abs_i32 s6, s73
	v_cvt_f32_u32_e32 v0, s6
	s_sub_i32 s12, 0, s6
	s_abs_i32 s11, s67
	s_xor_b32 s7, s67, s73
	v_rcp_iflag_f32_e32 v0, v0
	s_ashr_i32 s7, s7, 31
	v_mul_f32_e32 v0, 0x4f7ffffe, v0
	v_cvt_u32_f32_e32 v0, v0
	v_readfirstlane_b32 s13, v0
	s_mul_i32 s12, s12, s13
	s_mul_hi_u32 s12, s13, s12
	s_add_i32 s13, s13, s12
	s_mul_hi_u32 s12, s11, s13
	s_mul_i32 s13, s12, s6
	s_sub_i32 s11, s11, s13
	s_add_i32 s14, s12, 1
	s_sub_i32 s13, s11, s6
	s_cmp_ge_u32 s11, s6
	s_cselect_b32 s12, s14, s12
	s_cselect_b32 s11, s13, s11
	s_add_i32 s13, s12, 1
	s_cmp_ge_u32 s11, s6
	s_cselect_b32 s6, s13, s12
	s_xor_b32 s6, s6, s7
	s_sub_i32 s19, s6, s7
	s_abs_i32 s18, s19
	v_cvt_f32_u32_e32 v0, s18
	s_mul_i32 s6, s78, s67
	s_cmp_eq_u64 s[54:55], 0
	v_rcp_iflag_f32_e32 v0, v0
	v_mul_f32_e32 v0, 0x4f7ffffe, v0
	v_cvt_u32_f32_e32 v0, v0
	v_readfirstlane_b32 s20, v0
	s_cbranch_scc1 .LBB52_2
; %bb.1:
	s_abs_i32 s7, s16
	v_cvt_f32_u32_e32 v0, s7
	s_sub_i32 s15, 0, s7
	s_abs_i32 s14, s78
	s_ashr_i32 s11, s78, 31
	v_rcp_iflag_f32_e32 v0, v0
	s_load_dwordx2 s[12:13], s[4:5], 0xc8
	v_mul_f32_e32 v0, 0x4f7ffffe, v0
	v_cvt_u32_f32_e32 v0, v0
	v_readfirstlane_b32 s16, v0
	s_mul_i32 s15, s15, s16
	s_mul_hi_u32 s15, s16, s15
	s_add_i32 s16, s16, s15
	s_mul_hi_u32 s15, s14, s16
	s_mul_i32 s15, s15, s7
	s_sub_i32 s14, s14, s15
	s_sub_i32 s15, s14, s7
	s_cmp_ge_u32 s14, s7
	s_cselect_b32 s14, s15, s14
	s_sub_i32 s15, s14, s7
	s_cmp_ge_u32 s14, s7
	s_cselect_b32 s7, s15, s14
	s_xor_b32 s7, s7, s11
	s_sub_i32 s7, s7, s11
	s_ashr_i32 s11, s7, 31
	s_waitcnt lgkmcnt(0)
	s_mul_hi_u32 s14, s12, s7
	s_mul_i32 s11, s12, s11
	s_mul_i32 s13, s13, s7
	s_add_i32 s11, s14, s11
	s_add_i32 s11, s11, s13
	s_mul_i32 s7, s12, s7
	s_add_u32 s70, s54, s7
	s_addc_u32 s71, s55, s11
.LBB52_2:
	s_load_dwordx4 s[12:15], s[4:5], 0x40
	s_sub_i32 s68, s10, s6
	s_load_dword s6, s[4:5], 0x50
	v_mov_b32_e32 v0, 1.0
	buffer_store_dword v0, off, s[0:3], 0 offset:16 ; 4-byte Folded Spill
	s_waitcnt lgkmcnt(0)
	v_cmp_le_f32_e64 s[10:11], s13, 0
	s_and_b64 vcc, exec, s[10:11]
	s_cbranch_vccnz .LBB52_4
; %bb.3:
	v_mov_b32_e32 v0, s6
	v_sub_co_u32_e32 v0, vcc, s68, v0
	v_mov_b32_e32 v1, s15
	v_mov_b32_e32 v2, s14
	s_add_i32 s6, s68, 1
	v_lshlrev_b32_e32 v0, 1, v0
	v_cndmask_b32_e32 v1, v1, v2, vcc
	v_or_b32_e32 v0, 1, v0
	v_mov_b32_e32 v2, s6
	v_cndmask_b32_e32 v0, v0, v2, vcc
	v_cvt_f32_i32_e32 v0, v0
	v_cmp_neq_f32_e32 vcc, 1.0, v1
	s_mov_b32 s6, 0x3f2aaaab
	s_movk_i32 s10, 0x204
	v_cndmask_b32_e32 v2, 1.0, v0, vcc
	v_cmp_neq_f32_e32 vcc, 0, v2
	v_cndmask_b32_e32 v3, 1.0, v1, vcc
	v_frexp_mant_f32_e64 v0, |v3|
	v_cmp_gt_f32_e32 vcc, s6, v0
	v_cndmask_b32_e64 v1, 1.0, 2.0, vcc
	v_mul_f32_e32 v0, v0, v1
	v_add_f32_e32 v1, 1.0, v0
	v_rcp_f32_e32 v4, v1
	v_add_f32_e32 v5, -1.0, v0
	v_add_f32_e32 v6, -1.0, v1
	v_sub_f32_e32 v0, v0, v6
	v_mul_f32_e32 v6, v5, v4
	v_mul_f32_e32 v7, v1, v6
	v_fma_f32 v1, v6, v1, -v7
	v_fmac_f32_e32 v1, v6, v0
	v_add_f32_e32 v0, v7, v1
	v_sub_f32_e32 v8, v5, v0
	v_sub_f32_e32 v7, v0, v7
	;; [unrolled: 1-line block ×5, first 2 shown]
	v_add_f32_e32 v0, v1, v0
	v_add_f32_e32 v0, v8, v0
	v_mul_f32_e32 v0, v4, v0
	v_add_f32_e32 v4, v6, v0
	v_sub_f32_e32 v1, v4, v6
	v_sub_f32_e32 v5, v0, v1
	v_mul_f32_e32 v0, v4, v4
	v_fma_f32 v1, v4, v4, -v0
	v_add_f32_e32 v6, v5, v5
	v_fmac_f32_e32 v1, v4, v6
	v_add_f32_e32 v6, v0, v1
	v_mov_b32_e32 v7, 0x3e91f4c4
	v_sub_f32_e32 v0, v6, v0
	v_fmac_f32_e32 v7, 0x3e76c4e1, v6
	v_mov_b32_e32 v8, 0x3ecccdef
	v_sub_f32_e32 v0, v1, v0
	v_mul_f32_e32 v1, v4, v6
	v_fmac_f32_e32 v8, v6, v7
	v_fma_f32 v7, v6, v4, -v1
	v_fmac_f32_e32 v7, v6, v5
	v_fmac_f32_e32 v7, v0, v4
	v_add_f32_e32 v9, v1, v7
	v_sub_f32_e32 v1, v9, v1
	v_sub_f32_e32 v7, v7, v1
	v_mul_f32_e32 v1, v6, v8
	v_fma_f32 v6, v6, v8, -v1
	v_fmac_f32_e32 v6, v0, v8
	v_add_f32_e32 v8, v1, v6
	v_sub_f32_e32 v0, v8, v1
	v_sub_f32_e32 v6, v6, v0
	v_cvt_f64_f32_e64 v[0:1], |v3|
	v_add_f32_e32 v10, 0x3f2aaaaa, v8
	v_add_f32_e32 v11, 0xbf2aaaaa, v10
	;; [unrolled: 1-line block ×3, first 2 shown]
	v_frexp_exp_i32_f64_e32 v0, v[0:1]
	v_sub_f32_e32 v8, v8, v11
	v_add_f32_e32 v1, v6, v8
	v_add_f32_e32 v6, v10, v1
	v_sub_f32_e32 v8, v10, v6
	v_add_f32_e32 v1, v1, v8
	v_mul_f32_e32 v8, v9, v6
	v_fma_f32 v10, v9, v6, -v8
	v_subbrev_co_u32_e32 v0, vcc, 0, v0, vcc
	v_cvt_f32_i32_e32 v0, v0
	v_fmac_f32_e32 v10, v9, v1
	s_mov_b32 s6, 0x3f317218
	v_fmac_f32_e32 v10, v7, v6
	v_mul_f32_e32 v1, 0x3f317218, v0
	v_fma_f32 v6, v0, s6, -v1
	v_fmac_f32_e32 v6, 0xb102e308, v0
	v_ldexp_f32 v0, v5, 1
	v_add_f32_e32 v5, v1, v6
	v_sub_f32_e32 v1, v5, v1
	v_ldexp_f32 v4, v4, 1
	v_sub_f32_e32 v1, v6, v1
	v_add_f32_e32 v6, v8, v10
	v_sub_f32_e32 v7, v6, v8
	v_add_f32_e32 v8, v4, v6
	v_sub_f32_e32 v7, v10, v7
	v_sub_f32_e32 v4, v8, v4
	;; [unrolled: 1-line block ×3, first 2 shown]
	v_add_f32_e32 v0, v0, v7
	v_add_f32_e32 v0, v0, v4
	;; [unrolled: 1-line block ×3, first 2 shown]
	v_sub_f32_e32 v6, v4, v8
	v_sub_f32_e32 v0, v0, v6
	v_add_f32_e32 v6, v5, v4
	v_sub_f32_e32 v7, v6, v5
	v_sub_f32_e32 v8, v6, v7
	;; [unrolled: 1-line block ×4, first 2 shown]
	v_add_f32_e32 v4, v4, v5
	v_add_f32_e32 v5, v1, v0
	v_sub_f32_e32 v7, v5, v1
	v_sub_f32_e32 v8, v5, v7
	;; [unrolled: 1-line block ×4, first 2 shown]
	v_add_f32_e32 v0, v0, v1
	v_add_f32_e32 v1, v5, v4
	v_add_f32_e32 v4, v6, v1
	v_sub_f32_e32 v5, v4, v6
	v_sub_f32_e32 v1, v1, v5
	v_add_f32_e32 v0, v0, v1
	v_add_f32_e32 v1, v4, v0
	v_sub_f32_e32 v4, v1, v4
	v_sub_f32_e32 v0, v0, v4
	v_mul_f32_e32 v4, v2, v1
	v_fma_f32 v1, v2, v1, -v4
	v_fmac_f32_e32 v1, v2, v0
	v_add_f32_e32 v0, v4, v1
	v_cmp_class_f32_e64 vcc, v4, s10
	v_sub_f32_e32 v5, v0, v4
	v_cndmask_b32_e32 v0, v0, v4, vcc
	s_mov_b32 s7, 0x42b17218
	v_mov_b32_e32 v4, 0x37000000
	v_cmp_eq_f32_e32 vcc, s7, v0
	v_cndmask_b32_e32 v4, 0, v4, vcc
	v_sub_f32_e32 v1, v1, v5
	v_sub_f32_e32 v5, v0, v4
	s_mov_b32 s11, 0x3fb8aa3b
	v_mul_f32_e32 v6, 0x3fb8aa3b, v5
	v_fma_f32 v7, v5, s11, -v6
	v_rndne_f32_e32 v8, v6
	v_fmac_f32_e32 v7, 0x32a5705f, v5
	v_sub_f32_e32 v6, v6, v8
	v_add_f32_e32 v6, v6, v7
	v_exp_f32_e32 v6, v6
	v_cvt_i32_f32_e32 v7, v8
	s_mov_b32 s6, 0x7f800000
	v_cmp_neq_f32_e64 vcc, |v0|, s6
	s_mov_b32 s6, 0xc2ce8ed0
	v_cndmask_b32_e32 v0, 0, v1, vcc
	v_ldexp_f32 v1, v6, v7
	v_cmp_ngt_f32_e32 vcc, s6, v5
	v_add_f32_e32 v0, v4, v0
	v_cndmask_b32_e32 v1, 0, v1, vcc
	v_mov_b32_e32 v4, 0x7f800000
	v_cmp_nlt_f32_e32 vcc, s7, v5
	v_cndmask_b32_e32 v1, v4, v1, vcc
	v_fma_f32 v0, v1, v0, v1
	v_cmp_class_f32_e64 vcc, v1, s10
	v_cndmask_b32_e32 v0, v0, v1, vcc
	v_trunc_f32_e32 v1, v2
	v_cmp_eq_f32_e32 vcc, v1, v2
	v_mul_f32_e32 v1, 0.5, v2
	v_trunc_f32_e32 v6, v1
	v_cmp_neq_f32_e64 s[6:7], v6, v1
	s_and_b64 s[6:7], vcc, s[6:7]
	v_cndmask_b32_e64 v1, 1.0, v3, s[6:7]
	s_brev_b32 s13, -2
	v_mov_b32_e32 v5, 0x7fc00000
	v_bfi_b32 v0, s13, v0, v1
	v_cndmask_b32_e32 v1, v5, v0, vcc
	v_cmp_gt_f32_e32 vcc, 0, v3
	v_cndmask_b32_e32 v0, v0, v1, vcc
	v_cmp_class_f32_e64 s[14:15], v3, s10
	v_cmp_eq_f32_e32 vcc, 0, v3
	v_cmp_gt_f32_e64 s[10:11], 0, v2
	s_xor_b64 s[10:11], s[10:11], vcc
	v_cndmask_b32_e64 v1, v4, 0, s[10:11]
	v_cndmask_b32_e64 v2, 0, v3, s[6:7]
	v_bfi_b32 v1, s13, v1, v2
	s_or_b64 vcc, vcc, s[14:15]
	v_cndmask_b32_e32 v0, v0, v1, vcc
	v_cmp_o_f32_e32 vcc, v3, v3
	v_cndmask_b32_e32 v0, v5, v0, vcc
	buffer_store_dword v0, off, s[0:3], 0 offset:16 ; 4-byte Folded Spill
.LBB52_4:
	buffer_load_dword v8, off, s[0:3], 0 offset:328 ; 4-byte Folded Reload
	buffer_load_dword v4, off, s[0:3], 0 offset:200 ; 4-byte Folded Reload
	s_load_dwordx4 s[24:27], s[4:5], 0x70
	s_lshl_b32 s33, s8, 6
	s_waitcnt lgkmcnt(0)
	s_mul_i32 s6, s78, s26
	s_ashr_i32 s10, s6, 31
	s_mul_i32 s7, s68, s25
	s_add_u32 s6, s48, s6
	s_addc_u32 s10, s49, s10
	s_ashr_i32 s11, s7, 31
	s_add_u32 s13, s6, s7
	s_addc_u32 s14, s10, s11
	v_mov_b32_e32 v0, s14
	s_ashr_i32 s25, s24, 31
	s_lshr_b64 s[10:11], s[24:25], 2
	s_waitcnt vmcnt(1)
	v_lshlrev_b32_e32 v5, 3, v8
	s_waitcnt vmcnt(0)
	v_lshlrev_b32_e32 v2, 4, v4
	v_add_co_u32_e32 v1, vcc, s13, v2
	v_addc_co_u32_e32 v3, vcc, 0, v0, vcc
	v_lshlrev_b32_e32 v0, 3, v4
	v_cmp_gt_u32_e64 s[6:7], 28, v4
	buffer_store_dword v0, off, s[0:3], 0 offset:196 ; 4-byte Folded Spill
	buffer_store_dword v5, off, s[0:3], 0 offset:348 ; 4-byte Folded Spill
	v_add_u32_e32 v0, s33, v5
	buffer_store_dword v0, off, s[0:3], 0 offset:332 ; 4-byte Folded Spill
	s_and_saveexec_b64 s[14:15], s[6:7]
	s_cbranch_execz .LBB52_6
; %bb.5:
	buffer_load_dword v4, off, s[0:3], 0 offset:332 ; 4-byte Folded Reload
	s_movk_i32 s13, 0x700
	s_waitcnt vmcnt(0)
	v_mul_hi_u32 v0, v4, s64
	v_add_u32_e32 v0, v4, v0
	v_lshrrev_b32_e32 v0, s65, v0
	v_mul_lo_u32 v0, v0, s66
	v_sub_u32_e32 v6, v4, v0
	v_mad_u64_u32 v[4:5], s[22:23], s10, v6, 0
	v_mov_b32_e32 v0, v5
	v_mad_u64_u32 v[5:6], s[22:23], s11, v6, v[0:1]
	buffer_load_dword v0, off, s[0:3], 0 offset:196 ; 4-byte Folded Reload
	v_lshlrev_b64 v[4:5], 2, v[4:5]
	v_add_co_u32_e32 v4, vcc, v1, v4
	v_addc_co_u32_e32 v5, vcc, v3, v5, vcc
	global_load_dwordx4 v[4:7], v[4:5], off
	s_waitcnt vmcnt(1)
	v_mad_u32_u24 v0, v8, s13, v0
	s_waitcnt vmcnt(0)
	v_fma_mixlo_f16 v4, s12, v4, 0
	v_fma_mixlo_f16 v5, s12, v5, 0
	;; [unrolled: 1-line block ×4, first 2 shown]
	v_lshlrev_b32_e32 v5, 16, v5
	v_and_b32_e32 v4, 0xffff, v4
	v_lshlrev_b32_e32 v7, 16, v7
	v_and_b32_e32 v6, 0xffff, v6
	v_or_b32_e32 v4, v5, v4
	v_or3_b32 v5, v7, v6, 0
	v_or3_b32 v4, 0, 0, v4
	ds_write_b64 v0, v[4:5]
.LBB52_6:
	s_or_b64 exec, exec, s[14:15]
	v_lshlrev_b32_e32 v9, 3, v8
	v_or_b32_e32 v0, 1, v9
	buffer_store_dword v0, off, s[0:3], 0 offset:384 ; 4-byte Folded Spill
	v_add_u32_e32 v0, s33, v0
	buffer_store_dword v0, off, s[0:3], 0 offset:336 ; 4-byte Folded Spill
	s_and_saveexec_b64 s[14:15], s[6:7]
	s_cbranch_execz .LBB52_8
; %bb.7:
	buffer_load_dword v4, off, s[0:3], 0 offset:336 ; 4-byte Folded Reload
	buffer_load_dword v8, off, s[0:3], 0 offset:196 ; 4-byte Folded Reload
	s_movk_i32 s13, 0xe0
	s_waitcnt vmcnt(1)
	v_mul_hi_u32 v0, v4, s64
	v_add_u32_e32 v0, v4, v0
	v_lshrrev_b32_e32 v0, s65, v0
	v_mul_lo_u32 v0, v0, s66
	v_sub_u32_e32 v6, v4, v0
	v_mad_u64_u32 v[4:5], s[22:23], s10, v6, 0
	v_mov_b32_e32 v0, v5
	v_mad_u64_u32 v[5:6], s[22:23], s11, v6, v[0:1]
	v_or_b32_e32 v0, 1, v9
	s_waitcnt vmcnt(0)
	v_mad_u32_u24 v0, v0, s13, v8
	v_lshlrev_b64 v[4:5], 2, v[4:5]
	v_add_co_u32_e32 v4, vcc, v1, v4
	v_addc_co_u32_e32 v5, vcc, v3, v5, vcc
	global_load_dwordx4 v[4:7], v[4:5], off
	s_waitcnt vmcnt(0)
	v_fma_mixlo_f16 v4, s12, v4, 0
	v_fma_mixlo_f16 v5, s12, v5, 0
	;; [unrolled: 1-line block ×4, first 2 shown]
	v_lshlrev_b32_e32 v5, 16, v5
	v_and_b32_e32 v4, 0xffff, v4
	v_lshlrev_b32_e32 v7, 16, v7
	v_and_b32_e32 v6, 0xffff, v6
	v_or_b32_e32 v4, v5, v4
	v_or3_b32 v5, v7, v6, 0
	v_or3_b32 v4, 0, 0, v4
	ds_write_b64 v0, v[4:5]
.LBB52_8:
	s_or_b64 exec, exec, s[14:15]
	v_or_b32_e32 v0, 2, v9
	buffer_store_dword v0, off, s[0:3], 0 offset:380 ; 4-byte Folded Spill
	s_and_saveexec_b64 s[14:15], s[6:7]
	s_cbranch_execz .LBB52_10
; %bb.9:
	v_or_b32_e32 v8, 2, v9
	v_add_u32_e32 v0, s33, v8
	v_mul_hi_u32 v4, v0, s64
	s_movk_i32 s13, 0xe0
	v_add_u32_e32 v4, v0, v4
	v_lshrrev_b32_e32 v4, s65, v4
	v_mul_lo_u32 v4, v4, s66
	v_sub_u32_e32 v6, v0, v4
	v_mad_u64_u32 v[4:5], s[22:23], s10, v6, 0
	v_mov_b32_e32 v0, v5
	v_mad_u64_u32 v[5:6], s[22:23], s11, v6, v[0:1]
	buffer_load_dword v0, off, s[0:3], 0 offset:196 ; 4-byte Folded Reload
	v_lshlrev_b64 v[4:5], 2, v[4:5]
	v_add_co_u32_e32 v4, vcc, v1, v4
	v_addc_co_u32_e32 v5, vcc, v3, v5, vcc
	global_load_dwordx4 v[4:7], v[4:5], off
	s_waitcnt vmcnt(1)
	v_mad_u32_u24 v0, v8, s13, v0
	s_waitcnt vmcnt(0)
	v_fma_mixlo_f16 v4, s12, v4, 0
	v_fma_mixlo_f16 v5, s12, v5, 0
	;; [unrolled: 1-line block ×4, first 2 shown]
	v_lshlrev_b32_e32 v5, 16, v5
	v_and_b32_e32 v4, 0xffff, v4
	v_lshlrev_b32_e32 v7, 16, v7
	v_and_b32_e32 v6, 0xffff, v6
	v_or_b32_e32 v4, v5, v4
	v_or3_b32 v5, v7, v6, 0
	v_or3_b32 v4, 0, 0, v4
	ds_write_b64 v0, v[4:5]
.LBB52_10:
	s_or_b64 exec, exec, s[14:15]
	s_sub_i32 s13, 0, s18
	v_or_b32_e32 v0, 3, v9
	buffer_store_dword v0, off, s[0:3], 0 offset:388 ; 4-byte Folded Spill
	s_and_saveexec_b64 s[14:15], s[6:7]
	s_cbranch_execz .LBB52_12
; %bb.11:
	v_or_b32_e32 v8, 3, v9
	v_add_u32_e32 v0, s33, v8
	v_mul_hi_u32 v4, v0, s64
	s_movk_i32 s16, 0xe0
	v_add_u32_e32 v4, v0, v4
	v_lshrrev_b32_e32 v4, s65, v4
	v_mul_lo_u32 v4, v4, s66
	v_sub_u32_e32 v6, v0, v4
	v_mad_u64_u32 v[4:5], s[22:23], s10, v6, 0
	v_mov_b32_e32 v0, v5
	v_mad_u64_u32 v[5:6], s[22:23], s11, v6, v[0:1]
	buffer_load_dword v0, off, s[0:3], 0 offset:196 ; 4-byte Folded Reload
	v_lshlrev_b64 v[4:5], 2, v[4:5]
	v_add_co_u32_e32 v4, vcc, v1, v4
	v_addc_co_u32_e32 v5, vcc, v3, v5, vcc
	global_load_dwordx4 v[4:7], v[4:5], off
	s_waitcnt vmcnt(1)
	v_mad_u32_u24 v0, v8, s16, v0
	s_waitcnt vmcnt(0)
	v_fma_mixlo_f16 v4, s12, v4, 0
	v_fma_mixlo_f16 v5, s12, v5, 0
	v_fma_mixlo_f16 v6, s12, v6, 0
	v_fma_mixlo_f16 v7, s12, v7, 0
	v_lshlrev_b32_e32 v5, 16, v5
	v_and_b32_e32 v4, 0xffff, v4
	v_lshlrev_b32_e32 v7, 16, v7
	v_and_b32_e32 v6, 0xffff, v6
	v_or_b32_e32 v4, v5, v4
	v_or3_b32 v5, v7, v6, 0
	v_or3_b32 v4, 0, 0, v4
	ds_write_b64 v0, v[4:5]
.LBB52_12:
	s_or_b64 exec, exec, s[14:15]
	s_mul_i32 s13, s13, s20
	v_or_b32_e32 v0, 4, v9
	buffer_store_dword v0, off, s[0:3], 0 offset:392 ; 4-byte Folded Spill
	s_and_saveexec_b64 s[14:15], s[6:7]
	s_cbranch_execz .LBB52_14
; %bb.13:
	v_or_b32_e32 v8, 4, v9
	v_add_u32_e32 v0, s33, v8
	v_mul_hi_u32 v4, v0, s64
	s_movk_i32 s16, 0xe0
	v_add_u32_e32 v4, v0, v4
	v_lshrrev_b32_e32 v4, s65, v4
	v_mul_lo_u32 v4, v4, s66
	v_sub_u32_e32 v6, v0, v4
	v_mad_u64_u32 v[4:5], s[22:23], s10, v6, 0
	v_mov_b32_e32 v0, v5
	v_mad_u64_u32 v[5:6], s[22:23], s11, v6, v[0:1]
	buffer_load_dword v0, off, s[0:3], 0 offset:196 ; 4-byte Folded Reload
	v_lshlrev_b64 v[4:5], 2, v[4:5]
	v_add_co_u32_e32 v4, vcc, v1, v4
	v_addc_co_u32_e32 v5, vcc, v3, v5, vcc
	global_load_dwordx4 v[4:7], v[4:5], off
	s_waitcnt vmcnt(1)
	v_mad_u32_u24 v0, v8, s16, v0
	s_waitcnt vmcnt(0)
	v_fma_mixlo_f16 v4, s12, v4, 0
	v_fma_mixlo_f16 v5, s12, v5, 0
	;; [unrolled: 1-line block ×4, first 2 shown]
	v_lshlrev_b32_e32 v5, 16, v5
	v_and_b32_e32 v4, 0xffff, v4
	v_lshlrev_b32_e32 v7, 16, v7
	v_and_b32_e32 v6, 0xffff, v6
	v_or_b32_e32 v4, v5, v4
	v_or3_b32 v5, v7, v6, 0
	v_or3_b32 v4, 0, 0, v4
	ds_write_b64 v0, v[4:5]
.LBB52_14:
	s_or_b64 exec, exec, s[14:15]
	s_mul_hi_u32 s16, s20, s13
	v_or_b32_e32 v0, 5, v9
	buffer_store_dword v0, off, s[0:3], 0 offset:396 ; 4-byte Folded Spill
	s_and_saveexec_b64 s[14:15], s[6:7]
	s_cbranch_execz .LBB52_16
; %bb.15:
	v_or_b32_e32 v8, 5, v9
	v_add_u32_e32 v0, s33, v8
	v_mul_hi_u32 v4, v0, s64
	s_movk_i32 s13, 0xe0
	v_add_u32_e32 v4, v0, v4
	v_lshrrev_b32_e32 v4, s65, v4
	v_mul_lo_u32 v4, v4, s66
	v_sub_u32_e32 v6, v0, v4
	v_mad_u64_u32 v[4:5], s[22:23], s10, v6, 0
	v_mov_b32_e32 v0, v5
	v_mad_u64_u32 v[5:6], s[22:23], s11, v6, v[0:1]
	buffer_load_dword v0, off, s[0:3], 0 offset:196 ; 4-byte Folded Reload
	v_lshlrev_b64 v[4:5], 2, v[4:5]
	v_add_co_u32_e32 v4, vcc, v1, v4
	v_addc_co_u32_e32 v5, vcc, v3, v5, vcc
	global_load_dwordx4 v[4:7], v[4:5], off
	s_waitcnt vmcnt(1)
	v_mad_u32_u24 v0, v8, s13, v0
	s_waitcnt vmcnt(0)
	v_fma_mixlo_f16 v4, s12, v4, 0
	v_fma_mixlo_f16 v5, s12, v5, 0
	;; [unrolled: 1-line block ×4, first 2 shown]
	v_lshlrev_b32_e32 v5, 16, v5
	v_and_b32_e32 v4, 0xffff, v4
	v_lshlrev_b32_e32 v7, 16, v7
	v_and_b32_e32 v6, 0xffff, v6
	v_or_b32_e32 v4, v5, v4
	v_or3_b32 v5, v7, v6, 0
	v_or3_b32 v4, 0, 0, v4
	ds_write_b64 v0, v[4:5]
.LBB52_16:
	s_or_b64 exec, exec, s[14:15]
	s_abs_i32 s13, s68
	s_add_i32 s20, s20, s16
	v_or_b32_e32 v0, 6, v9
	buffer_store_dword v0, off, s[0:3], 0 offset:400 ; 4-byte Folded Spill
	s_and_saveexec_b64 s[14:15], s[6:7]
	s_cbranch_execz .LBB52_18
; %bb.17:
	v_or_b32_e32 v8, 6, v9
	v_add_u32_e32 v0, s33, v8
	v_mul_hi_u32 v4, v0, s64
	s_movk_i32 s16, 0xe0
	v_add_u32_e32 v4, v0, v4
	v_lshrrev_b32_e32 v4, s65, v4
	v_mul_lo_u32 v4, v4, s66
	v_sub_u32_e32 v6, v0, v4
	v_mad_u64_u32 v[4:5], s[22:23], s10, v6, 0
	v_mov_b32_e32 v0, v5
	v_mad_u64_u32 v[5:6], s[22:23], s11, v6, v[0:1]
	buffer_load_dword v0, off, s[0:3], 0 offset:196 ; 4-byte Folded Reload
	v_lshlrev_b64 v[4:5], 2, v[4:5]
	v_add_co_u32_e32 v4, vcc, v1, v4
	v_addc_co_u32_e32 v5, vcc, v3, v5, vcc
	global_load_dwordx4 v[4:7], v[4:5], off
	s_waitcnt vmcnt(1)
	v_mad_u32_u24 v0, v8, s16, v0
	s_waitcnt vmcnt(0)
	v_fma_mixlo_f16 v4, s12, v4, 0
	v_fma_mixlo_f16 v5, s12, v5, 0
	;; [unrolled: 1-line block ×4, first 2 shown]
	v_lshlrev_b32_e32 v5, 16, v5
	v_and_b32_e32 v4, 0xffff, v4
	v_lshlrev_b32_e32 v7, 16, v7
	v_and_b32_e32 v6, 0xffff, v6
	v_or_b32_e32 v4, v5, v4
	v_or3_b32 v5, v7, v6, 0
	v_or3_b32 v4, 0, 0, v4
	ds_write_b64 v0, v[4:5]
.LBB52_18:
	s_or_b64 exec, exec, s[14:15]
	s_mul_hi_u32 s16, s13, s20
	v_or_b32_e32 v0, 7, v9
	buffer_store_dword v0, off, s[0:3], 0 offset:404 ; 4-byte Folded Spill
	s_and_saveexec_b64 s[14:15], s[6:7]
	s_cbranch_execz .LBB52_20
; %bb.19:
	buffer_load_dword v0, off, s[0:3], 0 offset:328 ; 4-byte Folded Reload
	s_waitcnt vmcnt(0)
	v_lshlrev_b32_e32 v0, 3, v0
	v_or_b32_e32 v7, 7, v0
	v_add_u32_e32 v0, s33, v7
	v_mul_hi_u32 v4, v0, s64
	v_add_u32_e32 v4, v0, v4
	v_lshrrev_b32_e32 v4, s65, v4
	v_mul_lo_u32 v4, v4, s66
	v_sub_u32_e32 v6, v0, v4
	v_mad_u64_u32 v[4:5], s[20:21], s10, v6, 0
	v_mov_b32_e32 v0, v5
	v_mad_u64_u32 v[5:6], s[10:11], s11, v6, v[0:1]
	s_movk_i32 s10, 0xe0
	v_lshlrev_b64 v[4:5], 2, v[4:5]
	v_add_co_u32_e32 v0, vcc, v1, v4
	v_addc_co_u32_e32 v1, vcc, v3, v5, vcc
	global_load_dwordx4 v[3:6], v[0:1], off
	s_waitcnt vmcnt(0)
	v_fma_mixlo_f16 v1, s12, v4, 0
	buffer_load_dword v0, off, s[0:3], 0 offset:196 ; 4-byte Folded Reload
	v_fma_mixlo_f16 v4, s12, v6, 0
	v_lshlrev_b32_e32 v1, 16, v1
	v_lshlrev_b32_e32 v4, 16, v4
	s_waitcnt vmcnt(0)
	v_mad_u32_u24 v7, v7, s10, v0
	v_fma_mixlo_f16 v0, s12, v3, 0
	v_fma_mixlo_f16 v3, s12, v5, 0
	v_and_b32_e32 v0, 0xffff, v0
	v_and_b32_e32 v3, 0xffff, v3
	v_or_b32_e32 v0, v1, v0
	v_or3_b32 v1, v4, v3, 0
	v_or3_b32 v0, 0, 0, v0
	ds_write_b64 v7, v[0:1]
.LBB52_20:
	s_or_b64 exec, exec, s[14:15]
	s_ashr_i32 s69, s68, 31
	s_ashr_i32 s10, s19, 31
	s_cmp_eq_u64 s[58:59], 0
	s_waitcnt vmcnt(0) lgkmcnt(0)
	s_barrier
	s_cbranch_scc1 .LBB52_22
; %bb.21:
	s_load_dword s11, s[4:5], 0xd0
	s_mov_b32 s15, 0
	s_waitcnt lgkmcnt(0)
	s_mul_i32 s11, s11, s78
	s_add_i32 s14, s11, s8
	s_lshl_b64 s[14:15], s[14:15], 2
	s_add_u32 s14, s58, s14
	s_addc_u32 s15, s59, s15
	s_load_dword s72, s[14:15], 0x0
.LBB52_22:
	s_nop 0
	s_load_dwordx2 s[14:15], s[4:5], 0x8c
	s_load_dwordx4 s[20:23], s[4:5], 0x98
	buffer_load_dword v0, off, s[0:3], 0 offset:200 ; 4-byte Folded Reload
	buffer_load_dword v18, off, s[0:3], 0 offset:328 ; 4-byte Folded Reload
	s_ashr_i32 s11, s78, 31
	s_waitcnt lgkmcnt(0)
	s_ashr_i32 s82, s14, 2
	s_mul_hi_u32 s12, s20, s78
	s_mul_i32 s14, s20, s11
	s_add_i32 s12, s12, s14
	s_mul_i32 s14, s21, s78
	s_ashr_i32 s8, s22, 2
	s_ashr_i32 s81, s17, 1
	s_add_i32 s12, s12, s14
	s_mul_i32 s14, s20, s78
	s_add_u32 s14, s50, s14
	s_mul_i32 s17, s16, s18
	s_addc_u32 s12, s51, s12
	s_sub_i32 s13, s13, s17
	s_xor_b32 s10, s69, s10
	s_add_i32 s17, s16, 1
	s_sub_i32 s19, s13, s18
	s_cmp_ge_u32 s13, s18
	s_cselect_b32 s16, s17, s16
	s_cselect_b32 s13, s19, s13
	s_add_i32 s17, s16, 1
	s_cmp_ge_u32 s13, s18
	s_cselect_b32 s13, s17, s16
	s_load_dwordx2 s[24:25], s[4:5], 0xa8
	s_xor_b32 s13, s13, s10
	s_sub_i32 s10, s13, s10
	s_mul_i32 s13, s10, s15
	s_ashr_i32 s15, s13, 31
	s_add_u32 s84, s14, s13
	s_addc_u32 s83, s12, s15
	s_waitcnt lgkmcnt(0)
	s_mul_hi_u32 s12, s24, s78
	s_mul_i32 s11, s24, s11
	s_add_i32 s11, s12, s11
	s_mul_i32 s12, s25, s78
	s_add_i32 s11, s11, s12
	s_mul_i32 s12, s24, s78
	s_add_u32 s12, s52, s12
	s_mul_i32 s10, s10, s23
	s_addc_u32 s11, s53, s11
	s_ashr_i32 s13, s10, 31
	s_add_u32 s73, s12, s10
	s_addc_u32 s79, s11, s13
	s_lshl_b32 s80, s9, 5
	s_sub_i32 s85, s72, 32
	s_cmp_ge_i32 s80, s85
	v_mbcnt_lo_u32_b32 v22, -1, 0
	s_waitcnt vmcnt(1)
	v_lshlrev_b32_e32 v1, 2, v0
	s_waitcnt vmcnt(0)
	v_lshl_add_u32 v6, v18, 5, v0
	v_lshrrev_b32_e32 v5, 1, v0
	v_lshrrev_b32_e32 v3, 2, v0
	v_lshlrev_b32_e32 v4, 7, v0
	v_lshrrev_b32_e32 v20, 3, v0
	v_mov_b32_e32 v0, v1
	v_and_b32_e32 v21, 4, v1
	v_and_b32_e32 v23, 12, v1
	buffer_store_dword v0, off, s[0:3], 0 offset:372 ; 4-byte Folded Spill
	s_nop 0
	buffer_store_dword v1, off, s[0:3], 0 offset:376 ; 4-byte Folded Spill
	v_and_b32_e32 v19, 28, v1
	buffer_store_dword v19, off, s[0:3], 0 offset:204 ; 4-byte Folded Spill
	buffer_store_dword v20, off, s[0:3], 0 offset:352 ; 4-byte Folded Spill
	;; [unrolled: 1-line block ×8, first 2 shown]
	s_cbranch_scc1 .LBB52_66
; %bb.23:
	buffer_load_dword v17, off, s[0:3], 0 offset:332 ; 4-byte Folded Reload
	v_lshlrev_b32_e32 v0, 3, v18
	v_add_u32_e32 v10, v3, v0
	v_mul_lo_u32 v0, s82, v6
	v_lshl_add_u32 v8, v18, 4, v5
	v_lshlrev_b32_e32 v9, 2, v21
	v_cmp_gt_u32_e64 s[10:11], 32, v8
	v_add_u32_e32 v54, 0x3800, v4
	v_add_u32_e32 v1, 0x3860, v4
	v_mul_lo_u32 v3, s82, v8
	v_lshl_or_b32 v4, v8, 7, v9
	v_lshlrev_b32_e32 v11, 2, v23
	v_cmp_gt_u32_e64 s[14:15], 16, v8
	v_cmp_gt_u32_e64 s[52:53], 32, v6
	;; [unrolled: 1-line block ×3, first 2 shown]
	buffer_store_dword v1, off, s[0:3], 0 offset:208 ; 4-byte Folded Spill
	v_ashrrev_i32_e32 v1, 31, v0
	v_mul_lo_u32 v5, s82, v10
	v_lshl_or_b32 v6, v10, 7, v11
	v_cmp_gt_u32_e64 s[16:17], 16, v10
	s_movk_i32 s21, 0x3880
	s_movk_i32 s20, 0x3800
	v_lshlrev_b64 v[0:1], 2, v[0:1]
	v_add_u32_e32 v4, 0x3840, v4
	v_add_u32_e32 v6, 0x3800, v6
	buffer_store_dword v4, off, s[0:3], 0 offset:212 ; 4-byte Folded Spill
	buffer_store_dword v6, off, s[0:3], 0 offset:216 ; 4-byte Folded Spill
	v_ashrrev_i32_e32 v4, 31, v3
	v_ashrrev_i32_e32 v6, 31, v5
	s_cmp_lg_u64 s[70:71], 0
	s_cselect_b64 s[58:59], -1, 0
	s_add_u32 s74, s4, 0xd0
	v_mul_u32_u24_e32 v123, 0x700, v18
	v_mov_b32_e32 v56, 0
	s_addc_u32 s75, s5, 0
	s_mov_b32 s86, 0x3fb8aa3b
	s_mov_b32 s87, 0xc2ce8ed0
	;; [unrolled: 1-line block ×4, first 2 shown]
	v_mov_b32_e32 v57, 0
	v_mov_b32_e32 v59, 0
	;; [unrolled: 1-line block ×15, first 2 shown]
	s_waitcnt vmcnt(3)
	v_mul_hi_u32 v7, s64, v17
	v_or_b32_e32 v12, 1, v17
	v_mul_hi_u32 v13, s64, v12
	v_or_b32_e32 v14, 2, v17
	v_add_u32_e32 v7, v17, v7
	v_lshrrev_b32_e32 v7, s65, v7
	v_mul_lo_u32 v7, v7, s66
	v_add_u32_e32 v13, v12, v13
	v_mul_hi_u32 v15, s64, v14
	v_lshrrev_b32_e32 v13, s65, v13
	v_sub_u32_e32 v7, v17, v7
	v_mul_lo_u32 v13, v13, s66
	v_mul_lo_u32 v7, v7, s81
	v_add_u32_e32 v15, v14, v15
	v_lshrrev_b32_e32 v15, s65, v15
	v_mul_lo_u32 v15, v15, s66
	buffer_store_dword v7, off, s[0:3], 0 offset:296 ; 4-byte Folded Spill
	v_sub_u32_e32 v7, v12, v13
	v_mul_lo_u32 v7, v7, s81
	v_or_b32_e32 v12, 3, v17
	v_mul_hi_u32 v13, s64, v12
	buffer_store_dword v7, off, s[0:3], 0 offset:300 ; 4-byte Folded Spill
	v_sub_u32_e32 v7, v14, v15
	v_mul_lo_u32 v7, v7, s81
	v_add_u32_e32 v13, v12, v13
	v_lshrrev_b32_e32 v13, s65, v13
	v_mul_lo_u32 v13, v13, s66
	buffer_store_dword v7, off, s[0:3], 0 offset:304 ; 4-byte Folded Spill
	v_or_b32_e32 v7, 4, v17
	v_mul_hi_u32 v14, s64, v7
	v_or_b32_e32 v15, 5, v17
	v_sub_u32_e32 v12, v12, v13
	v_mul_hi_u32 v16, s64, v15
	v_add_u32_e32 v14, v7, v14
	v_lshrrev_b32_e32 v14, s65, v14
	v_mul_lo_u32 v14, v14, s66
	v_mul_lo_u32 v12, v12, s81
	v_sub_u32_e32 v7, v7, v14
	v_mul_lo_u32 v7, v7, s81
	buffer_store_dword v12, off, s[0:3], 0 offset:308 ; 4-byte Folded Spill
	v_add_u32_e32 v12, v15, v16
	v_lshrrev_b32_e32 v12, s65, v12
	buffer_store_dword v7, off, s[0:3], 0 offset:312 ; 4-byte Folded Spill
	v_or_b32_e32 v7, 6, v17
	v_mul_hi_u32 v13, s64, v7
	v_mul_lo_u32 v12, v12, s66
	v_or_b32_e32 v14, 7, v17
	v_mov_b32_e32 v16, 0xfeffffff
	v_add_u32_e32 v13, v7, v13
	v_sub_u32_e32 v12, v15, v12
	v_mul_hi_u32 v15, s64, v14
	v_lshrrev_b32_e32 v13, s65, v13
	v_mul_lo_u32 v13, v13, s66
	v_mul_lo_u32 v12, v12, s81
	v_add_u32_e32 v15, v14, v15
	v_lshrrev_b32_e32 v15, s65, v15
	v_sub_u32_e32 v7, v7, v13
	v_mul_lo_u32 v15, v15, s66
	v_mul_lo_u32 v7, v7, s81
	buffer_store_dword v12, off, s[0:3], 0 offset:316 ; 4-byte Folded Spill
	v_lshl_add_u32 v12, v18, 2, v20
	v_cmp_gt_u32_e64 s[18:19], 16, v12
	buffer_store_dword v7, off, s[0:3], 0 offset:320 ; 4-byte Folded Spill
	v_sub_u32_e32 v7, v14, v15
	v_mul_lo_u32 v7, v7, s81
	v_lshlrev_b32_e32 v13, 2, v19
	v_mov_b32_e32 v17, 0xfeffffff
	v_mov_b32_e32 v15, 0xfeffffff
	buffer_store_dword v7, off, s[0:3], 0 offset:324 ; 4-byte Folded Spill
	v_mov_b32_e32 v7, 0x4840
	v_lshl_add_u32 v111, v18, 9, v7
	v_mul_lo_u32 v7, s8, v8
	v_mul_u32_u24_e32 v8, 0xe0, v8
	v_or_b32_e32 v8, v8, v9
	v_mul_lo_u32 v9, s8, v10
	v_mul_u32_u24_e32 v10, 0xe0, v10
	v_add3_u32 v10, v10, v11, s21
	v_mul_lo_u32 v11, s8, v12
	v_mul_u32_u24_e32 v12, 0xe0, v12
	v_add_u32_e32 v8, 0x38c0, v8
	v_add3_u32 v12, v12, v13, s20
	buffer_store_dword v8, off, s[0:3], 0 offset:224 ; 4-byte Folded Spill
	buffer_store_dword v10, off, s[0:3], 0 offset:228 ; 4-byte Folded Spill
	;; [unrolled: 1-line block ×4, first 2 shown]
	s_nop 0
	buffer_store_dword v1, off, s[0:3], 0 offset:240 ; 4-byte Folded Spill
	v_add_u32_e32 v0, v111, v2
	buffer_store_dword v0, off, s[0:3], 0 offset:244 ; 4-byte Folded Spill
	v_lshlrev_b64 v[0:1], 2, v[3:4]
	buffer_store_dword v0, off, s[0:3], 0 offset:248 ; 4-byte Folded Spill
	s_nop 0
	buffer_store_dword v1, off, s[0:3], 0 offset:252 ; 4-byte Folded Spill
	v_lshlrev_b32_e32 v0, 2, v21
	buffer_store_dword v0, off, s[0:3], 0 offset:112 ; 4-byte Folded Spill
	v_lshlrev_b64 v[0:1], 2, v[5:6]
	buffer_store_dword v0, off, s[0:3], 0 offset:256 ; 4-byte Folded Spill
	s_nop 0
	buffer_store_dword v1, off, s[0:3], 0 offset:260 ; 4-byte Folded Spill
	v_lshlrev_b32_e32 v0, 2, v23
	v_ashrrev_i32_e32 v8, 31, v7
	buffer_store_dword v0, off, s[0:3], 0 offset:116 ; 4-byte Folded Spill
	v_mbcnt_hi_u32_b32 v0, -1, v22
	buffer_store_dword v0, off, s[0:3], 0 offset:264 ; 4-byte Folded Spill
	v_lshlrev_b64 v[0:1], 2, v[7:8]
	v_ashrrev_i32_e32 v10, 31, v9
	buffer_store_dword v0, off, s[0:3], 0 offset:268 ; 4-byte Folded Spill
	s_nop 0
	buffer_store_dword v1, off, s[0:3], 0 offset:272 ; 4-byte Folded Spill
	v_lshlrev_b64 v[0:1], 2, v[9:10]
	v_ashrrev_i32_e32 v12, 31, v11
	buffer_store_dword v0, off, s[0:3], 0 offset:276 ; 4-byte Folded Spill
	s_nop 0
	buffer_store_dword v1, off, s[0:3], 0 offset:280 ; 4-byte Folded Spill
	v_lshlrev_b64 v[0:1], 2, v[11:12]
	buffer_store_dword v0, off, s[0:3], 0 offset:284 ; 4-byte Folded Spill
	s_nop 0
	buffer_store_dword v1, off, s[0:3], 0 offset:288 ; 4-byte Folded Spill
	v_mov_b32_e32 v0, 0
	buffer_store_dword v0, off, s[0:3], 0 offset:152 ; 4-byte Folded Spill
	v_mov_b32_e32 v0, 0
	;; [unrolled: 2-line block ×7, first 2 shown]
	v_mov_b32_e32 v14, 0xfeffffff
	v_mov_b32_e32 v13, 0xfeffffff
	;; [unrolled: 1-line block ×5, first 2 shown]
	buffer_store_dword v0, off, s[0:3], 0 offset:176 ; 4-byte Folded Spill
	v_mov_b32_e32 v0, 0
	buffer_store_dword v0, off, s[0:3], 0 offset:180 ; 4-byte Folded Spill
	buffer_store_dword v54, off, s[0:3], 0 offset:292 ; 4-byte Folded Spill
	;; [unrolled: 1-line block ×3, first 2 shown]
.LBB52_24:                              ; =>This Inner Loop Header: Depth=1
	s_mul_hi_i32 s21, s80, s82
	s_mul_i32 s20, s80, s82
	s_lshl_b64 s[20:21], s[20:21], 2
	s_add_u32 s22, s84, s20
	s_addc_u32 s23, s83, s21
	s_and_saveexec_b64 s[20:21], s[52:53]
	s_cbranch_execnz .LBB52_60
; %bb.25:                               ;   in Loop: Header=BB52_24 Depth=1
	s_or_b64 exec, exec, s[20:21]
	s_and_saveexec_b64 s[20:21], s[10:11]
	s_cbranch_execnz .LBB52_61
.LBB52_26:                              ;   in Loop: Header=BB52_24 Depth=1
	s_or_b64 exec, exec, s[20:21]
	s_and_saveexec_b64 s[20:21], s[12:13]
	s_cbranch_execz .LBB52_28
.LBB52_27:                              ;   in Loop: Header=BB52_24 Depth=1
	buffer_load_dword v1, off, s[0:3], 0 offset:256 ; 4-byte Folded Reload
	buffer_load_dword v2, off, s[0:3], 0 offset:260 ; 4-byte Folded Reload
	v_mov_b32_e32 v0, s23
	buffer_load_dword v4, off, s[0:3], 0 offset:216 ; 4-byte Folded Reload
	s_waitcnt vmcnt(2)
	v_add_co_u32_e32 v1, vcc, s22, v1
	s_waitcnt vmcnt(1)
	v_addc_co_u32_e32 v2, vcc, v0, v2, vcc
	buffer_load_dword v0, off, s[0:3], 0 offset:116 ; 4-byte Folded Reload
	s_waitcnt vmcnt(0)
	v_add_co_u32_e32 v0, vcc, v1, v0
	v_addc_co_u32_e32 v1, vcc, 0, v2, vcc
	global_load_dwordx4 v[0:3], v[0:1], off
	s_waitcnt vmcnt(0)
	ds_write_b128 v4, v[0:3]
.LBB52_28:                              ;   in Loop: Header=BB52_24 Depth=1
	s_or_b64 exec, exec, s[20:21]
	v_mov_b32_e32 v9, 0
	s_waitcnt vmcnt(0) lgkmcnt(0)
	s_barrier
	ds_read_b128 v[18:21], v54
	ds_read_b128 v[0:3], v123
	ds_read_b128 v[4:7], v123 offset:224
	ds_read_b128 v[22:25], v123 offset:448
	;; [unrolled: 1-line block ×7, first 2 shown]
	s_waitcnt lgkmcnt(7)
	;;#ASMSTART
	v_dot2_f32_f16 v9, v18, v0, v9
	;;#ASMEND
	;;#ASMSTART
	v_dot2_f32_f16 v9, v19, v1, v9
	;;#ASMEND
	;; [unrolled: 3-line block ×3, first 2 shown]
	v_mov_b32_e32 v8, 0
	;;#ASMSTART
	v_dot2_f32_f16 v9, v21, v3, v9
	;;#ASMEND
	s_waitcnt lgkmcnt(6)
	;;#ASMSTART
	v_dot2_f32_f16 v8, v18, v4, v8
	;;#ASMEND
	;;#ASMSTART
	v_dot2_f32_f16 v8, v19, v5, v8
	;;#ASMEND
	;; [unrolled: 3-line block ×4, first 2 shown]
	v_mov_b32_e32 v7, 0
	s_waitcnt lgkmcnt(5)
	;;#ASMSTART
	v_dot2_f32_f16 v7, v18, v22, v7
	;;#ASMEND
	;;#ASMSTART
	v_dot2_f32_f16 v7, v19, v23, v7
	;;#ASMEND
	;;#ASMSTART
	v_dot2_f32_f16 v7, v20, v24, v7
	;;#ASMEND
	v_mov_b32_e32 v6, 0
	;;#ASMSTART
	v_dot2_f32_f16 v7, v21, v25, v7
	;;#ASMEND
	s_waitcnt lgkmcnt(4)
	;;#ASMSTART
	v_dot2_f32_f16 v6, v18, v26, v6
	;;#ASMEND
	;;#ASMSTART
	v_dot2_f32_f16 v6, v19, v27, v6
	;;#ASMEND
	;;#ASMSTART
	v_dot2_f32_f16 v6, v20, v28, v6
	;;#ASMEND
	v_mov_b32_e32 v5, 0
	;;#ASMSTART
	v_dot2_f32_f16 v6, v21, v29, v6
	;;#ASMEND
	;; [unrolled: 14-line block ×5, first 2 shown]
	s_waitcnt lgkmcnt(0)
	;;#ASMSTART
	v_dot2_f32_f16 v2, v18, v42, v2
	;;#ASMEND
	;;#ASMSTART
	v_dot2_f32_f16 v2, v19, v43, v2
	;;#ASMEND
	;; [unrolled: 3-line block ×4, first 2 shown]
	ds_read_b128 v[18:21], v54 offset:16
	ds_read_b128 v[22:25], v123 offset:16
	;; [unrolled: 1-line block ×9, first 2 shown]
	s_waitcnt lgkmcnt(7)
	;;#ASMSTART
	v_dot2_f32_f16 v9, v18, v22, v9
	;;#ASMEND
	;;#ASMSTART
	v_dot2_f32_f16 v9, v19, v23, v9
	;;#ASMEND
	;;#ASMSTART
	v_dot2_f32_f16 v9, v20, v24, v9
	;;#ASMEND
	;;#ASMSTART
	v_dot2_f32_f16 v9, v21, v25, v9
	;;#ASMEND
	s_waitcnt lgkmcnt(6)
	;;#ASMSTART
	v_dot2_f32_f16 v8, v18, v26, v8
	;;#ASMEND
	;;#ASMSTART
	v_dot2_f32_f16 v8, v19, v27, v8
	;;#ASMEND
	;;#ASMSTART
	v_dot2_f32_f16 v8, v20, v28, v8
	;;#ASMEND
	;;#ASMSTART
	v_dot2_f32_f16 v8, v21, v29, v8
	;;#ASMEND
	;; [unrolled: 13-line block ×8, first 2 shown]
	ds_read_b128 v[18:21], v54 offset:32
	ds_read_b128 v[22:25], v123 offset:32
	;; [unrolled: 1-line block ×9, first 2 shown]
	s_waitcnt lgkmcnt(7)
	;;#ASMSTART
	v_dot2_f32_f16 v9, v18, v22, v9
	;;#ASMEND
	;;#ASMSTART
	v_dot2_f32_f16 v9, v19, v23, v9
	;;#ASMEND
	;;#ASMSTART
	v_dot2_f32_f16 v9, v20, v24, v9
	;;#ASMEND
	;;#ASMSTART
	v_dot2_f32_f16 v9, v21, v25, v9
	;;#ASMEND
	s_waitcnt lgkmcnt(6)
	;;#ASMSTART
	v_dot2_f32_f16 v8, v18, v26, v8
	;;#ASMEND
	;;#ASMSTART
	v_dot2_f32_f16 v8, v19, v27, v8
	;;#ASMEND
	;;#ASMSTART
	v_dot2_f32_f16 v8, v20, v28, v8
	;;#ASMEND
	;;#ASMSTART
	v_dot2_f32_f16 v8, v21, v29, v8
	;;#ASMEND
	;; [unrolled: 13-line block ×8, first 2 shown]
	ds_read_b128 v[18:21], v54 offset:48
	ds_read_b128 v[22:25], v123 offset:48
	;; [unrolled: 1-line block ×9, first 2 shown]
	s_waitcnt lgkmcnt(7)
	;;#ASMSTART
	v_dot2_f32_f16 v9, v18, v22, v9
	;;#ASMEND
	;;#ASMSTART
	v_dot2_f32_f16 v9, v19, v23, v9
	;;#ASMEND
	;;#ASMSTART
	v_dot2_f32_f16 v9, v20, v24, v9
	;;#ASMEND
	;;#ASMSTART
	v_dot2_f32_f16 v9, v21, v25, v9
	;;#ASMEND
	s_waitcnt lgkmcnt(6)
	;;#ASMSTART
	v_dot2_f32_f16 v8, v18, v26, v8
	;;#ASMEND
	;;#ASMSTART
	v_dot2_f32_f16 v8, v19, v27, v8
	;;#ASMEND
	;;#ASMSTART
	v_dot2_f32_f16 v8, v20, v28, v8
	;;#ASMEND
	;;#ASMSTART
	v_dot2_f32_f16 v8, v21, v29, v8
	;;#ASMEND
	;; [unrolled: 13-line block ×8, first 2 shown]
	ds_read_b128 v[18:21], v54 offset:64
	ds_read_b128 v[22:25], v123 offset:64
	;; [unrolled: 1-line block ×9, first 2 shown]
	s_waitcnt lgkmcnt(7)
	;;#ASMSTART
	v_dot2_f32_f16 v9, v18, v22, v9
	;;#ASMEND
	;;#ASMSTART
	v_dot2_f32_f16 v9, v19, v23, v9
	;;#ASMEND
	;;#ASMSTART
	v_dot2_f32_f16 v9, v20, v24, v9
	;;#ASMEND
	;;#ASMSTART
	v_dot2_f32_f16 v9, v21, v25, v9
	;;#ASMEND
	s_waitcnt lgkmcnt(6)
	;;#ASMSTART
	v_dot2_f32_f16 v8, v18, v26, v8
	;;#ASMEND
	;;#ASMSTART
	v_dot2_f32_f16 v8, v19, v27, v8
	;;#ASMEND
	;;#ASMSTART
	v_dot2_f32_f16 v8, v20, v28, v8
	;;#ASMEND
	;;#ASMSTART
	v_dot2_f32_f16 v8, v21, v29, v8
	;;#ASMEND
	;; [unrolled: 13-line block ×8, first 2 shown]
	ds_read_b128 v[18:21], v54 offset:80
	ds_read_b128 v[22:25], v123 offset:80
	;; [unrolled: 1-line block ×9, first 2 shown]
	s_waitcnt lgkmcnt(7)
	;;#ASMSTART
	v_dot2_f32_f16 v9, v18, v22, v9
	;;#ASMEND
	;;#ASMSTART
	v_dot2_f32_f16 v9, v19, v23, v9
	;;#ASMEND
	;;#ASMSTART
	v_dot2_f32_f16 v9, v20, v24, v9
	;;#ASMEND
	;;#ASMSTART
	v_dot2_f32_f16 v9, v21, v25, v9
	;;#ASMEND
	s_waitcnt lgkmcnt(6)
	;;#ASMSTART
	v_dot2_f32_f16 v8, v18, v26, v8
	;;#ASMEND
	;;#ASMSTART
	v_dot2_f32_f16 v8, v19, v27, v8
	;;#ASMEND
	;;#ASMSTART
	v_dot2_f32_f16 v8, v20, v28, v8
	;;#ASMEND
	;;#ASMSTART
	v_dot2_f32_f16 v8, v21, v29, v8
	;;#ASMEND
	;; [unrolled: 13-line block ×8, first 2 shown]
	ds_read_b128 v[18:21], v54 offset:96
	ds_read_b128 v[22:25], v123 offset:96
	;; [unrolled: 1-line block ×9, first 2 shown]
	s_waitcnt lgkmcnt(7)
	;;#ASMSTART
	v_dot2_f32_f16 v9, v18, v22, v9
	;;#ASMEND
	;;#ASMSTART
	v_dot2_f32_f16 v9, v19, v23, v9
	;;#ASMEND
	;;#ASMSTART
	v_dot2_f32_f16 v9, v20, v24, v9
	;;#ASMEND
	;;#ASMSTART
	v_dot2_f32_f16 v9, v21, v25, v9
	;;#ASMEND
	s_waitcnt lgkmcnt(6)
	;;#ASMSTART
	v_dot2_f32_f16 v8, v18, v26, v8
	;;#ASMEND
	;;#ASMSTART
	v_dot2_f32_f16 v8, v19, v27, v8
	;;#ASMEND
	;;#ASMSTART
	v_dot2_f32_f16 v8, v20, v28, v8
	;;#ASMEND
	;;#ASMSTART
	v_dot2_f32_f16 v8, v21, v29, v8
	;;#ASMEND
	;; [unrolled: 13-line block ×8, first 2 shown]
	s_barrier
	s_and_saveexec_b64 s[20:21], s[52:53]
	s_cbranch_execnz .LBB52_62
; %bb.29:                               ;   in Loop: Header=BB52_24 Depth=1
	s_or_b64 exec, exec, s[20:21]
	s_and_saveexec_b64 s[20:21], s[10:11]
	s_cbranch_execnz .LBB52_63
.LBB52_30:                              ;   in Loop: Header=BB52_24 Depth=1
	s_or_b64 exec, exec, s[20:21]
	s_and_saveexec_b64 s[20:21], s[12:13]
	s_cbranch_execz .LBB52_32
.LBB52_31:                              ;   in Loop: Header=BB52_24 Depth=1
	buffer_load_dword v18, off, s[0:3], 0 offset:256 ; 4-byte Folded Reload
	buffer_load_dword v19, off, s[0:3], 0 offset:260 ; 4-byte Folded Reload
	v_mov_b32_e32 v0, s23
	s_waitcnt vmcnt(1)
	v_add_co_u32_e32 v1, vcc, s22, v18
	s_waitcnt vmcnt(0)
	v_addc_co_u32_e32 v18, vcc, v0, v19, vcc
	buffer_load_dword v0, off, s[0:3], 0 offset:116 ; 4-byte Folded Reload
	s_waitcnt vmcnt(0)
	v_add_co_u32_e32 v0, vcc, v1, v0
	v_addc_co_u32_e32 v1, vcc, 0, v18, vcc
	global_load_dwordx4 v[18:21], v[0:1], off offset:112
	s_nop 0
	buffer_load_dword v0, off, s[0:3], 0 offset:216 ; 4-byte Folded Reload
	s_waitcnt vmcnt(0)
	ds_write_b128 v0, v[18:21]
.LBB52_32:                              ;   in Loop: Header=BB52_24 Depth=1
	s_or_b64 exec, exec, s[20:21]
	s_waitcnt lgkmcnt(0)
	s_barrier
	ds_read_b128 v[18:21], v54
	ds_read_b128 v[22:25], v123 offset:112
	ds_read_b128 v[26:29], v123 offset:336
	;; [unrolled: 1-line block ×8, first 2 shown]
	s_waitcnt lgkmcnt(7)
	;;#ASMSTART
	v_dot2_f32_f16 v9, v18, v22, v9
	;;#ASMEND
	;;#ASMSTART
	v_dot2_f32_f16 v9, v19, v23, v9
	;;#ASMEND
	;;#ASMSTART
	v_dot2_f32_f16 v9, v20, v24, v9
	;;#ASMEND
	;;#ASMSTART
	v_dot2_f32_f16 v9, v21, v25, v9
	;;#ASMEND
	s_waitcnt lgkmcnt(6)
	;;#ASMSTART
	v_dot2_f32_f16 v8, v18, v26, v8
	;;#ASMEND
	;;#ASMSTART
	v_dot2_f32_f16 v8, v19, v27, v8
	;;#ASMEND
	;;#ASMSTART
	v_dot2_f32_f16 v8, v20, v28, v8
	;;#ASMEND
	;;#ASMSTART
	v_dot2_f32_f16 v8, v21, v29, v8
	;;#ASMEND
	;; [unrolled: 13-line block ×8, first 2 shown]
	ds_read_b128 v[18:21], v54 offset:16
	ds_read_b128 v[22:25], v123 offset:128
	;; [unrolled: 1-line block ×9, first 2 shown]
	s_waitcnt lgkmcnt(7)
	;;#ASMSTART
	v_dot2_f32_f16 v9, v18, v22, v9
	;;#ASMEND
	;;#ASMSTART
	v_dot2_f32_f16 v9, v19, v23, v9
	;;#ASMEND
	;;#ASMSTART
	v_dot2_f32_f16 v9, v20, v24, v9
	;;#ASMEND
	;;#ASMSTART
	v_dot2_f32_f16 v9, v21, v25, v9
	;;#ASMEND
	s_waitcnt lgkmcnt(6)
	;;#ASMSTART
	v_dot2_f32_f16 v8, v18, v26, v8
	;;#ASMEND
	;;#ASMSTART
	v_dot2_f32_f16 v8, v19, v27, v8
	;;#ASMEND
	;;#ASMSTART
	v_dot2_f32_f16 v8, v20, v28, v8
	;;#ASMEND
	;;#ASMSTART
	v_dot2_f32_f16 v8, v21, v29, v8
	;;#ASMEND
	;; [unrolled: 13-line block ×8, first 2 shown]
	ds_read_b128 v[18:21], v54 offset:32
	ds_read_b128 v[22:25], v123 offset:144
	;; [unrolled: 1-line block ×9, first 2 shown]
	s_waitcnt lgkmcnt(7)
	;;#ASMSTART
	v_dot2_f32_f16 v9, v18, v22, v9
	;;#ASMEND
	;;#ASMSTART
	v_dot2_f32_f16 v9, v19, v23, v9
	;;#ASMEND
	;;#ASMSTART
	v_dot2_f32_f16 v9, v20, v24, v9
	;;#ASMEND
	;;#ASMSTART
	v_dot2_f32_f16 v9, v21, v25, v9
	;;#ASMEND
	s_waitcnt lgkmcnt(6)
	;;#ASMSTART
	v_dot2_f32_f16 v8, v18, v26, v8
	;;#ASMEND
	;;#ASMSTART
	v_dot2_f32_f16 v8, v19, v27, v8
	;;#ASMEND
	;;#ASMSTART
	v_dot2_f32_f16 v8, v20, v28, v8
	;;#ASMEND
	;;#ASMSTART
	v_dot2_f32_f16 v8, v21, v29, v8
	;;#ASMEND
	s_waitcnt lgkmcnt(5)
	;;#ASMSTART
	v_dot2_f32_f16 v7, v18, v30, v7
	;;#ASMEND
	;;#ASMSTART
	v_dot2_f32_f16 v7, v19, v31, v7
	;;#ASMEND
	;;#ASMSTART
	v_dot2_f32_f16 v7, v20, v32, v7
	;;#ASMEND
	;;#ASMSTART
	v_dot2_f32_f16 v7, v21, v33, v7
	;;#ASMEND
	s_waitcnt lgkmcnt(4)
	;;#ASMSTART
	v_dot2_f32_f16 v6, v18, v34, v6
	;;#ASMEND
	;;#ASMSTART
	v_dot2_f32_f16 v6, v19, v35, v6
	;;#ASMEND
	;;#ASMSTART
	v_dot2_f32_f16 v6, v20, v36, v6
	;;#ASMEND
	;;#ASMSTART
	v_dot2_f32_f16 v6, v21, v37, v6
	;;#ASMEND
	s_waitcnt lgkmcnt(3)
	;;#ASMSTART
	v_dot2_f32_f16 v5, v18, v38, v5
	;;#ASMEND
	;;#ASMSTART
	v_dot2_f32_f16 v5, v19, v39, v5
	;;#ASMEND
	;;#ASMSTART
	v_dot2_f32_f16 v5, v20, v40, v5
	;;#ASMEND
	;;#ASMSTART
	v_dot2_f32_f16 v5, v21, v41, v5
	;;#ASMEND
	s_waitcnt lgkmcnt(2)
	;;#ASMSTART
	v_dot2_f32_f16 v4, v18, v42, v4
	;;#ASMEND
	;;#ASMSTART
	v_dot2_f32_f16 v4, v19, v43, v4
	;;#ASMEND
	;;#ASMSTART
	v_dot2_f32_f16 v4, v20, v44, v4
	;;#ASMEND
	;;#ASMSTART
	v_dot2_f32_f16 v4, v21, v45, v4
	;;#ASMEND
	s_waitcnt lgkmcnt(1)
	;;#ASMSTART
	v_dot2_f32_f16 v3, v18, v46, v3
	;;#ASMEND
	;;#ASMSTART
	v_dot2_f32_f16 v3, v19, v47, v3
	;;#ASMEND
	;;#ASMSTART
	v_dot2_f32_f16 v3, v20, v48, v3
	;;#ASMEND
	;;#ASMSTART
	v_dot2_f32_f16 v3, v21, v49, v3
	;;#ASMEND
	s_waitcnt lgkmcnt(0)
	;;#ASMSTART
	v_dot2_f32_f16 v2, v18, v50, v2
	;;#ASMEND
	;;#ASMSTART
	v_dot2_f32_f16 v2, v19, v51, v2
	;;#ASMEND
	;;#ASMSTART
	v_dot2_f32_f16 v2, v20, v52, v2
	;;#ASMEND
	;;#ASMSTART
	v_dot2_f32_f16 v2, v21, v53, v2
	;;#ASMEND
	ds_read_b128 v[18:21], v54 offset:48
	ds_read_b128 v[22:25], v123 offset:160
	;; [unrolled: 1-line block ×9, first 2 shown]
	s_waitcnt lgkmcnt(7)
	;;#ASMSTART
	v_dot2_f32_f16 v9, v18, v22, v9
	;;#ASMEND
	;;#ASMSTART
	v_dot2_f32_f16 v9, v19, v23, v9
	;;#ASMEND
	;;#ASMSTART
	v_dot2_f32_f16 v9, v20, v24, v9
	;;#ASMEND
	;;#ASMSTART
	v_dot2_f32_f16 v9, v21, v25, v9
	;;#ASMEND
	s_waitcnt lgkmcnt(6)
	;;#ASMSTART
	v_dot2_f32_f16 v8, v18, v26, v8
	;;#ASMEND
	;;#ASMSTART
	v_dot2_f32_f16 v8, v19, v27, v8
	;;#ASMEND
	;;#ASMSTART
	v_dot2_f32_f16 v8, v20, v28, v8
	;;#ASMEND
	;;#ASMSTART
	v_dot2_f32_f16 v8, v21, v29, v8
	;;#ASMEND
	;; [unrolled: 13-line block ×8, first 2 shown]
	ds_read_b128 v[18:21], v54 offset:64
	ds_read_b128 v[22:25], v123 offset:176
	;; [unrolled: 1-line block ×9, first 2 shown]
	s_waitcnt lgkmcnt(7)
	;;#ASMSTART
	v_dot2_f32_f16 v9, v18, v22, v9
	;;#ASMEND
	;;#ASMSTART
	v_dot2_f32_f16 v9, v19, v23, v9
	;;#ASMEND
	;;#ASMSTART
	v_dot2_f32_f16 v9, v20, v24, v9
	;;#ASMEND
	;;#ASMSTART
	v_dot2_f32_f16 v9, v21, v25, v9
	;;#ASMEND
	s_waitcnt lgkmcnt(6)
	;;#ASMSTART
	v_dot2_f32_f16 v8, v18, v26, v8
	;;#ASMEND
	;;#ASMSTART
	v_dot2_f32_f16 v8, v19, v27, v8
	;;#ASMEND
	;;#ASMSTART
	v_dot2_f32_f16 v8, v20, v28, v8
	;;#ASMEND
	;;#ASMSTART
	v_dot2_f32_f16 v8, v21, v29, v8
	;;#ASMEND
	;; [unrolled: 13-line block ×8, first 2 shown]
	ds_read_b128 v[18:21], v54 offset:80
	ds_read_b128 v[22:25], v123 offset:192
	;; [unrolled: 1-line block ×9, first 2 shown]
	s_waitcnt lgkmcnt(7)
	;;#ASMSTART
	v_dot2_f32_f16 v9, v18, v22, v9
	;;#ASMEND
	;;#ASMSTART
	v_dot2_f32_f16 v9, v19, v23, v9
	;;#ASMEND
	;;#ASMSTART
	v_dot2_f32_f16 v9, v20, v24, v9
	;;#ASMEND
	;;#ASMSTART
	v_dot2_f32_f16 v9, v21, v25, v9
	;;#ASMEND
	s_waitcnt lgkmcnt(6)
	;;#ASMSTART
	v_dot2_f32_f16 v8, v18, v26, v8
	;;#ASMEND
	;;#ASMSTART
	v_dot2_f32_f16 v8, v19, v27, v8
	;;#ASMEND
	;;#ASMSTART
	v_dot2_f32_f16 v8, v20, v28, v8
	;;#ASMEND
	;;#ASMSTART
	v_dot2_f32_f16 v8, v21, v29, v8
	;;#ASMEND
	;; [unrolled: 13-line block ×8, first 2 shown]
	ds_read_b128 v[18:21], v54 offset:96
	ds_read_b128 v[22:25], v123 offset:208
	;; [unrolled: 1-line block ×9, first 2 shown]
	s_waitcnt lgkmcnt(7)
	;;#ASMSTART
	v_dot2_f32_f16 v9, v18, v22, v9
	;;#ASMEND
	;;#ASMSTART
	v_dot2_f32_f16 v9, v19, v23, v9
	;;#ASMEND
	;;#ASMSTART
	v_dot2_f32_f16 v9, v20, v24, v9
	;;#ASMEND
	;;#ASMSTART
	v_dot2_f32_f16 v9, v21, v25, v9
	;;#ASMEND
	s_waitcnt lgkmcnt(6)
	;;#ASMSTART
	v_dot2_f32_f16 v8, v18, v26, v8
	;;#ASMEND
	;;#ASMSTART
	v_dot2_f32_f16 v8, v19, v27, v8
	;;#ASMEND
	;;#ASMSTART
	v_dot2_f32_f16 v8, v20, v28, v8
	;;#ASMEND
	;;#ASMSTART
	v_dot2_f32_f16 v8, v21, v29, v8
	;;#ASMEND
	;; [unrolled: 13-line block ×8, first 2 shown]
	buffer_load_dword v0, off, s[0:3], 0 offset:200 ; 4-byte Folded Reload
	v_cndmask_b32_e64 v1, 0, 1, s[58:59]
	v_cmp_ne_u32_e64 s[20:21], 1, v1
	s_andn2_b64 vcc, exec, s[58:59]
	v_mov_b32_e32 v1, 0
	s_waitcnt vmcnt(0)
	v_add_u32_e32 v21, s80, v0
	v_mov_b32_e32 v0, 0
	s_cbranch_vccnz .LBB52_34
; %bb.33:                               ;   in Loop: Header=BB52_24 Depth=1
	buffer_load_dword v1, off, s[0:3], 0 offset:296 ; 4-byte Folded Reload
	s_waitcnt vmcnt(0)
	v_add_u32_e32 v18, v21, v1
	v_ashrrev_i32_e32 v19, 31, v18
	v_lshlrev_b64 v[18:19], 1, v[18:19]
	v_mov_b32_e32 v1, s71
	v_add_co_u32_e32 v18, vcc, s70, v18
	v_addc_co_u32_e32 v19, vcc, v1, v19, vcc
	global_load_ushort v1, v[18:19], off
	s_waitcnt vmcnt(0)
	v_cvt_f32_f16_e32 v1, v1
	buffer_load_dword v18, off, s[0:3], 0 offset:16 ; 4-byte Folded Reload
	s_waitcnt vmcnt(0)
	v_mul_f32_e32 v1, v18, v1
.LBB52_34:                              ;   in Loop: Header=BB52_24 Depth=1
	buffer_load_dword v26, off, s[0:3], 0 offset:264 ; 4-byte Folded Reload
	s_waitcnt vmcnt(0)
	v_and_b32_e32 v18, 0x60, v26
	v_add_u32_e32 v20, 32, v18
	v_xor_b32_e32 v18, 16, v26
	v_cmp_lt_i32_e32 vcc, v18, v20
	v_cndmask_b32_e32 v18, v26, v18, vcc
	v_lshlrev_b32_e32 v19, 2, v18
	v_add_f32_e32 v18, v9, v1
	v_add_f32_e32 v1, 0x40051340, v18
	v_max_f32_e32 v9, v16, v16
	v_max_f32_e32 v1, v9, v1
	ds_bpermute_b32 v9, v19, v1
	v_xor_b32_e32 v22, 8, v26
	v_cmp_lt_i32_e32 vcc, v22, v20
	v_cndmask_b32_e32 v22, v26, v22, vcc
	v_lshlrev_b32_e32 v22, 2, v22
	s_waitcnt lgkmcnt(0)
	v_max_f32_e32 v9, v9, v9
	v_max_f32_e32 v1, v1, v9
	ds_bpermute_b32 v9, v22, v1
	v_xor_b32_e32 v23, 4, v26
	v_cmp_lt_i32_e32 vcc, v23, v20
	v_cndmask_b32_e32 v23, v26, v23, vcc
	v_lshlrev_b32_e32 v23, 2, v23
	s_waitcnt lgkmcnt(0)
	v_max_f32_e32 v9, v9, v9
	v_max_f32_e32 v1, v1, v9
	ds_bpermute_b32 v9, v23, v1
	v_xor_b32_e32 v24, 2, v26
	v_cmp_lt_i32_e32 vcc, v24, v20
	v_cndmask_b32_e32 v24, v26, v24, vcc
	v_lshlrev_b32_e32 v24, 2, v24
	s_waitcnt lgkmcnt(0)
	v_max_f32_e32 v9, v9, v9
	v_max_f32_e32 v1, v1, v9
	ds_bpermute_b32 v9, v24, v1
	v_xor_b32_e32 v25, 1, v26
	v_cmp_lt_i32_e32 vcc, v25, v20
	v_cndmask_b32_e32 v20, v26, v25, vcc
	v_lshlrev_b32_e32 v25, 2, v20
	s_waitcnt lgkmcnt(0)
	v_max_f32_e32 v9, v9, v9
	v_max_f32_e32 v9, v1, v9
	ds_bpermute_b32 v26, v25, v9
	s_and_b64 vcc, exec, s[20:21]
	s_cbranch_vccnz .LBB52_36
; %bb.35:                               ;   in Loop: Header=BB52_24 Depth=1
	buffer_load_dword v0, off, s[0:3], 0 offset:300 ; 4-byte Folded Reload
	v_mov_b32_e32 v20, s71
	s_waitcnt vmcnt(0)
	v_add_u32_e32 v0, v21, v0
	v_ashrrev_i32_e32 v1, 31, v0
	v_lshlrev_b64 v[0:1], 1, v[0:1]
	v_add_co_u32_e32 v0, vcc, s70, v0
	v_addc_co_u32_e32 v1, vcc, v20, v1, vcc
	global_load_ushort v0, v[0:1], off
	s_waitcnt vmcnt(0)
	v_cvt_f32_f16_e32 v0, v0
	buffer_load_dword v1, off, s[0:3], 0 offset:16 ; 4-byte Folded Reload
	s_waitcnt vmcnt(0)
	v_mul_f32_e32 v0, v1, v0
.LBB52_36:                              ;   in Loop: Header=BB52_24 Depth=1
	v_add_f32_e32 v20, v8, v0
	v_add_f32_e32 v0, 0x40051340, v20
	v_max_f32_e32 v1, v17, v17
	v_max_f32_e32 v0, v1, v0
	ds_bpermute_b32 v1, v19, v0
	s_and_b64 vcc, exec, s[20:21]
	v_mov_b32_e32 v8, 0
	s_waitcnt lgkmcnt(0)
	v_max_f32_e32 v1, v1, v1
	v_max_f32_e32 v0, v0, v1
	ds_bpermute_b32 v1, v22, v0
	s_waitcnt lgkmcnt(0)
	v_max_f32_e32 v1, v1, v1
	v_max_f32_e32 v0, v0, v1
	ds_bpermute_b32 v1, v23, v0
	;; [unrolled: 4-line block ×4, first 2 shown]
	v_mov_b32_e32 v1, 0
	s_cbranch_vccnz .LBB52_38
; %bb.37:                               ;   in Loop: Header=BB52_24 Depth=1
	buffer_load_dword v8, off, s[0:3], 0 offset:304 ; 4-byte Folded Reload
	s_waitcnt vmcnt(0)
	v_add_u32_e32 v27, v21, v8
	v_ashrrev_i32_e32 v28, 31, v27
	v_lshlrev_b64 v[27:28], 1, v[27:28]
	v_mov_b32_e32 v8, s71
	v_add_co_u32_e32 v27, vcc, s70, v27
	v_addc_co_u32_e32 v28, vcc, v8, v28, vcc
	global_load_ushort v8, v[27:28], off
	s_waitcnt vmcnt(0)
	v_cvt_f32_f16_e32 v8, v8
	buffer_load_dword v27, off, s[0:3], 0 offset:16 ; 4-byte Folded Reload
	s_waitcnt vmcnt(0)
	v_mul_f32_e32 v8, v27, v8
.LBB52_38:                              ;   in Loop: Header=BB52_24 Depth=1
	v_add_f32_e32 v27, v7, v8
	v_add_f32_e32 v7, 0x40051340, v27
	v_max_f32_e32 v8, v15, v15
	v_max_f32_e32 v7, v8, v7
	ds_bpermute_b32 v8, v19, v7
	s_and_b64 vcc, exec, s[20:21]
	s_waitcnt lgkmcnt(0)
	v_max_f32_e32 v8, v8, v8
	v_max_f32_e32 v7, v7, v8
	ds_bpermute_b32 v8, v22, v7
	s_waitcnt lgkmcnt(0)
	v_max_f32_e32 v8, v8, v8
	v_max_f32_e32 v7, v7, v8
	ds_bpermute_b32 v8, v23, v7
	;; [unrolled: 4-line block ×4, first 2 shown]
	s_cbranch_vccnz .LBB52_40
; %bb.39:                               ;   in Loop: Header=BB52_24 Depth=1
	buffer_load_dword v1, off, s[0:3], 0 offset:308 ; 4-byte Folded Reload
	s_waitcnt vmcnt(0)
	v_add_u32_e32 v28, v21, v1
	v_ashrrev_i32_e32 v29, 31, v28
	v_lshlrev_b64 v[28:29], 1, v[28:29]
	v_mov_b32_e32 v1, s71
	v_add_co_u32_e32 v28, vcc, s70, v28
	v_addc_co_u32_e32 v29, vcc, v1, v29, vcc
	global_load_ushort v1, v[28:29], off
	s_waitcnt vmcnt(0)
	v_cvt_f32_f16_e32 v1, v1
	buffer_load_dword v28, off, s[0:3], 0 offset:16 ; 4-byte Folded Reload
	s_waitcnt vmcnt(0)
	v_mul_f32_e32 v1, v28, v1
.LBB52_40:                              ;   in Loop: Header=BB52_24 Depth=1
	v_add_f32_e32 v28, v6, v1
	v_add_f32_e32 v1, 0x40051340, v28
	v_max_f32_e32 v6, v14, v14
	v_max_f32_e32 v1, v6, v1
	ds_bpermute_b32 v6, v19, v1
	s_and_b64 vcc, exec, s[20:21]
	v_mov_b32_e32 v29, 0
	s_waitcnt lgkmcnt(0)
	v_max_f32_e32 v6, v6, v6
	v_max_f32_e32 v1, v1, v6
	ds_bpermute_b32 v6, v22, v1
	s_waitcnt lgkmcnt(0)
	v_max_f32_e32 v6, v6, v6
	v_max_f32_e32 v1, v1, v6
	ds_bpermute_b32 v6, v23, v1
	;; [unrolled: 4-line block ×4, first 2 shown]
	v_mov_b32_e32 v1, 0
	s_cbranch_vccnz .LBB52_42
; %bb.41:                               ;   in Loop: Header=BB52_24 Depth=1
	buffer_load_dword v29, off, s[0:3], 0 offset:312 ; 4-byte Folded Reload
	s_waitcnt vmcnt(0)
	v_add_u32_e32 v32, v21, v29
	v_ashrrev_i32_e32 v33, 31, v32
	v_lshlrev_b64 v[32:33], 1, v[32:33]
	v_mov_b32_e32 v29, s71
	v_add_co_u32_e32 v32, vcc, s70, v32
	v_addc_co_u32_e32 v33, vcc, v29, v33, vcc
	global_load_ushort v29, v[32:33], off
	s_waitcnt vmcnt(0)
	v_cvt_f32_f16_e32 v29, v29
	buffer_load_dword v32, off, s[0:3], 0 offset:16 ; 4-byte Folded Reload
	s_waitcnt vmcnt(0)
	v_mul_f32_e32 v29, v32, v29
.LBB52_42:                              ;   in Loop: Header=BB52_24 Depth=1
	v_add_f32_e32 v29, v5, v29
	v_add_f32_e32 v5, 0x40051340, v29
	v_max_f32_e32 v32, v13, v13
	v_max_f32_e32 v5, v32, v5
	ds_bpermute_b32 v32, v19, v5
	s_and_b64 vcc, exec, s[20:21]
	s_waitcnt lgkmcnt(0)
	v_max_f32_e32 v32, v32, v32
	v_max_f32_e32 v5, v5, v32
	ds_bpermute_b32 v32, v22, v5
	s_waitcnt lgkmcnt(0)
	v_max_f32_e32 v32, v32, v32
	v_max_f32_e32 v5, v5, v32
	ds_bpermute_b32 v32, v23, v5
	;; [unrolled: 4-line block ×4, first 2 shown]
	s_cbranch_vccnz .LBB52_44
; %bb.43:                               ;   in Loop: Header=BB52_24 Depth=1
	buffer_load_dword v1, off, s[0:3], 0 offset:316 ; 4-byte Folded Reload
	s_waitcnt vmcnt(0)
	v_add_u32_e32 v33, v21, v1
	v_ashrrev_i32_e32 v34, 31, v33
	v_lshlrev_b64 v[33:34], 1, v[33:34]
	v_mov_b32_e32 v1, s71
	v_add_co_u32_e32 v33, vcc, s70, v33
	v_addc_co_u32_e32 v34, vcc, v1, v34, vcc
	global_load_ushort v1, v[33:34], off
	s_waitcnt vmcnt(0)
	v_cvt_f32_f16_e32 v1, v1
	buffer_load_dword v33, off, s[0:3], 0 offset:16 ; 4-byte Folded Reload
	s_waitcnt vmcnt(0)
	v_mul_f32_e32 v1, v33, v1
.LBB52_44:                              ;   in Loop: Header=BB52_24 Depth=1
	v_add_f32_e32 v1, v4, v1
	v_add_f32_e32 v4, 0x40051340, v1
	v_max_f32_e32 v33, v12, v12
	v_max_f32_e32 v4, v33, v4
	ds_bpermute_b32 v33, v19, v4
	v_mov_b32_e32 v34, 0
	s_and_b64 vcc, exec, s[20:21]
	v_mov_b32_e32 v35, 0
	s_waitcnt lgkmcnt(0)
	v_max_f32_e32 v33, v33, v33
	v_max_f32_e32 v4, v4, v33
	ds_bpermute_b32 v33, v22, v4
	s_waitcnt lgkmcnt(0)
	v_max_f32_e32 v33, v33, v33
	v_max_f32_e32 v4, v4, v33
	ds_bpermute_b32 v33, v23, v4
	;; [unrolled: 4-line block ×4, first 2 shown]
	s_cbranch_vccnz .LBB52_46
; %bb.45:                               ;   in Loop: Header=BB52_24 Depth=1
	buffer_load_dword v35, off, s[0:3], 0 offset:320 ; 4-byte Folded Reload
	v_mov_b32_e32 v37, s71
	s_waitcnt vmcnt(0)
	v_add_u32_e32 v35, v21, v35
	v_ashrrev_i32_e32 v36, 31, v35
	v_lshlrev_b64 v[35:36], 1, v[35:36]
	v_add_co_u32_e32 v35, vcc, s70, v35
	v_addc_co_u32_e32 v36, vcc, v37, v36, vcc
	global_load_ushort v35, v[35:36], off
	s_waitcnt vmcnt(0)
	v_cvt_f32_f16_e32 v35, v35
	buffer_load_dword v36, off, s[0:3], 0 offset:16 ; 4-byte Folded Reload
	s_waitcnt vmcnt(0)
	v_mul_f32_e32 v35, v36, v35
.LBB52_46:                              ;   in Loop: Header=BB52_24 Depth=1
	v_add_f32_e32 v3, v3, v35
	v_add_f32_e32 v35, 0x40051340, v3
	v_max_f32_e32 v36, v11, v11
	v_max_f32_e32 v35, v36, v35
	ds_bpermute_b32 v36, v19, v35
	v_mov_b32_e32 v124, v70
	s_and_b64 vcc, exec, s[20:21]
	buffer_store_dword v71, off, s[0:3], 0 offset:76 ; 4-byte Folded Spill
	buffer_store_dword v69, off, s[0:3], 0 offset:72 ; 4-byte Folded Spill
	;; [unrolled: 1-line block ×15, first 2 shown]
	s_waitcnt lgkmcnt(0)
	v_max_f32_e32 v36, v36, v36
	v_max_f32_e32 v35, v35, v36
	ds_bpermute_b32 v36, v22, v35
	s_waitcnt lgkmcnt(0)
	v_max_f32_e32 v36, v36, v36
	v_max_f32_e32 v35, v35, v36
	ds_bpermute_b32 v36, v23, v35
	;; [unrolled: 4-line block ×4, first 2 shown]
	s_cbranch_vccnz .LBB52_48
; %bb.47:                               ;   in Loop: Header=BB52_24 Depth=1
	buffer_load_dword v34, off, s[0:3], 0 offset:324 ; 4-byte Folded Reload
	s_waitcnt vmcnt(0)
	v_add_u32_e32 v37, v21, v34
	v_ashrrev_i32_e32 v38, 31, v37
	v_lshlrev_b64 v[37:38], 1, v[37:38]
	v_mov_b32_e32 v21, s71
	v_add_co_u32_e32 v37, vcc, s70, v37
	v_addc_co_u32_e32 v38, vcc, v21, v38, vcc
	global_load_ushort v21, v[37:38], off
	buffer_load_dword v34, off, s[0:3], 0 offset:16 ; 4-byte Folded Reload
	s_waitcnt vmcnt(1)
	v_cvt_f32_f16_e32 v21, v21
	s_waitcnt vmcnt(0)
	v_mul_f32_e32 v34, v34, v21
.LBB52_48:                              ;   in Loop: Header=BB52_24 Depth=1
	v_add_f32_e32 v2, v2, v34
	s_waitcnt lgkmcnt(0)
	v_max_f32_e32 v21, v36, v36
	v_add_f32_e32 v34, 0x40051340, v2
	v_max_f32_e32 v36, v10, v10
	v_max_f32_e32 v34, v36, v34
	ds_bpermute_b32 v19, v19, v34
	v_max_f32_e32 v35, v35, v35
	v_max_f32_e32 v36, v35, v21
	v_max_f32_e32 v21, v33, v33
	v_max_f32_e32 v4, v4, v4
	s_waitcnt lgkmcnt(0)
	v_max_f32_e32 v19, v19, v19
	v_max_f32_e32 v19, v34, v19
	ds_bpermute_b32 v22, v22, v19
	v_max_f32_e32 v35, v4, v21
	v_max_f32_e32 v4, v32, v32
	v_max_f32_e32 v5, v5, v5
	v_max_f32_e32 v34, v5, v4
	s_waitcnt lgkmcnt(0)
	;; [unrolled: 8-line block ×5, first 2 shown]
	v_max_f32_e32 v0, v5, v5
	v_max_f32_e32 v37, v4, v0
	v_sub_f32_e32 v0, v18, v30
	v_mul_f32_e32 v4, 0x3fb8aa3b, v0
	v_fma_f32 v5, v0, s86, -v4
	v_rndne_f32_e32 v6, v4
	v_fmac_f32_e32 v5, 0x32a5705f, v0
	v_sub_f32_e32 v4, v4, v6
	v_add_f32_e32 v4, v4, v5
	v_exp_f32_e32 v4, v4
	v_cvt_i32_f32_e32 v5, v6
	v_cmp_ngt_f32_e32 vcc, s87, v0
	v_sub_f32_e32 v106, v16, v30
	v_mov_b32_e32 v16, 0x7f800000
	v_ldexp_f32 v4, v4, v5
	v_cndmask_b32_e32 v4, 0, v4, vcc
	v_cmp_nlt_f32_e32 vcc, s88, v0
	v_cndmask_b32_e32 v0, v16, v4, vcc
	v_sub_f32_e32 v4, v20, v31
	v_mul_f32_e32 v5, 0x3fb8aa3b, v4
	v_fma_f32 v6, v4, s86, -v5
	v_rndne_f32_e32 v7, v5
	v_fmac_f32_e32 v6, 0x32a5705f, v4
	v_sub_f32_e32 v5, v5, v7
	v_add_f32_e32 v5, v5, v6
	v_exp_f32_e32 v5, v5
	v_cvt_i32_f32_e32 v6, v7
	v_cmp_ngt_f32_e64 s[22:23], s87, v4
	v_sub_f32_e32 v120, v14, v33
	v_sub_f32_e32 v1, v1, v35
	v_ldexp_f32 v5, v5, v6
	v_cndmask_b32_e64 v5, 0, v5, s[22:23]
	v_cmp_nlt_f32_e64 s[22:23], s88, v4
	v_cndmask_b32_e64 v4, v16, v5, s[22:23]
	v_sub_f32_e32 v5, v27, v32
	v_mul_f32_e32 v6, 0x3fb8aa3b, v5
	v_fma_f32 v7, v5, s86, -v6
	v_rndne_f32_e32 v8, v6
	v_fmac_f32_e32 v7, 0x32a5705f, v5
	v_sub_f32_e32 v6, v6, v8
	v_add_f32_e32 v6, v6, v7
	v_exp_f32_e32 v6, v6
	v_cvt_i32_f32_e32 v7, v8
	v_cmp_ngt_f32_e64 s[26:27], s87, v5
	v_sub_f32_e32 v107, v13, v34
	v_cmp_ngt_f32_e64 s[40:41], s87, v1
	v_ldexp_f32 v6, v6, v7
	v_cndmask_b32_e64 v6, 0, v6, s[26:27]
	v_cmp_nlt_f32_e64 s[26:27], s88, v5
	v_cndmask_b32_e64 v5, v16, v6, s[26:27]
	v_sub_f32_e32 v6, v28, v33
	v_mul_f32_e32 v7, 0x3fb8aa3b, v6
	v_fma_f32 v8, v6, s86, -v7
	v_rndne_f32_e32 v9, v7
	v_fmac_f32_e32 v8, 0x32a5705f, v6
	v_sub_f32_e32 v7, v7, v9
	v_add_f32_e32 v7, v7, v8
	v_exp_f32_e32 v7, v7
	v_cvt_i32_f32_e32 v8, v9
	v_cmp_ngt_f32_e64 s[30:31], s87, v6
	v_sub_f32_e32 v3, v3, v36
	v_sub_f32_e32 v108, v12, v35
	v_ldexp_f32 v7, v7, v8
	v_cndmask_b32_e64 v7, 0, v7, s[30:31]
	v_cmp_nlt_f32_e64 s[30:31], s88, v6
	v_cndmask_b32_e64 v6, v16, v7, s[30:31]
	v_sub_f32_e32 v7, v29, v34
	v_mul_f32_e32 v8, 0x3fb8aa3b, v7
	v_fma_f32 v9, v7, s86, -v8
	v_rndne_f32_e32 v14, v8
	v_fmac_f32_e32 v9, 0x32a5705f, v7
	v_sub_f32_e32 v8, v8, v14
	v_add_f32_e32 v8, v8, v9
	v_exp_f32_e32 v8, v8
	v_cvt_i32_f32_e32 v9, v14
	v_cmp_ngt_f32_e64 s[36:37], s87, v7
	v_sub_f32_e32 v2, v2, v37
	v_sub_f32_e32 v109, v11, v36
	v_ldexp_f32 v8, v8, v9
	v_cndmask_b32_e64 v8, 0, v8, s[36:37]
	v_cmp_nlt_f32_e64 s[36:37], s88, v7
	v_cndmask_b32_e64 v7, v16, v8, s[36:37]
	v_mul_f32_e32 v8, 0x3fb8aa3b, v1
	v_fma_f32 v9, v1, s86, -v8
	v_rndne_f32_e32 v13, v8
	v_fmac_f32_e32 v9, 0x32a5705f, v1
	v_sub_f32_e32 v8, v8, v13
	v_add_f32_e32 v8, v8, v9
	v_exp_f32_e32 v8, v8
	v_cvt_i32_f32_e32 v9, v13
	v_cmp_ngt_f32_e64 s[48:49], s87, v3
	s_waitcnt vmcnt(0)
	s_barrier
	v_ldexp_f32 v8, v8, v9
	v_cndmask_b32_e64 v8, 0, v8, s[40:41]
	v_cmp_nlt_f32_e64 s[40:41], s88, v1
	v_cndmask_b32_e64 v1, v16, v8, s[40:41]
	v_mul_f32_e32 v8, 0x3fb8aa3b, v3
	v_fma_f32 v9, v3, s86, -v8
	v_rndne_f32_e32 v12, v8
	v_fmac_f32_e32 v9, 0x32a5705f, v3
	v_sub_f32_e32 v8, v8, v12
	v_add_f32_e32 v8, v8, v9
	v_exp_f32_e32 v8, v8
	v_cvt_i32_f32_e32 v9, v12
	buffer_store_dword v0, off, s[0:3], 0 offset:88 ; 4-byte Folded Spill
	v_cvt_f16_f32_e32 v0, v0
	v_ldexp_f32 v8, v8, v9
	v_mul_f32_e32 v9, 0x3fb8aa3b, v2
	v_fma_f32 v11, v2, s86, -v9
	v_rndne_f32_e32 v12, v9
	v_fmac_f32_e32 v11, 0x32a5705f, v2
	v_sub_f32_e32 v9, v9, v12
	v_add_f32_e32 v9, v9, v11
	v_exp_f32_e32 v9, v9
	v_cvt_i32_f32_e32 v11, v12
	v_cndmask_b32_e64 v8, 0, v8, s[48:49]
	v_cmp_nlt_f32_e64 s[48:49], s88, v3
	buffer_store_dword v4, off, s[0:3], 0 offset:92 ; 4-byte Folded Spill
	v_cvt_f16_f32_e32 v4, v4
	v_cndmask_b32_e64 v3, v16, v8, s[48:49]
	v_ldexp_f32 v8, v9, v11
	v_cmp_ngt_f32_e64 s[48:49], s87, v2
	v_cndmask_b32_e64 v8, 0, v8, s[48:49]
	v_cmp_nlt_f32_e64 s[48:49], s88, v2
	v_cndmask_b32_e64 v2, v16, v8, s[48:49]
	v_sub_f32_e32 v119, v17, v31
	v_sub_f32_e32 v126, v15, v32
	buffer_store_dword v5, off, s[0:3], 0 offset:96 ; 4-byte Folded Spill
	buffer_store_dword v6, off, s[0:3], 0 offset:84 ; 4-byte Folded Spill
	;; [unrolled: 1-line block ×7, first 2 shown]
	s_nop 0
	buffer_store_dword v31, off, s[0:3], 0 offset:124 ; 4-byte Folded Spill
	buffer_store_dword v32, off, s[0:3], 0 offset:128 ; 4-byte Folded Spill
	buffer_store_dword v33, off, s[0:3], 0 offset:132 ; 4-byte Folded Spill
	buffer_store_dword v34, off, s[0:3], 0 offset:136 ; 4-byte Folded Spill
	buffer_store_dword v35, off, s[0:3], 0 offset:140 ; 4-byte Folded Spill
	buffer_store_dword v36, off, s[0:3], 0 offset:144 ; 4-byte Folded Spill
	buffer_store_dword v37, off, s[0:3], 0 offset:148 ; 4-byte Folded Spill
	v_pack_b32_f16 v0, v0, v4
	buffer_load_dword v4, off, s[0:3], 0 offset:244 ; 4-byte Folded Reload
	v_cvt_f16_f32_e32 v5, v5
	v_cvt_f16_f32_e32 v6, v6
	;; [unrolled: 1-line block ×6, first 2 shown]
	s_mul_hi_i32 s55, s80, s8
	s_mul_i32 s54, s80, s8
	s_lshl_b64 s[54:55], s[54:55], 2
	s_add_u32 s90, s73, s54
	v_cmp_ngt_f32_e64 s[44:45], s87, v106
	v_cmp_nlt_f32_e64 s[46:47], s88, v106
	v_cmp_ngt_f32_e32 vcc, s87, v119
	v_cmp_nlt_f32_e64 s[20:21], s88, v119
	v_cmp_ngt_f32_e64 s[22:23], s87, v126
	v_cmp_nlt_f32_e64 s[24:25], s88, v126
	v_cmp_ngt_f32_e64 s[26:27], s87, v120
	;; [unrolled: 2-line block ×5, first 2 shown]
	v_cmp_nlt_f32_e64 s[42:43], s88, v109
	v_pack_b32_f16 v3, v3, v2
	v_pack_b32_f16 v2, v7, v1
	;; [unrolled: 1-line block ×3, first 2 shown]
	s_addc_u32 s91, s79, s55
	v_sub_f32_e32 v110, v10, v37
	v_cmp_ngt_f32_e64 s[48:49], s87, v110
	v_cmp_nlt_f32_e64 s[50:51], s88, v110
	s_waitcnt vmcnt(0)
	ds_write_b128 v4, v[0:3]
	s_and_saveexec_b64 s[76:77], s[14:15]
	s_cbranch_execz .LBB52_50
; %bb.49:                               ;   in Loop: Header=BB52_24 Depth=1
	buffer_load_dword v1, off, s[0:3], 0 offset:268 ; 4-byte Folded Reload
	buffer_load_dword v2, off, s[0:3], 0 offset:272 ; 4-byte Folded Reload
	v_mov_b32_e32 v0, s91
	buffer_load_dword v4, off, s[0:3], 0 offset:224 ; 4-byte Folded Reload
	s_waitcnt vmcnt(2)
	v_add_co_u32_e64 v1, s[54:55], s90, v1
	s_waitcnt vmcnt(1)
	v_addc_co_u32_e64 v2, s[54:55], v0, v2, s[54:55]
	buffer_load_dword v0, off, s[0:3], 0 offset:112 ; 4-byte Folded Reload
	s_waitcnt vmcnt(0)
	v_add_co_u32_e64 v0, s[54:55], v1, v0
	v_addc_co_u32_e64 v1, s[54:55], 0, v2, s[54:55]
	global_load_dwordx4 v[0:3], v[0:1], off offset:192
	s_waitcnt vmcnt(0)
	ds_write_b128 v4, v[0:3]
.LBB52_50:                              ;   in Loop: Header=BB52_24 Depth=1
	s_or_b64 exec, exec, s[76:77]
	s_and_saveexec_b64 s[76:77], s[16:17]
	s_cbranch_execz .LBB52_52
; %bb.51:                               ;   in Loop: Header=BB52_24 Depth=1
	buffer_load_dword v1, off, s[0:3], 0 offset:276 ; 4-byte Folded Reload
	buffer_load_dword v2, off, s[0:3], 0 offset:280 ; 4-byte Folded Reload
	v_mov_b32_e32 v0, s91
	buffer_load_dword v4, off, s[0:3], 0 offset:228 ; 4-byte Folded Reload
	s_waitcnt vmcnt(2)
	v_add_co_u32_e64 v1, s[54:55], s90, v1
	s_waitcnt vmcnt(1)
	v_addc_co_u32_e64 v2, s[54:55], v0, v2, s[54:55]
	buffer_load_dword v0, off, s[0:3], 0 offset:116 ; 4-byte Folded Reload
	s_waitcnt vmcnt(0)
	v_add_co_u32_e64 v0, s[54:55], v1, v0
	v_addc_co_u32_e64 v1, s[54:55], 0, v2, s[54:55]
	global_load_dwordx4 v[0:3], v[0:1], off offset:128
	s_waitcnt vmcnt(0)
	ds_write_b128 v4, v[0:3]
.LBB52_52:                              ;   in Loop: Header=BB52_24 Depth=1
	s_or_b64 exec, exec, s[76:77]
	buffer_load_dword v0, off, s[0:3], 0 offset:204 ; 4-byte Folded Reload
	s_waitcnt vmcnt(0)
	v_lshlrev_b32_e32 v0, 2, v0
	s_and_saveexec_b64 s[76:77], s[18:19]
	s_cbranch_execz .LBB52_54
; %bb.53:                               ;   in Loop: Header=BB52_24 Depth=1
	buffer_load_dword v2, off, s[0:3], 0 offset:284 ; 4-byte Folded Reload
	buffer_load_dword v3, off, s[0:3], 0 offset:288 ; 4-byte Folded Reload
	v_mov_b32_e32 v1, s91
	buffer_load_dword v5, off, s[0:3], 0 offset:232 ; 4-byte Folded Reload
	s_waitcnt vmcnt(2)
	v_add_co_u32_e64 v2, s[54:55], s90, v2
	s_waitcnt vmcnt(1)
	v_addc_co_u32_e64 v3, s[54:55], v1, v3, s[54:55]
	v_add_co_u32_e64 v1, s[54:55], v2, v0
	v_addc_co_u32_e64 v2, s[54:55], 0, v3, s[54:55]
	global_load_dwordx4 v[1:4], v[1:2], off
	s_waitcnt vmcnt(0)
	ds_write_b128 v5, v[1:4]
.LBB52_54:                              ;   in Loop: Header=BB52_24 Depth=1
	s_or_b64 exec, exec, s[76:77]
	s_waitcnt lgkmcnt(0)
	s_barrier
	buffer_load_dword v1, off, s[0:3], 0 offset:196 ; 4-byte Folded Reload
	s_or_b32 s54, s80, 16
	s_mul_hi_i32 s55, s54, s8
	s_mul_i32 s54, s54, s8
	s_lshl_b64 s[54:55], s[54:55], 2
	s_add_u32 s90, s73, s54
	s_addc_u32 s91, s79, s55
	s_waitcnt vmcnt(0)
	v_add_u32_e32 v2, 0x3800, v1
	ds_read2_b64 v[94:97], v2 offset1:28
	ds_read_b128 v[102:105], v111
	ds_read_b128 v[98:101], v111 offset:16
	ds_read_b128 v[90:93], v111 offset:32
	;; [unrolled: 1-line block ×3, first 2 shown]
	ds_read2_b64 v[82:85], v2 offset0:56 offset1:84
	ds_read2_b64 v[58:61], v2 offset0:112 offset1:140
	ds_read_b128 v[78:81], v111 offset:64
	ds_read_b128 v[74:77], v111 offset:80
	ds_read2_b64 v[26:29], v2 offset0:168 offset1:196
	ds_read_b128 v[70:73], v111 offset:96
	ds_read_b128 v[66:69], v111 offset:112
	buffer_store_dword v2, off, s[0:3], 0 offset:188 ; 4-byte Folded Spill
	v_add_u32_e32 v1, 0x4000, v1
	ds_read2_b64 v[22:25], v2 offset0:224 offset1:252
	ds_read_b128 v[62:65], v111 offset:128
	ds_read_b128 v[54:57], v111 offset:144
	ds_read2_b64 v[18:21], v1 offset0:24 offset1:52
	ds_read_b128 v[50:53], v111 offset:160
	ds_read_b128 v[46:49], v111 offset:176
	;; [unrolled: 3-line block ×3, first 2 shown]
	buffer_store_dword v1, off, s[0:3], 0 offset:184 ; 4-byte Folded Spill
	ds_read2_b64 v[10:13], v1 offset0:136 offset1:164
	ds_read_b128 v[34:37], v111 offset:224
	ds_read_b128 v[30:33], v111 offset:240
	s_waitcnt vmcnt(0) lgkmcnt(0)
	s_barrier
	s_and_saveexec_b64 s[76:77], s[14:15]
	s_cbranch_execnz .LBB52_64
; %bb.55:                               ;   in Loop: Header=BB52_24 Depth=1
	s_or_b64 exec, exec, s[76:77]
	s_and_saveexec_b64 s[76:77], s[16:17]
	s_cbranch_execnz .LBB52_65
.LBB52_56:                              ;   in Loop: Header=BB52_24 Depth=1
	s_or_b64 exec, exec, s[76:77]
	s_and_saveexec_b64 s[76:77], s[18:19]
	s_cbranch_execz .LBB52_58
.LBB52_57:                              ;   in Loop: Header=BB52_24 Depth=1
	buffer_load_dword v2, off, s[0:3], 0 offset:284 ; 4-byte Folded Reload
	buffer_load_dword v3, off, s[0:3], 0 offset:288 ; 4-byte Folded Reload
	v_mov_b32_e32 v1, s91
	buffer_load_dword v4, off, s[0:3], 0 offset:232 ; 4-byte Folded Reload
	s_waitcnt vmcnt(2)
	v_add_co_u32_e64 v2, s[54:55], s90, v2
	s_waitcnt vmcnt(1)
	v_addc_co_u32_e64 v1, s[54:55], v1, v3, s[54:55]
	v_add_co_u32_e64 v0, s[54:55], v2, v0
	v_addc_co_u32_e64 v1, s[54:55], 0, v1, s[54:55]
	global_load_dwordx4 v[0:3], v[0:1], off
	s_waitcnt vmcnt(0)
	ds_write_b128 v4, v[0:3]
.LBB52_58:                              ;   in Loop: Header=BB52_24 Depth=1
	s_or_b64 exec, exec, s[76:77]
	v_mul_f32_e32 v4, 0x3fb8aa3b, v106
	v_fma_f32 v5, v106, s86, -v4
	v_rndne_f32_e32 v6, v4
	v_fmac_f32_e32 v5, 0x32a5705f, v106
	v_sub_f32_e32 v4, v4, v6
	v_add_f32_e32 v4, v4, v5
	v_exp_f32_e32 v4, v4
	v_cvt_i32_f32_e32 v5, v6
	v_mul_u32_u24_sdwa v118, v98, s89 dst_sel:DWORD dst_unused:UNUSED_PAD src0_sel:WORD_0 src1_sel:DWORD
	v_mul_u32_u24_sdwa v117, v98, s89 dst_sel:DWORD dst_unused:UNUSED_PAD src0_sel:WORD_1 src1_sel:DWORD
	v_mul_u32_u24_sdwa v116, v99, s89 dst_sel:DWORD dst_unused:UNUSED_PAD src0_sel:WORD_0 src1_sel:DWORD
	v_ldexp_f32 v4, v4, v5
	v_mul_f32_e32 v5, 0x3fb8aa3b, v119
	v_fma_f32 v6, v119, s86, -v5
	v_rndne_f32_e32 v7, v5
	v_fmac_f32_e32 v6, 0x32a5705f, v119
	v_sub_f32_e32 v5, v5, v7
	v_add_f32_e32 v5, v5, v6
	v_exp_f32_e32 v5, v5
	v_cvt_i32_f32_e32 v6, v7
	v_mul_u32_u24_sdwa v115, v99, s89 dst_sel:DWORD dst_unused:UNUSED_PAD src0_sel:WORD_1 src1_sel:DWORD
	v_mul_u32_u24_sdwa v114, v100, s89 dst_sel:DWORD dst_unused:UNUSED_PAD src0_sel:WORD_0 src1_sel:DWORD
	v_mul_u32_u24_sdwa v113, v100, s89 dst_sel:DWORD dst_unused:UNUSED_PAD src0_sel:WORD_1 src1_sel:DWORD
	v_ldexp_f32 v5, v5, v6
	v_mul_f32_e32 v6, 0x3fb8aa3b, v126
	v_fma_f32 v7, v126, s86, -v6
	v_rndne_f32_e32 v8, v6
	v_fmac_f32_e32 v7, 0x32a5705f, v126
	v_sub_f32_e32 v6, v6, v8
	v_add_f32_e32 v6, v6, v7
	v_exp_f32_e32 v6, v6
	v_cvt_i32_f32_e32 v7, v8
	v_mul_u32_u24_sdwa v127, v104, s89 dst_sel:DWORD dst_unused:UNUSED_PAD src0_sel:WORD_0 src1_sel:DWORD
	v_mul_u32_u24_sdwa v1, v104, s89 dst_sel:DWORD dst_unused:UNUSED_PAD src0_sel:WORD_1 src1_sel:DWORD
	v_mul_u32_u24_sdwa v122, v105, s89 dst_sel:DWORD dst_unused:UNUSED_PAD src0_sel:WORD_0 src1_sel:DWORD
	v_ldexp_f32 v6, v6, v7
	v_mul_f32_e32 v7, 0x3fb8aa3b, v120
	v_fma_f32 v8, v120, s86, -v7
	v_rndne_f32_e32 v9, v7
	v_fmac_f32_e32 v8, 0x32a5705f, v120
	v_sub_f32_e32 v7, v7, v9
	v_add_f32_e32 v7, v7, v8
	v_exp_f32_e32 v7, v7
	v_cvt_i32_f32_e32 v8, v9
	v_mul_u32_u24_sdwa v121, v105, s89 dst_sel:DWORD dst_unused:UNUSED_PAD src0_sel:WORD_1 src1_sel:DWORD
	v_cndmask_b32_e64 v4, 0, v4, s[44:45]
	v_cndmask_b32_e32 v5, 0, v5, vcc
	v_ldexp_f32 v7, v7, v8
	v_mul_f32_e32 v8, 0x3fb8aa3b, v107
	v_fma_f32 v9, v107, s86, -v8
	v_rndne_f32_e32 v98, v8
	v_fmac_f32_e32 v9, 0x32a5705f, v107
	v_sub_f32_e32 v8, v8, v98
	v_add_f32_e32 v8, v8, v9
	v_exp_f32_e32 v8, v8
	v_cvt_i32_f32_e32 v9, v98
	v_cndmask_b32_e64 v6, 0, v6, s[22:23]
	v_cndmask_b32_e64 v7, 0, v7, s[26:27]
	v_mul_u32_u24_sdwa v125, v101, s89 dst_sel:DWORD dst_unused:UNUSED_PAD src0_sel:WORD_0 src1_sel:DWORD
	v_ldexp_f32 v8, v8, v9
	v_mul_f32_e32 v9, 0x3fb8aa3b, v108
	v_fma_f32 v98, v108, s86, -v9
	v_rndne_f32_e32 v99, v9
	v_fmac_f32_e32 v98, 0x32a5705f, v108
	v_sub_f32_e32 v9, v9, v99
	v_add_f32_e32 v9, v9, v98
	v_exp_f32_e32 v9, v9
	v_cvt_i32_f32_e32 v98, v99
	v_mul_u32_u24_sdwa v0, v101, s89 dst_sel:DWORD dst_unused:UNUSED_PAD src0_sel:WORD_1 src1_sel:DWORD
	v_cndmask_b32_e64 v8, 0, v8, s[30:31]
	v_mul_u32_u24_sdwa v3, v102, s89 dst_sel:DWORD dst_unused:UNUSED_PAD src0_sel:WORD_0 src1_sel:DWORD
	v_ldexp_f32 v9, v9, v98
	v_mul_f32_e32 v98, 0x3fb8aa3b, v109
	v_fma_f32 v99, v109, s86, -v98
	v_rndne_f32_e32 v100, v98
	v_fmac_f32_e32 v99, 0x32a5705f, v109
	v_sub_f32_e32 v98, v98, v100
	v_add_f32_e32 v98, v98, v99
	v_exp_f32_e32 v98, v98
	v_cvt_i32_f32_e32 v99, v100
	v_mul_u32_u24_sdwa v2, v102, s89 dst_sel:DWORD dst_unused:UNUSED_PAD src0_sel:WORD_1 src1_sel:DWORD
	;; [unrolled: 12-line block ×3, first 2 shown]
	v_cndmask_b32_e64 v104, 0, v104, s[40:41]
	v_ldexp_f32 v105, v98, v99
	buffer_load_dword v98, off, s[0:3], 0 offset:76 ; 4-byte Folded Reload
	v_mov_b32_e32 v99, 0x7f800000
	v_cndmask_b32_e64 v4, v99, v4, s[46:47]
	buffer_store_dword v4, off, s[0:3], 0 offset:192 ; 4-byte Folded Spill
	v_cvt_f16_f32_e32 v4, v4
	v_cndmask_b32_e64 v5, v99, v5, s[20:21]
	buffer_store_dword v5, off, s[0:3], 0 offset:76 ; 4-byte Folded Spill
	v_cvt_f16_f32_e32 v5, v5
	v_mul_u32_u24_e32 v4, 0x10001, v4
	v_pk_mul_f16 v106, v124, v4
	v_cndmask_b32_e64 v100, v99, v6, s[24:25]
	v_mul_u32_u24_e32 v5, 0x10001, v5
	v_cvt_f16_f32_e32 v6, v100
	v_cndmask_b32_e64 v101, v99, v7, s[28:29]
	v_cvt_f16_f32_e32 v7, v101
	v_cndmask_b32_e64 v102, v99, v8, s[34:35]
	v_mul_u32_u24_e32 v6, 0x10001, v6
	v_cvt_f16_f32_e32 v8, v102
	v_mul_u32_u24_e32 v7, 0x10001, v7
	v_cndmask_b32_e64 v103, v99, v9, s[38:39]
	v_cvt_f16_f32_e32 v9, v103
	v_mul_u32_u24_e32 v8, 0x10001, v8
	v_cndmask_b32_e64 v104, v99, v104, s[42:43]
	;; [unrolled: 3-line block ×3, first 2 shown]
	v_cndmask_b32_e64 v105, v99, v105, s[50:51]
	v_mul_u32_u24_e32 v120, 0x10001, v120
	v_pk_fma_f16 v106, v94, v3, v106
	buffer_load_dword v99, off, s[0:3], 0 offset:24 ; 4-byte Folded Reload
	s_waitcnt vmcnt(3)
	v_pk_mul_f16 v4, v98, v4
	buffer_load_dword v98, off, s[0:3], 0 offset:68 ; 4-byte Folded Reload
	v_pk_fma_f16 v3, v95, v3, v4
	v_pk_fma_f16 v3, v97, v118, v3
	s_waitcnt vmcnt(0)
	v_pk_mul_f16 v107, v98, v5
	buffer_load_dword v98, off, s[0:3], 0 offset:72 ; 4-byte Folded Reload
	v_pk_fma_f16 v4, v94, v2, v107
	v_pk_fma_f16 v4, v96, v117, v4
	;; [unrolled: 5-line block ×3, first 2 shown]
	v_mul_u32_u24_sdwa v117, v36, s89 dst_sel:DWORD dst_unused:UNUSED_PAD src0_sel:WORD_0 src1_sel:DWORD
	v_mul_u32_u24_sdwa v36, v36, s89 dst_sel:DWORD dst_unused:UNUSED_PAD src0_sel:WORD_1 src1_sel:DWORD
	s_waitcnt vmcnt(0)
	v_pk_mul_f16 v108, v98, v6
	buffer_load_dword v98, off, s[0:3], 0 offset:64 ; 4-byte Folded Reload
	v_pk_fma_f16 v5, v94, v112, v108
	v_pk_fma_f16 v5, v96, v116, v5
	s_waitcnt vmcnt(0)
	v_pk_mul_f16 v6, v98, v6
	buffer_load_dword v98, off, s[0:3], 0 offset:52 ; 4-byte Folded Reload
	v_pk_fma_f16 v6, v95, v112, v6
	v_pk_fma_f16 v6, v97, v116, v6
	v_mul_u32_u24_sdwa v112, v87, s89 dst_sel:DWORD dst_unused:UNUSED_PAD src0_sel:WORD_0 src1_sel:DWORD
	v_mul_u32_u24_sdwa v87, v87, s89 dst_sel:DWORD dst_unused:UNUSED_PAD src0_sel:WORD_1 src1_sel:DWORD
	v_mul_u32_u24_sdwa v116, v35, s89 dst_sel:DWORD dst_unused:UNUSED_PAD src0_sel:WORD_0 src1_sel:DWORD
	v_mul_u32_u24_sdwa v35, v35, s89 dst_sel:DWORD dst_unused:UNUSED_PAD src0_sel:WORD_1 src1_sel:DWORD
	s_waitcnt vmcnt(0)
	v_pk_mul_f16 v109, v98, v7
	buffer_load_dword v98, off, s[0:3], 0 offset:56 ; 4-byte Folded Reload
	v_pk_fma_f16 v107, v94, v111, v109
	s_waitcnt vmcnt(0)
	v_pk_mul_f16 v7, v98, v7
	buffer_load_dword v98, off, s[0:3], 0 offset:44 ; 4-byte Folded Reload
	v_pk_fma_f16 v7, v95, v111, v7
	v_pk_fma_f16 v7, v97, v115, v7
	v_mul_u32_u24_sdwa v111, v86, s89 dst_sel:DWORD dst_unused:UNUSED_PAD src0_sel:WORD_0 src1_sel:DWORD
	v_mul_u32_u24_sdwa v86, v86, s89 dst_sel:DWORD dst_unused:UNUSED_PAD src0_sel:WORD_1 src1_sel:DWORD
	s_waitcnt vmcnt(0)
	v_pk_mul_f16 v110, v98, v8
	buffer_load_dword v98, off, s[0:3], 0 offset:48 ; 4-byte Folded Reload
	v_pk_fma_f16 v108, v94, v127, v110
	s_waitcnt vmcnt(0)
	v_pk_mul_f16 v8, v98, v8
	buffer_load_dword v98, off, s[0:3], 0 offset:36 ; 4-byte Folded Reload
	v_pk_fma_f16 v8, v95, v127, v8
	v_pk_fma_f16 v8, v97, v114, v8
	s_waitcnt vmcnt(0)
	v_pk_mul_f16 v119, v98, v9
	buffer_load_dword v98, off, s[0:3], 0 offset:40 ; 4-byte Folded Reload
	v_pk_fma_f16 v109, v94, v1, v119
	v_mul_u32_u24_sdwa v119, v30, s89 dst_sel:DWORD dst_unused:UNUSED_PAD src0_sel:WORD_0 src1_sel:DWORD
	v_mul_u32_u24_sdwa v30, v30, s89 dst_sel:DWORD dst_unused:UNUSED_PAD src0_sel:WORD_1 src1_sel:DWORD
	s_waitcnt vmcnt(0)
	v_pk_mul_f16 v9, v98, v9
	buffer_load_dword v98, off, s[0:3], 0 offset:28 ; 4-byte Folded Reload
	v_pk_fma_f16 v1, v95, v1, v9
	v_pk_fma_f16 v1, v97, v113, v1
	s_waitcnt vmcnt(0)
	v_pk_mul_f16 v126, v98, v120
	buffer_load_dword v98, off, s[0:3], 0 offset:32 ; 4-byte Folded Reload
	v_pk_fma_f16 v9, v94, v122, v126
	v_pk_fma_f16 v9, v96, v125, v9
	s_waitcnt vmcnt(0)
	v_pk_mul_f16 v120, v98, v120
	v_cvt_f16_f32_e32 v98, v105
	v_pk_fma_f16 v110, v95, v122, v120
	v_mul_u32_u24_sdwa v122, v33, s89 dst_sel:DWORD dst_unused:UNUSED_PAD src0_sel:WORD_0 src1_sel:DWORD
	v_mul_u32_u24_sdwa v33, v33, s89 dst_sel:DWORD dst_unused:UNUSED_PAD src0_sel:WORD_1 src1_sel:DWORD
	v_mul_u32_u24_e32 v98, 0x10001, v98
	v_pk_mul_f16 v124, v99, v98
	buffer_load_dword v99, off, s[0:3], 0 offset:20 ; 4-byte Folded Reload
	v_pk_fma_f16 v94, v94, v121, v124
	v_pk_fma_f16 v94, v96, v0, v94
	v_mul_u32_u24_sdwa v120, v31, s89 dst_sel:DWORD dst_unused:UNUSED_PAD src0_sel:WORD_0 src1_sel:DWORD
	v_mul_u32_u24_sdwa v31, v31, s89 dst_sel:DWORD dst_unused:UNUSED_PAD src0_sel:WORD_1 src1_sel:DWORD
	s_waitcnt vmcnt(0)
	v_pk_mul_f16 v98, v99, v98
	v_pk_fma_f16 v95, v95, v121, v98
	v_pk_fma_f16 v98, v96, v118, v106
	;; [unrolled: 1-line block ×6, first 2 shown]
	buffer_load_dword v124, off, s[0:3], 0 offset:88 ; 4-byte Folded Reload
	buffer_load_dword v99, off, s[0:3], 0 offset:152 ; 4-byte Folded Reload
	;; [unrolled: 1-line block ×3, first 2 shown]
	v_pk_fma_f16 v0, v97, v0, v95
	v_mul_u32_u24_sdwa v95, v90, s89 dst_sel:DWORD dst_unused:UNUSED_PAD src0_sel:WORD_0 src1_sel:DWORD
	v_mul_u32_u24_sdwa v90, v90, s89 dst_sel:DWORD dst_unused:UNUSED_PAD src0_sel:WORD_1 src1_sel:DWORD
	v_mul_u32_u24_sdwa v96, v91, s89 dst_sel:DWORD dst_unused:UNUSED_PAD src0_sel:WORD_0 src1_sel:DWORD
	v_mul_u32_u24_sdwa v91, v91, s89 dst_sel:DWORD dst_unused:UNUSED_PAD src0_sel:WORD_1 src1_sel:DWORD
	;; [unrolled: 2-line block ×6, first 2 shown]
	v_pk_fma_f16 v98, v82, v95, v98
	v_pk_fma_f16 v3, v83, v95, v3
	;; [unrolled: 1-line block ×24, first 2 shown]
	v_mul_u32_u24_sdwa v90, v78, s89 dst_sel:DWORD dst_unused:UNUSED_PAD src0_sel:WORD_0 src1_sel:DWORD
	v_pk_fma_f16 v91, v84, v88, v95
	v_pk_fma_f16 v1, v85, v88, v1
	v_mul_u32_u24_sdwa v78, v78, s89 dst_sel:DWORD dst_unused:UNUSED_PAD src0_sel:WORD_1 src1_sel:DWORD
	v_pk_fma_f16 v9, v84, v114, v9
	v_pk_fma_f16 v88, v85, v114, v92
	v_mul_u32_u24_sdwa v92, v79, s89 dst_sel:DWORD dst_unused:UNUSED_PAD src0_sel:WORD_0 src1_sel:DWORD
	v_pk_fma_f16 v82, v84, v89, v82
	v_mul_u32_u24_sdwa v79, v79, s89 dst_sel:DWORD dst_unused:UNUSED_PAD src0_sel:WORD_1 src1_sel:DWORD
	v_mul_u32_u24_sdwa v84, v80, s89 dst_sel:DWORD dst_unused:UNUSED_PAD src0_sel:WORD_0 src1_sel:DWORD
	v_mul_u32_u24_sdwa v80, v80, s89 dst_sel:DWORD dst_unused:UNUSED_PAD src0_sel:WORD_1 src1_sel:DWORD
	v_pk_fma_f16 v3, v85, v111, v3
	v_pk_fma_f16 v6, v85, v112, v6
	;; [unrolled: 1-line block ×3, first 2 shown]
	v_mul_u32_u24_sdwa v85, v81, s89 dst_sel:DWORD dst_unused:UNUSED_PAD src0_sel:WORD_0 src1_sel:DWORD
	v_mul_u32_u24_sdwa v81, v81, s89 dst_sel:DWORD dst_unused:UNUSED_PAD src0_sel:WORD_1 src1_sel:DWORD
	v_mul_u32_u24_sdwa v89, v74, s89 dst_sel:DWORD dst_unused:UNUSED_PAD src0_sel:WORD_0 src1_sel:DWORD
	v_mul_u32_u24_sdwa v74, v74, s89 dst_sel:DWORD dst_unused:UNUSED_PAD src0_sel:WORD_1 src1_sel:DWORD
	;; [unrolled: 2-line block ×4, first 2 shown]
	v_pk_fma_f16 v83, v58, v90, v83
	v_pk_fma_f16 v4, v58, v78, v4
	;; [unrolled: 1-line block ×9, first 2 shown]
	v_mul_u32_u24_sdwa v95, v77, s89 dst_sel:DWORD dst_unused:UNUSED_PAD src0_sel:WORD_0 src1_sel:DWORD
	v_mul_u32_u24_sdwa v77, v77, s89 dst_sel:DWORD dst_unused:UNUSED_PAD src0_sel:WORD_1 src1_sel:DWORD
	v_mul_u32_u24_sdwa v96, v70, s89 dst_sel:DWORD dst_unused:UNUSED_PAD src0_sel:WORD_0 src1_sel:DWORD
	v_mul_u32_u24_sdwa v70, v70, s89 dst_sel:DWORD dst_unused:UNUSED_PAD src0_sel:WORD_1 src1_sel:DWORD
	;; [unrolled: 2-line block ×4, first 2 shown]
	v_pk_fma_f16 v3, v59, v90, v3
	v_pk_fma_f16 v5, v58, v92, v5
	;; [unrolled: 1-line block ×3, first 2 shown]
	s_waitcnt vmcnt(0)
	v_fmac_f32_e32 v124, v99, v125
	buffer_load_dword v125, off, s[0:3], 0 offset:92 ; 4-byte Folded Reload
	buffer_load_dword v99, off, s[0:3], 0 offset:156 ; 4-byte Folded Reload
	;; [unrolled: 1-line block ×3, first 2 shown]
	v_pk_fma_f16 v9, v58, v85, v9
	v_pk_fma_f16 v80, v59, v85, v88
	;; [unrolled: 1-line block ×12, first 2 shown]
	v_mul_u32_u24_sdwa v106, v73, s89 dst_sel:DWORD dst_unused:UNUSED_PAD src0_sel:WORD_0 src1_sel:DWORD
	v_mul_u32_u24_sdwa v73, v73, s89 dst_sel:DWORD dst_unused:UNUSED_PAD src0_sel:WORD_1 src1_sel:DWORD
	v_mul_u32_u24_sdwa v107, v66, s89 dst_sel:DWORD dst_unused:UNUSED_PAD src0_sel:WORD_0 src1_sel:DWORD
	v_mul_u32_u24_sdwa v108, v67, s89 dst_sel:DWORD dst_unused:UNUSED_PAD src0_sel:WORD_0 src1_sel:DWORD
	v_mul_u32_u24_sdwa v67, v67, s89 dst_sel:DWORD dst_unused:UNUSED_PAD src0_sel:WORD_1 src1_sel:DWORD
	v_mul_u32_u24_sdwa v109, v68, s89 dst_sel:DWORD dst_unused:UNUSED_PAD src0_sel:WORD_0 src1_sel:DWORD
	v_mul_u32_u24_sdwa v68, v68, s89 dst_sel:DWORD dst_unused:UNUSED_PAD src0_sel:WORD_1 src1_sel:DWORD
	v_pk_fma_f16 v3, v61, v89, v3
	v_pk_fma_f16 v5, v60, v93, v5
	;; [unrolled: 1-line block ×16, first 2 shown]
	v_mul_u32_u24_sdwa v66, v66, s89 dst_sel:DWORD dst_unused:UNUSED_PAD src0_sel:WORD_1 src1_sel:DWORD
	v_mul_u32_u24_sdwa v110, v69, s89 dst_sel:DWORD dst_unused:UNUSED_PAD src0_sel:WORD_0 src1_sel:DWORD
	v_mul_u32_u24_sdwa v69, v69, s89 dst_sel:DWORD dst_unused:UNUSED_PAD src0_sel:WORD_1 src1_sel:DWORD
	v_mul_u32_u24_sdwa v111, v62, s89 dst_sel:DWORD dst_unused:UNUSED_PAD src0_sel:WORD_0 src1_sel:DWORD
	v_mul_u32_u24_sdwa v112, v63, s89 dst_sel:DWORD dst_unused:UNUSED_PAD src0_sel:WORD_0 src1_sel:DWORD
	v_mul_u32_u24_sdwa v63, v63, s89 dst_sel:DWORD dst_unused:UNUSED_PAD src0_sel:WORD_1 src1_sel:DWORD
	v_mul_u32_u24_sdwa v113, v64, s89 dst_sel:DWORD dst_unused:UNUSED_PAD src0_sel:WORD_0 src1_sel:DWORD
	v_mul_u32_u24_sdwa v64, v64, s89 dst_sel:DWORD dst_unused:UNUSED_PAD src0_sel:WORD_1 src1_sel:DWORD
	v_pk_fma_f16 v3, v27, v96, v3
	v_pk_fma_f16 v5, v26, v97, v5
	;; [unrolled: 1-line block ×13, first 2 shown]
	v_mul_u32_u24_sdwa v62, v62, s89 dst_sel:DWORD dst_unused:UNUSED_PAD src0_sel:WORD_1 src1_sel:DWORD
	v_mul_u32_u24_sdwa v114, v65, s89 dst_sel:DWORD dst_unused:UNUSED_PAD src0_sel:WORD_0 src1_sel:DWORD
	v_mul_u32_u24_sdwa v65, v65, s89 dst_sel:DWORD dst_unused:UNUSED_PAD src0_sel:WORD_1 src1_sel:DWORD
	v_mul_u32_u24_sdwa v78, v54, s89 dst_sel:DWORD dst_unused:UNUSED_PAD src0_sel:WORD_0 src1_sel:DWORD
	v_mul_u32_u24_sdwa v80, v55, s89 dst_sel:DWORD dst_unused:UNUSED_PAD src0_sel:WORD_0 src1_sel:DWORD
	v_mul_u32_u24_sdwa v55, v55, s89 dst_sel:DWORD dst_unused:UNUSED_PAD src0_sel:WORD_1 src1_sel:DWORD
	v_mul_u32_u24_sdwa v60, v56, s89 dst_sel:DWORD dst_unused:UNUSED_PAD src0_sel:WORD_0 src1_sel:DWORD
	v_mul_u32_u24_sdwa v56, v56, s89 dst_sel:DWORD dst_unused:UNUSED_PAD src0_sel:WORD_1 src1_sel:DWORD
	v_pk_fma_f16 v4, v28, v66, v4
	v_pk_fma_f16 v5, v28, v108, v5
	;; [unrolled: 1-line block ×15, first 2 shown]
	s_waitcnt vmcnt(0)
	v_fmac_f32_e32 v125, v99, v126
	buffer_load_dword v126, off, s[0:3], 0 offset:96 ; 4-byte Folded Reload
	buffer_load_dword v99, off, s[0:3], 0 offset:160 ; 4-byte Folded Reload
	v_mul_u32_u24_sdwa v54, v54, s89 dst_sel:DWORD dst_unused:UNUSED_PAD src0_sel:WORD_1 src1_sel:DWORD
	v_mul_u32_u24_sdwa v61, v57, s89 dst_sel:DWORD dst_unused:UNUSED_PAD src0_sel:WORD_0 src1_sel:DWORD
	v_mul_u32_u24_sdwa v57, v57, s89 dst_sel:DWORD dst_unused:UNUSED_PAD src0_sel:WORD_1 src1_sel:DWORD
	v_mul_u32_u24_sdwa v77, v50, s89 dst_sel:DWORD dst_unused:UNUSED_PAD src0_sel:WORD_0 src1_sel:DWORD
	v_mul_u32_u24_sdwa v81, v51, s89 dst_sel:DWORD dst_unused:UNUSED_PAD src0_sel:WORD_0 src1_sel:DWORD
	v_mul_u32_u24_sdwa v51, v51, s89 dst_sel:DWORD dst_unused:UNUSED_PAD src0_sel:WORD_1 src1_sel:DWORD
	v_mul_u32_u24_sdwa v82, v52, s89 dst_sel:DWORD dst_unused:UNUSED_PAD src0_sel:WORD_0 src1_sel:DWORD
	v_mul_u32_u24_sdwa v52, v52, s89 dst_sel:DWORD dst_unused:UNUSED_PAD src0_sel:WORD_1 src1_sel:DWORD
	v_pk_fma_f16 v4, v22, v62, v4
	v_pk_fma_f16 v5, v22, v112, v5
	v_pk_fma_f16 v58, v22, v113, v70
	v_pk_fma_f16 v9, v22, v114, v9
	v_pk_fma_f16 v22, v22, v65, v26
	v_pk_fma_f16 v3, v23, v111, v3
	v_pk_fma_f16 v2, v23, v62, v2
	v_pk_fma_f16 v6, v23, v112, v6
	v_pk_fma_f16 v7, v23, v63, v7
	v_pk_fma_f16 v8, v23, v113, v8
	v_pk_fma_f16 v26, v23, v114, v28
	v_pk_fma_f16 v0, v23, v65, v0
	v_pk_fma_f16 v23, v24, v78, v27
	v_pk_fma_f16 v27, v24, v55, v29
	v_pk_fma_f16 v29, v24, v56, v59
	v_pk_fma_f16 v1, v25, v56, v1
	v_mul_u32_u24_sdwa v50, v50, s89 dst_sel:DWORD dst_unused:UNUSED_PAD src0_sel:WORD_1 src1_sel:DWORD
	v_mul_u32_u24_sdwa v83, v53, s89 dst_sel:DWORD dst_unused:UNUSED_PAD src0_sel:WORD_0 src1_sel:DWORD
	v_mul_u32_u24_sdwa v53, v53, s89 dst_sel:DWORD dst_unused:UNUSED_PAD src0_sel:WORD_1 src1_sel:DWORD
	v_mul_u32_u24_sdwa v84, v46, s89 dst_sel:DWORD dst_unused:UNUSED_PAD src0_sel:WORD_0 src1_sel:DWORD
	v_mul_u32_u24_sdwa v85, v47, s89 dst_sel:DWORD dst_unused:UNUSED_PAD src0_sel:WORD_0 src1_sel:DWORD
	v_mul_u32_u24_sdwa v47, v47, s89 dst_sel:DWORD dst_unused:UNUSED_PAD src0_sel:WORD_1 src1_sel:DWORD
	v_mul_u32_u24_sdwa v86, v48, s89 dst_sel:DWORD dst_unused:UNUSED_PAD src0_sel:WORD_0 src1_sel:DWORD
	v_mul_u32_u24_sdwa v48, v48, s89 dst_sel:DWORD dst_unused:UNUSED_PAD src0_sel:WORD_1 src1_sel:DWORD
	v_pk_fma_f16 v4, v24, v54, v4
	v_pk_fma_f16 v5, v24, v80, v5
	v_pk_fma_f16 v28, v24, v60, v58
	v_pk_fma_f16 v9, v24, v61, v9
	v_pk_fma_f16 v22, v24, v57, v22
	v_pk_fma_f16 v3, v25, v78, v3
	v_pk_fma_f16 v2, v25, v54, v2
	v_pk_fma_f16 v6, v25, v80, v6
	v_pk_fma_f16 v7, v25, v55, v7
	v_pk_fma_f16 v8, v25, v60, v8
	v_pk_fma_f16 v24, v25, v61, v26
	v_pk_fma_f16 v0, v25, v57, v0
	v_pk_fma_f16 v23, v18, v77, v23
	v_pk_fma_f16 v25, v18, v51, v27
	v_pk_fma_f16 v27, v18, v52, v29
	v_pk_fma_f16 v1, v19, v52, v1
	;; [unrolled: 24-line block ×3, first 2 shown]
	v_mul_u32_u24_sdwa v42, v42, s89 dst_sel:DWORD dst_unused:UNUSED_PAD src0_sel:WORD_1 src1_sel:DWORD
	v_mul_u32_u24_sdwa v91, v45, s89 dst_sel:DWORD dst_unused:UNUSED_PAD src0_sel:WORD_0 src1_sel:DWORD
	v_mul_u32_u24_sdwa v45, v45, s89 dst_sel:DWORD dst_unused:UNUSED_PAD src0_sel:WORD_1 src1_sel:DWORD
	v_mul_u32_u24_sdwa v92, v38, s89 dst_sel:DWORD dst_unused:UNUSED_PAD src0_sel:WORD_0 src1_sel:DWORD
	v_mul_u32_u24_sdwa v93, v39, s89 dst_sel:DWORD dst_unused:UNUSED_PAD src0_sel:WORD_0 src1_sel:DWORD
	v_mul_u32_u24_sdwa v39, v39, s89 dst_sel:DWORD dst_unused:UNUSED_PAD src0_sel:WORD_1 src1_sel:DWORD
	v_mul_u32_u24_sdwa v94, v40, s89 dst_sel:DWORD dst_unused:UNUSED_PAD src0_sel:WORD_0 src1_sel:DWORD
	s_waitcnt vmcnt(0)
	v_fmac_f32_e32 v126, v99, v100
	buffer_load_dword v100, off, s[0:3], 0 offset:84 ; 4-byte Folded Reload
	buffer_load_dword v99, off, s[0:3], 0 offset:164 ; 4-byte Folded Reload
	v_mul_u32_u24_sdwa v40, v40, s89 dst_sel:DWORD dst_unused:UNUSED_PAD src0_sel:WORD_1 src1_sel:DWORD
	v_pk_fma_f16 v4, v20, v46, v4
	v_pk_fma_f16 v5, v20, v85, v5
	;; [unrolled: 1-line block ×32, first 2 shown]
	v_mul_u32_u24_sdwa v38, v38, s89 dst_sel:DWORD dst_unused:UNUSED_PAD src0_sel:WORD_1 src1_sel:DWORD
	v_mul_u32_u24_sdwa v95, v41, s89 dst_sel:DWORD dst_unused:UNUSED_PAD src0_sel:WORD_0 src1_sel:DWORD
	v_mul_u32_u24_sdwa v41, v41, s89 dst_sel:DWORD dst_unused:UNUSED_PAD src0_sel:WORD_1 src1_sel:DWORD
	v_mul_u32_u24_sdwa v115, v34, s89 dst_sel:DWORD dst_unused:UNUSED_PAD src0_sel:WORD_0 src1_sel:DWORD
	;; [unrolled: 2-line block ×3, first 2 shown]
	v_mul_u32_u24_sdwa v37, v37, s89 dst_sel:DWORD dst_unused:UNUSED_PAD src0_sel:WORD_1 src1_sel:DWORD
	v_pk_fma_f16 v4, v16, v38, v4
	v_pk_fma_f16 v5, v16, v93, v5
	;; [unrolled: 1-line block ×8, first 2 shown]
	v_mul_u32_u24_sdwa v121, v32, s89 dst_sel:DWORD dst_unused:UNUSED_PAD src0_sel:WORD_0 src1_sel:DWORD
	v_mul_u32_u24_sdwa v32, v32, s89 dst_sel:DWORD dst_unused:UNUSED_PAD src0_sel:WORD_1 src1_sel:DWORD
	v_pk_fma_f16 v6, v17, v93, v6
	v_pk_fma_f16 v7, v17, v39, v7
	;; [unrolled: 1-line block ×29, first 2 shown]
	s_waitcnt vmcnt(0)
	v_fmac_f32_e32 v100, v99, v101
	buffer_load_dword v101, off, s[0:3], 0 offset:100 ; 4-byte Folded Reload
	buffer_load_dword v99, off, s[0:3], 0 offset:168 ; 4-byte Folded Reload
	v_pk_fma_f16 v23, v12, v31, v17
	v_pk_fma_f16 v24, v12, v121, v18
	;; [unrolled: 1-line block ×7, first 2 shown]
	s_waitcnt vmcnt(0)
	v_fmac_f32_e32 v101, v99, v102
	buffer_load_dword v99, off, s[0:3], 0 offset:80 ; 4-byte Folded Reload
	buffer_load_dword v102, off, s[0:3], 0 offset:172 ; 4-byte Folded Reload
	s_waitcnt vmcnt(0)
	v_fmac_f32_e32 v99, v102, v103
	buffer_load_dword v103, off, s[0:3], 0 offset:108 ; 4-byte Folded Reload
	buffer_load_dword v102, off, s[0:3], 0 offset:176 ; 4-byte Folded Reload
	;; [unrolled: 4-line block ×3, first 2 shown]
	s_waitcnt vmcnt(0) lgkmcnt(0)
	s_barrier
	buffer_load_dword v111, off, s[0:3], 0 offset:220 ; 4-byte Folded Reload
	buffer_load_dword v40, off, s[0:3], 0 offset:188 ; 4-byte Folded Reload
	v_fmac_f32_e32 v102, v104, v105
	s_waitcnt vmcnt(1)
	ds_read_b128 v[0:3], v111 offset:256
	s_waitcnt vmcnt(0)
	ds_read2_b64 v[4:7], v40 offset1:28
	ds_read_b128 v[8:11], v111 offset:272
	ds_read_b128 v[12:15], v111 offset:288
	;; [unrolled: 1-line block ×3, first 2 shown]
	s_waitcnt lgkmcnt(4)
	v_mul_u32_u24_sdwa v36, v0, s89 dst_sel:DWORD dst_unused:UNUSED_PAD src0_sel:WORD_0 src1_sel:DWORD
	v_mul_u32_u24_sdwa v0, v0, s89 dst_sel:DWORD dst_unused:UNUSED_PAD src0_sel:WORD_1 src1_sel:DWORD
	v_mul_u32_u24_sdwa v37, v1, s89 dst_sel:DWORD dst_unused:UNUSED_PAD src0_sel:WORD_0 src1_sel:DWORD
	v_mul_u32_u24_sdwa v1, v1, s89 dst_sel:DWORD dst_unused:UNUSED_PAD src0_sel:WORD_1 src1_sel:DWORD
	;; [unrolled: 2-line block ×4, first 2 shown]
	s_waitcnt lgkmcnt(3)
	v_pk_fma_f16 v20, v4, v36, v20
	v_pk_fma_f16 v21, v4, v0, v21
	;; [unrolled: 1-line block ×16, first 2 shown]
	s_waitcnt lgkmcnt(2)
	v_mul_u32_u24_sdwa v5, v8, s89 dst_sel:DWORD dst_unused:UNUSED_PAD src0_sel:WORD_0 src1_sel:DWORD
	v_mul_u32_u24_sdwa v8, v8, s89 dst_sel:DWORD dst_unused:UNUSED_PAD src0_sel:WORD_1 src1_sel:DWORD
	v_mul_u32_u24_sdwa v31, v9, s89 dst_sel:DWORD dst_unused:UNUSED_PAD src0_sel:WORD_0 src1_sel:DWORD
	v_mul_u32_u24_sdwa v9, v9, s89 dst_sel:DWORD dst_unused:UNUSED_PAD src0_sel:WORD_1 src1_sel:DWORD
	;; [unrolled: 2-line block ×4, first 2 shown]
	v_pk_fma_f16 v20, v6, v5, v20
	v_pk_fma_f16 v21, v6, v8, v21
	;; [unrolled: 1-line block ×16, first 2 shown]
	ds_read2_b64 v[0:3], v40 offset0:56 offset1:84
	s_waitcnt lgkmcnt(2)
	v_mul_u32_u24_sdwa v11, v12, s89 dst_sel:DWORD dst_unused:UNUSED_PAD src0_sel:WORD_0 src1_sel:DWORD
	v_mul_u32_u24_sdwa v12, v12, s89 dst_sel:DWORD dst_unused:UNUSED_PAD src0_sel:WORD_1 src1_sel:DWORD
	v_mul_u32_u24_sdwa v29, v13, s89 dst_sel:DWORD dst_unused:UNUSED_PAD src0_sel:WORD_0 src1_sel:DWORD
	v_mul_u32_u24_sdwa v13, v13, s89 dst_sel:DWORD dst_unused:UNUSED_PAD src0_sel:WORD_1 src1_sel:DWORD
	;; [unrolled: 2-line block ×4, first 2 shown]
	s_waitcnt lgkmcnt(0)
	v_pk_fma_f16 v20, v0, v11, v20
	v_pk_fma_f16 v21, v0, v12, v21
	;; [unrolled: 1-line block ×16, first 2 shown]
	v_mul_u32_u24_sdwa v7, v16, s89 dst_sel:DWORD dst_unused:UNUSED_PAD src0_sel:WORD_0 src1_sel:DWORD
	v_mul_u32_u24_sdwa v12, v16, s89 dst_sel:DWORD dst_unused:UNUSED_PAD src0_sel:WORD_1 src1_sel:DWORD
	v_mul_u32_u24_sdwa v13, v17, s89 dst_sel:DWORD dst_unused:UNUSED_PAD src0_sel:WORD_0 src1_sel:DWORD
	v_mul_u32_u24_sdwa v14, v17, s89 dst_sel:DWORD dst_unused:UNUSED_PAD src0_sel:WORD_1 src1_sel:DWORD
	;; [unrolled: 2-line block ×4, first 2 shown]
	v_pk_fma_f16 v19, v2, v7, v20
	v_pk_fma_f16 v20, v2, v12, v21
	;; [unrolled: 1-line block ×6, first 2 shown]
	ds_read_b128 v[4:7], v111 offset:320
	v_pk_fma_f16 v22, v2, v14, v23
	v_pk_fma_f16 v23, v2, v15, v24
	;; [unrolled: 1-line block ×10, first 2 shown]
	ds_read2_b64 v[0:3], v40 offset0:112 offset1:140
	ds_read_b128 v[8:11], v111 offset:336
	s_waitcnt lgkmcnt(2)
	v_mul_u32_u24_sdwa v28, v4, s89 dst_sel:DWORD dst_unused:UNUSED_PAD src0_sel:WORD_0 src1_sel:DWORD
	v_mul_u32_u24_sdwa v4, v4, s89 dst_sel:DWORD dst_unused:UNUSED_PAD src0_sel:WORD_1 src1_sel:DWORD
	v_mul_u32_u24_sdwa v29, v5, s89 dst_sel:DWORD dst_unused:UNUSED_PAD src0_sel:WORD_0 src1_sel:DWORD
	v_mul_u32_u24_sdwa v5, v5, s89 dst_sel:DWORD dst_unused:UNUSED_PAD src0_sel:WORD_1 src1_sel:DWORD
	;; [unrolled: 2-line block ×4, first 2 shown]
	s_waitcnt lgkmcnt(1)
	v_pk_fma_f16 v19, v0, v28, v19
	v_pk_fma_f16 v20, v0, v4, v20
	;; [unrolled: 1-line block ×16, first 2 shown]
	s_waitcnt lgkmcnt(0)
	v_mul_u32_u24_sdwa v7, v8, s89 dst_sel:DWORD dst_unused:UNUSED_PAD src0_sel:WORD_0 src1_sel:DWORD
	v_mul_u32_u24_sdwa v8, v8, s89 dst_sel:DWORD dst_unused:UNUSED_PAD src0_sel:WORD_1 src1_sel:DWORD
	v_mul_u32_u24_sdwa v15, v9, s89 dst_sel:DWORD dst_unused:UNUSED_PAD src0_sel:WORD_0 src1_sel:DWORD
	v_mul_u32_u24_sdwa v9, v9, s89 dst_sel:DWORD dst_unused:UNUSED_PAD src0_sel:WORD_1 src1_sel:DWORD
	;; [unrolled: 2-line block ×4, first 2 shown]
	v_pk_fma_f16 v18, v2, v7, v19
	v_pk_fma_f16 v19, v2, v8, v20
	;; [unrolled: 1-line block ×11, first 2 shown]
	ds_read_b128 v[4:7], v111 offset:352
	v_pk_fma_f16 v23, v2, v10, v24
	v_pk_fma_f16 v24, v2, v17, v25
	;; [unrolled: 1-line block ×5, first 2 shown]
	ds_read2_b64 v[0:3], v40 offset0:168 offset1:196
	ds_read_b128 v[8:11], v111 offset:368
	s_waitcnt lgkmcnt(2)
	v_mul_u32_u24_sdwa v28, v4, s89 dst_sel:DWORD dst_unused:UNUSED_PAD src0_sel:WORD_0 src1_sel:DWORD
	v_mul_u32_u24_sdwa v4, v4, s89 dst_sel:DWORD dst_unused:UNUSED_PAD src0_sel:WORD_1 src1_sel:DWORD
	v_mul_u32_u24_sdwa v29, v5, s89 dst_sel:DWORD dst_unused:UNUSED_PAD src0_sel:WORD_0 src1_sel:DWORD
	v_mul_u32_u24_sdwa v5, v5, s89 dst_sel:DWORD dst_unused:UNUSED_PAD src0_sel:WORD_1 src1_sel:DWORD
	;; [unrolled: 2-line block ×4, first 2 shown]
	s_waitcnt lgkmcnt(1)
	v_pk_fma_f16 v18, v0, v28, v18
	v_pk_fma_f16 v19, v0, v4, v19
	v_pk_fma_f16 v20, v0, v29, v20
	v_pk_fma_f16 v21, v0, v5, v21
	v_pk_fma_f16 v22, v0, v30, v22
	v_pk_fma_f16 v23, v0, v6, v23
	v_pk_fma_f16 v24, v0, v31, v24
	v_pk_fma_f16 v0, v0, v7, v25
	v_pk_fma_f16 v25, v1, v28, v26
	v_pk_fma_f16 v4, v1, v4, v27
	v_pk_fma_f16 v12, v1, v29, v12
	v_pk_fma_f16 v5, v1, v5, v15
	v_pk_fma_f16 v13, v1, v30, v13
	v_pk_fma_f16 v6, v1, v6, v16
	v_pk_fma_f16 v14, v1, v31, v14
	v_pk_fma_f16 v1, v1, v7, v17
	s_waitcnt lgkmcnt(0)
	v_mul_u32_u24_sdwa v7, v8, s89 dst_sel:DWORD dst_unused:UNUSED_PAD src0_sel:WORD_0 src1_sel:DWORD
	v_mul_u32_u24_sdwa v8, v8, s89 dst_sel:DWORD dst_unused:UNUSED_PAD src0_sel:WORD_1 src1_sel:DWORD
	v_mul_u32_u24_sdwa v15, v9, s89 dst_sel:DWORD dst_unused:UNUSED_PAD src0_sel:WORD_0 src1_sel:DWORD
	v_mul_u32_u24_sdwa v9, v9, s89 dst_sel:DWORD dst_unused:UNUSED_PAD src0_sel:WORD_1 src1_sel:DWORD
	;; [unrolled: 2-line block ×4, first 2 shown]
	v_pk_fma_f16 v18, v2, v7, v18
	v_pk_fma_f16 v19, v2, v8, v19
	;; [unrolled: 1-line block ×14, first 2 shown]
	ds_read_b128 v[4:7], v111 offset:384
	v_pk_fma_f16 v14, v3, v17, v14
	v_pk_fma_f16 v17, v3, v11, v1
	ds_read2_b64 v[0:3], v40 offset0:224 offset1:252
	ds_read_b128 v[8:11], v111 offset:400
	buffer_load_dword v32, off, s[0:3], 0 offset:184 ; 4-byte Folded Reload
	s_waitcnt lgkmcnt(2)
	v_mul_u32_u24_sdwa v28, v4, s89 dst_sel:DWORD dst_unused:UNUSED_PAD src0_sel:WORD_0 src1_sel:DWORD
	v_mul_u32_u24_sdwa v4, v4, s89 dst_sel:DWORD dst_unused:UNUSED_PAD src0_sel:WORD_1 src1_sel:DWORD
	v_mul_u32_u24_sdwa v29, v5, s89 dst_sel:DWORD dst_unused:UNUSED_PAD src0_sel:WORD_0 src1_sel:DWORD
	v_mul_u32_u24_sdwa v5, v5, s89 dst_sel:DWORD dst_unused:UNUSED_PAD src0_sel:WORD_1 src1_sel:DWORD
	;; [unrolled: 2-line block ×4, first 2 shown]
	s_waitcnt lgkmcnt(1)
	v_pk_fma_f16 v18, v0, v28, v18
	v_pk_fma_f16 v19, v0, v4, v19
	;; [unrolled: 1-line block ×16, first 2 shown]
	s_waitcnt lgkmcnt(0)
	v_mul_u32_u24_sdwa v7, v8, s89 dst_sel:DWORD dst_unused:UNUSED_PAD src0_sel:WORD_0 src1_sel:DWORD
	v_mul_u32_u24_sdwa v8, v8, s89 dst_sel:DWORD dst_unused:UNUSED_PAD src0_sel:WORD_1 src1_sel:DWORD
	v_mul_u32_u24_sdwa v15, v9, s89 dst_sel:DWORD dst_unused:UNUSED_PAD src0_sel:WORD_0 src1_sel:DWORD
	v_mul_u32_u24_sdwa v9, v9, s89 dst_sel:DWORD dst_unused:UNUSED_PAD src0_sel:WORD_1 src1_sel:DWORD
	;; [unrolled: 2-line block ×4, first 2 shown]
	v_pk_fma_f16 v18, v2, v7, v18
	v_pk_fma_f16 v20, v2, v15, v20
	;; [unrolled: 1-line block ×9, first 2 shown]
	ds_read_b128 v[4:7], v111 offset:416
	v_pk_fma_f16 v19, v2, v8, v19
	v_pk_fma_f16 v21, v2, v9, v21
	v_pk_fma_f16 v23, v2, v10, v23
	v_pk_fma_f16 v24, v2, v17, v24
	v_pk_fma_f16 v26, v2, v11, v0
	v_pk_fma_f16 v14, v3, v17, v14
	v_pk_fma_f16 v17, v3, v11, v1
	s_waitcnt vmcnt(0)
	ds_read2_b64 v[0:3], v32 offset0:24 offset1:52
	ds_read_b128 v[8:11], v111 offset:432
	s_waitcnt lgkmcnt(2)
	v_mul_u32_u24_sdwa v28, v4, s89 dst_sel:DWORD dst_unused:UNUSED_PAD src0_sel:WORD_0 src1_sel:DWORD
	v_mul_u32_u24_sdwa v4, v4, s89 dst_sel:DWORD dst_unused:UNUSED_PAD src0_sel:WORD_1 src1_sel:DWORD
	v_mul_u32_u24_sdwa v29, v5, s89 dst_sel:DWORD dst_unused:UNUSED_PAD src0_sel:WORD_0 src1_sel:DWORD
	v_mul_u32_u24_sdwa v5, v5, s89 dst_sel:DWORD dst_unused:UNUSED_PAD src0_sel:WORD_1 src1_sel:DWORD
	;; [unrolled: 2-line block ×4, first 2 shown]
	s_waitcnt lgkmcnt(1)
	v_pk_fma_f16 v18, v0, v28, v18
	v_pk_fma_f16 v19, v0, v4, v19
	;; [unrolled: 1-line block ×16, first 2 shown]
	s_waitcnt lgkmcnt(0)
	v_mul_u32_u24_sdwa v7, v8, s89 dst_sel:DWORD dst_unused:UNUSED_PAD src0_sel:WORD_0 src1_sel:DWORD
	v_mul_u32_u24_sdwa v8, v8, s89 dst_sel:DWORD dst_unused:UNUSED_PAD src0_sel:WORD_1 src1_sel:DWORD
	v_mul_u32_u24_sdwa v15, v9, s89 dst_sel:DWORD dst_unused:UNUSED_PAD src0_sel:WORD_0 src1_sel:DWORD
	v_mul_u32_u24_sdwa v9, v9, s89 dst_sel:DWORD dst_unused:UNUSED_PAD src0_sel:WORD_1 src1_sel:DWORD
	;; [unrolled: 2-line block ×4, first 2 shown]
	v_pk_fma_f16 v18, v2, v7, v18
	v_pk_fma_f16 v20, v2, v15, v20
	;; [unrolled: 1-line block ×9, first 2 shown]
	ds_read_b128 v[4:7], v111 offset:448
	v_pk_fma_f16 v19, v2, v8, v19
	v_pk_fma_f16 v21, v2, v9, v21
	;; [unrolled: 1-line block ×7, first 2 shown]
	ds_read2_b64 v[0:3], v32 offset0:80 offset1:108
	ds_read_b128 v[8:11], v111 offset:464
	s_waitcnt lgkmcnt(2)
	v_mul_u32_u24_sdwa v28, v4, s89 dst_sel:DWORD dst_unused:UNUSED_PAD src0_sel:WORD_0 src1_sel:DWORD
	v_mul_u32_u24_sdwa v4, v4, s89 dst_sel:DWORD dst_unused:UNUSED_PAD src0_sel:WORD_1 src1_sel:DWORD
	v_mul_u32_u24_sdwa v29, v5, s89 dst_sel:DWORD dst_unused:UNUSED_PAD src0_sel:WORD_0 src1_sel:DWORD
	v_mul_u32_u24_sdwa v5, v5, s89 dst_sel:DWORD dst_unused:UNUSED_PAD src0_sel:WORD_1 src1_sel:DWORD
	;; [unrolled: 2-line block ×4, first 2 shown]
	s_waitcnt lgkmcnt(1)
	v_pk_fma_f16 v18, v0, v28, v18
	v_pk_fma_f16 v19, v0, v4, v19
	;; [unrolled: 1-line block ×16, first 2 shown]
	s_waitcnt lgkmcnt(0)
	v_mul_u32_u24_sdwa v7, v8, s89 dst_sel:DWORD dst_unused:UNUSED_PAD src0_sel:WORD_0 src1_sel:DWORD
	v_mul_u32_u24_sdwa v8, v8, s89 dst_sel:DWORD dst_unused:UNUSED_PAD src0_sel:WORD_1 src1_sel:DWORD
	v_mul_u32_u24_sdwa v15, v9, s89 dst_sel:DWORD dst_unused:UNUSED_PAD src0_sel:WORD_0 src1_sel:DWORD
	v_mul_u32_u24_sdwa v9, v9, s89 dst_sel:DWORD dst_unused:UNUSED_PAD src0_sel:WORD_1 src1_sel:DWORD
	;; [unrolled: 2-line block ×4, first 2 shown]
	v_pk_fma_f16 v18, v2, v7, v18
	v_pk_fma_f16 v19, v2, v8, v19
	;; [unrolled: 1-line block ×14, first 2 shown]
	ds_read_b128 v[4:7], v111 offset:480
	v_pk_fma_f16 v14, v3, v17, v14
	v_pk_fma_f16 v17, v3, v11, v1
	ds_read2_b64 v[0:3], v32 offset0:136 offset1:164
	ds_read_b128 v[8:11], v111 offset:496
	s_waitcnt lgkmcnt(0)
	s_barrier
	s_load_dword s20, s[74:75], 0x4
	v_mul_u32_u24_sdwa v28, v4, s89 dst_sel:DWORD dst_unused:UNUSED_PAD src0_sel:WORD_0 src1_sel:DWORD
	v_mul_u32_u24_sdwa v4, v4, s89 dst_sel:DWORD dst_unused:UNUSED_PAD src0_sel:WORD_1 src1_sel:DWORD
	v_mul_u32_u24_sdwa v29, v5, s89 dst_sel:DWORD dst_unused:UNUSED_PAD src0_sel:WORD_0 src1_sel:DWORD
	v_mul_u32_u24_sdwa v5, v5, s89 dst_sel:DWORD dst_unused:UNUSED_PAD src0_sel:WORD_1 src1_sel:DWORD
	;; [unrolled: 2-line block ×4, first 2 shown]
	s_waitcnt lgkmcnt(0)
	s_lshl_b32 s20, s20, 5
	v_pk_fma_f16 v18, v0, v28, v18
	v_pk_fma_f16 v19, v0, v4, v19
	;; [unrolled: 1-line block ×16, first 2 shown]
	v_mul_u32_u24_sdwa v7, v8, s89 dst_sel:DWORD dst_unused:UNUSED_PAD src0_sel:WORD_0 src1_sel:DWORD
	v_mul_u32_u24_sdwa v8, v8, s89 dst_sel:DWORD dst_unused:UNUSED_PAD src0_sel:WORD_1 src1_sel:DWORD
	v_mul_u32_u24_sdwa v15, v9, s89 dst_sel:DWORD dst_unused:UNUSED_PAD src0_sel:WORD_0 src1_sel:DWORD
	v_mul_u32_u24_sdwa v9, v9, s89 dst_sel:DWORD dst_unused:UNUSED_PAD src0_sel:WORD_1 src1_sel:DWORD
	;; [unrolled: 2-line block ×4, first 2 shown]
	s_add_i32 s80, s20, s80
	v_pk_fma_f16 v70, v2, v7, v18
	v_pk_fma_f16 v68, v2, v8, v19
	;; [unrolled: 1-line block ×15, first 2 shown]
	s_cmp_lt_i32 s80, s85
	v_pk_fma_f16 v56, v3, v11, v1
	s_cbranch_scc0 .LBB52_68
; %bb.59:                               ;   in Loop: Header=BB52_24 Depth=1
	buffer_load_dword v0, off, s[0:3], 0 offset:120 ; 4-byte Folded Reload
	buffer_load_dword v1, off, s[0:3], 0 offset:124 ; 4-byte Folded Reload
	;; [unrolled: 1-line block ×8, first 2 shown]
	s_nop 0
	buffer_store_dword v124, off, s[0:3], 0 offset:152 ; 4-byte Folded Spill
	buffer_store_dword v125, off, s[0:3], 0 offset:156 ; 4-byte Folded Spill
	;; [unrolled: 1-line block ×8, first 2 shown]
	buffer_load_dword v54, off, s[0:3], 0 offset:292 ; 4-byte Folded Reload
	s_waitcnt vmcnt(16)
	v_mov_b32_e32 v16, v0
	s_waitcnt vmcnt(15)
	v_mov_b32_e32 v17, v1
	;; [unrolled: 2-line block ×8, first 2 shown]
	s_branch .LBB52_24
.LBB52_60:                              ;   in Loop: Header=BB52_24 Depth=1
	buffer_load_dword v2, off, s[0:3], 0 offset:236 ; 4-byte Folded Reload
	buffer_load_dword v3, off, s[0:3], 0 offset:240 ; 4-byte Folded Reload
	v_mov_b32_e32 v1, s23
	buffer_load_dword v4, off, s[0:3], 0 offset:208 ; 4-byte Folded Reload
	s_waitcnt vmcnt(2)
	v_add_co_u32_e32 v0, vcc, s22, v2
	s_waitcnt vmcnt(1)
	v_addc_co_u32_e32 v1, vcc, v1, v3, vcc
	global_load_dwordx4 v[0:3], v[0:1], off offset:96
	s_waitcnt vmcnt(0)
	ds_write_b128 v4, v[0:3]
	s_or_b64 exec, exec, s[20:21]
	s_and_saveexec_b64 s[20:21], s[10:11]
	s_cbranch_execz .LBB52_26
.LBB52_61:                              ;   in Loop: Header=BB52_24 Depth=1
	buffer_load_dword v1, off, s[0:3], 0 offset:248 ; 4-byte Folded Reload
	buffer_load_dword v2, off, s[0:3], 0 offset:252 ; 4-byte Folded Reload
	v_mov_b32_e32 v0, s23
	buffer_load_dword v4, off, s[0:3], 0 offset:212 ; 4-byte Folded Reload
	s_waitcnt vmcnt(2)
	v_add_co_u32_e32 v1, vcc, s22, v1
	s_waitcnt vmcnt(1)
	v_addc_co_u32_e32 v2, vcc, v0, v2, vcc
	buffer_load_dword v0, off, s[0:3], 0 offset:112 ; 4-byte Folded Reload
	s_waitcnt vmcnt(0)
	v_add_co_u32_e32 v0, vcc, v1, v0
	v_addc_co_u32_e32 v1, vcc, 0, v2, vcc
	global_load_dwordx4 v[0:3], v[0:1], off offset:64
	s_waitcnt vmcnt(0)
	ds_write_b128 v4, v[0:3]
	s_or_b64 exec, exec, s[20:21]
	s_and_saveexec_b64 s[20:21], s[12:13]
	s_cbranch_execnz .LBB52_27
	s_branch .LBB52_28
.LBB52_62:                              ;   in Loop: Header=BB52_24 Depth=1
	buffer_load_dword v18, off, s[0:3], 0 offset:236 ; 4-byte Folded Reload
	buffer_load_dword v19, off, s[0:3], 0 offset:240 ; 4-byte Folded Reload
	v_mov_b32_e32 v1, s23
	s_waitcnt vmcnt(1)
	v_add_co_u32_e32 v0, vcc, s22, v18
	s_waitcnt vmcnt(0)
	v_addc_co_u32_e32 v1, vcc, v1, v19, vcc
	global_load_dwordx4 v[18:21], v[0:1], off offset:208
	s_nop 0
	buffer_load_dword v0, off, s[0:3], 0 offset:208 ; 4-byte Folded Reload
	s_waitcnt vmcnt(0)
	ds_write_b128 v0, v[18:21]
	s_or_b64 exec, exec, s[20:21]
	s_and_saveexec_b64 s[20:21], s[10:11]
	s_cbranch_execz .LBB52_30
.LBB52_63:                              ;   in Loop: Header=BB52_24 Depth=1
	buffer_load_dword v18, off, s[0:3], 0 offset:248 ; 4-byte Folded Reload
	buffer_load_dword v19, off, s[0:3], 0 offset:252 ; 4-byte Folded Reload
	v_mov_b32_e32 v0, s23
	s_waitcnt vmcnt(1)
	v_add_co_u32_e32 v1, vcc, s22, v18
	s_waitcnt vmcnt(0)
	v_addc_co_u32_e32 v18, vcc, v0, v19, vcc
	buffer_load_dword v0, off, s[0:3], 0 offset:112 ; 4-byte Folded Reload
	s_waitcnt vmcnt(0)
	v_add_co_u32_e32 v0, vcc, v1, v0
	v_addc_co_u32_e32 v1, vcc, 0, v18, vcc
	global_load_dwordx4 v[18:21], v[0:1], off offset:176
	s_nop 0
	buffer_load_dword v0, off, s[0:3], 0 offset:212 ; 4-byte Folded Reload
	s_waitcnt vmcnt(0)
	ds_write_b128 v0, v[18:21]
	s_or_b64 exec, exec, s[20:21]
	s_and_saveexec_b64 s[20:21], s[12:13]
	s_cbranch_execnz .LBB52_31
	s_branch .LBB52_32
.LBB52_64:                              ;   in Loop: Header=BB52_24 Depth=1
	buffer_load_dword v2, off, s[0:3], 0 offset:268 ; 4-byte Folded Reload
	buffer_load_dword v3, off, s[0:3], 0 offset:272 ; 4-byte Folded Reload
	v_mov_b32_e32 v1, s91
	buffer_load_dword v5, off, s[0:3], 0 offset:224 ; 4-byte Folded Reload
	s_waitcnt vmcnt(2)
	v_add_co_u32_e64 v2, s[54:55], s90, v2
	s_waitcnt vmcnt(1)
	v_addc_co_u32_e64 v3, s[54:55], v1, v3, s[54:55]
	buffer_load_dword v1, off, s[0:3], 0 offset:112 ; 4-byte Folded Reload
	s_waitcnt vmcnt(0)
	v_add_co_u32_e64 v1, s[54:55], v2, v1
	v_addc_co_u32_e64 v2, s[54:55], 0, v3, s[54:55]
	global_load_dwordx4 v[1:4], v[1:2], off offset:192
	s_waitcnt vmcnt(0)
	ds_write_b128 v5, v[1:4]
	s_or_b64 exec, exec, s[76:77]
	s_and_saveexec_b64 s[76:77], s[16:17]
	s_cbranch_execz .LBB52_56
.LBB52_65:                              ;   in Loop: Header=BB52_24 Depth=1
	buffer_load_dword v2, off, s[0:3], 0 offset:276 ; 4-byte Folded Reload
	buffer_load_dword v3, off, s[0:3], 0 offset:280 ; 4-byte Folded Reload
	v_mov_b32_e32 v1, s91
	buffer_load_dword v5, off, s[0:3], 0 offset:228 ; 4-byte Folded Reload
	s_waitcnt vmcnt(2)
	v_add_co_u32_e64 v2, s[54:55], s90, v2
	s_waitcnt vmcnt(1)
	v_addc_co_u32_e64 v3, s[54:55], v1, v3, s[54:55]
	buffer_load_dword v1, off, s[0:3], 0 offset:116 ; 4-byte Folded Reload
	s_waitcnt vmcnt(0)
	v_add_co_u32_e64 v1, s[54:55], v2, v1
	v_addc_co_u32_e64 v2, s[54:55], 0, v3, s[54:55]
	global_load_dwordx4 v[1:4], v[1:2], off offset:128
	s_waitcnt vmcnt(0)
	ds_write_b128 v5, v[1:4]
	s_or_b64 exec, exec, s[76:77]
	s_and_saveexec_b64 s[76:77], s[18:19]
	s_cbranch_execnz .LBB52_57
	s_branch .LBB52_58
.LBB52_66:
	v_mov_b32_e32 v72, 0xfeffffff
	v_mov_b32_e32 v73, v72
	;; [unrolled: 1-line block ×32, first 2 shown]
	s_cmp_gt_i32 s72, s80
	s_cbranch_scc0 .LBB52_69
.LBB52_67:
                                        ; implicit-def: $vgpr0
                                        ; kill: killed $vgpr0
                                        ; implicit-def: $vgpr0
                                        ; kill: killed $vgpr0
                                        ; implicit-def: $vgpr110
                                        ; implicit-def: $vgpr0
                                        ; kill: killed $vgpr0
                                        ; implicit-def: $vgpr0
                                        ; kill: killed $vgpr0
	;; [unrolled: 2-line block ×4, first 2 shown]
	s_branch .LBB52_70
.LBB52_68:
	buffer_load_dword v72, off, s[0:3], 0 offset:120 ; 4-byte Folded Reload
	buffer_load_dword v73, off, s[0:3], 0 offset:124 ; 4-byte Folded Reload
	;; [unrolled: 1-line block ×8, first 2 shown]
	v_mov_b32_e32 v80, v101
	v_mov_b32_e32 v81, v102
	;; [unrolled: 1-line block ×3, first 2 shown]
	s_cmp_gt_i32 s72, s80
	s_cbranch_scc1 .LBB52_67
.LBB52_69:
	v_mbcnt_lo_u32_b32 v0, -1, 0
	v_mbcnt_hi_u32_b32 v110, -1, v0
	v_and_b32_e32 v0, 0x60, v110
	v_add_u32_e32 v0, 32, v0
	buffer_store_dword v0, off, s[0:3], 0 offset:112 ; 4-byte Folded Spill
	v_xor_b32_e32 v0, 16, v110
	buffer_store_dword v0, off, s[0:3], 0 offset:116 ; 4-byte Folded Spill
	v_xor_b32_e32 v0, 8, v110
	;; [unrolled: 2-line block ×5, first 2 shown]
	buffer_store_dword v0, off, s[0:3], 0 offset:152 ; 4-byte Folded Spill
	s_cbranch_execnz .LBB52_135
.LBB52_70:
	buffer_load_dword v2, off, s[0:3], 0 offset:368 ; 4-byte Folded Reload
	buffer_load_dword v1, off, s[0:3], 0 offset:344 ; 4-byte Folded Reload
	s_mul_hi_i32 s11, s80, s82
	s_mul_i32 s10, s80, s82
	s_mov_b64 s[22:23], src_private_base
	s_sub_i32 s30, s72, s80
	s_lshl_b64 s[10:11], s[10:11], 2
	s_add_u32 s22, s84, s10
	s_addc_u32 s31, s83, s11
	s_waitcnt vmcnt(1)
	v_mul_lo_u32 v0, s82, v2
	s_waitcnt vmcnt(0)
	v_add_u32_e32 v18, 0x3860, v1
	v_cmp_gt_u32_e64 s[14:15], 32, v2
	v_cmp_gt_i32_e64 s[12:13], s30, v2
	v_ashrrev_i32_e32 v1, 31, v0
	v_lshlrev_b64 v[10:11], 2, v[0:1]
	s_and_saveexec_b64 s[10:11], s[14:15]
	s_cbranch_execz .LBB52_72
; %bb.71:
	v_mov_b32_e32 v0, 0
	buffer_store_dword v0, off, s[0:3], 0
	buffer_store_dword v0, off, s[0:3], 0 offset:4
	buffer_store_dword v0, off, s[0:3], 0 offset:8
	;; [unrolled: 1-line block ×3, first 2 shown]
	v_mov_b32_e32 v0, s31
	v_add_co_u32_e32 v1, vcc, s22, v10
	v_addc_co_u32_e32 v0, vcc, v0, v11, vcc
	v_add_co_u32_e32 v2, vcc, 0x60, v1
	v_addc_co_u32_e32 v0, vcc, 0, v0, vcc
	v_mov_b32_e32 v1, s23
	v_cndmask_b32_e64 v1, v1, v0, s[12:13]
	v_mov_b32_e32 v0, 0
	v_cndmask_b32_e64 v0, v0, v2, s[12:13]
	flat_load_dwordx4 v[0:3], v[0:1]
	s_waitcnt vmcnt(0) lgkmcnt(0)
	ds_write_b128 v18, v[0:3]
.LBB52_72:
	s_or_b64 exec, exec, s[10:11]
	buffer_load_dword v0, off, s[0:3], 0 offset:328 ; 4-byte Folded Reload
	buffer_load_dword v1, off, s[0:3], 0 offset:364 ; 4-byte Folded Reload
	s_mov_b64 s[24:25], src_private_base
	s_waitcnt vmcnt(0)
	v_lshl_add_u32 v107, v0, 4, v1
	buffer_load_dword v1, off, s[0:3], 0 offset:340 ; 4-byte Folded Reload
	v_mul_lo_u32 v0, s82, v107
	v_cmp_gt_u32_e64 s[16:17], 32, v107
	v_cmp_gt_i32_e64 s[20:21], s30, v107
	s_waitcnt vmcnt(0)
	v_lshlrev_b32_e32 v106, 2, v1
	v_lshl_or_b32 v1, v107, 7, v106
	v_add_u32_e32 v26, 0x3840, v1
	v_ashrrev_i32_e32 v1, 31, v0
	v_lshlrev_b64 v[12:13], 2, v[0:1]
	s_and_saveexec_b64 s[10:11], s[16:17]
	s_cbranch_execz .LBB52_74
; %bb.73:
	v_mov_b32_e32 v0, 0
	buffer_store_dword v0, off, s[0:3], 0
	buffer_store_dword v0, off, s[0:3], 0 offset:4
	buffer_store_dword v0, off, s[0:3], 0 offset:8
	;; [unrolled: 1-line block ×3, first 2 shown]
	v_mov_b32_e32 v0, s31
	v_add_co_u32_e32 v1, vcc, s22, v12
	v_addc_co_u32_e32 v0, vcc, v0, v13, vcc
	v_add_co_u32_e32 v1, vcc, v1, v106
	v_addc_co_u32_e32 v0, vcc, 0, v0, vcc
	v_add_co_u32_e32 v2, vcc, 64, v1
	v_addc_co_u32_e32 v0, vcc, 0, v0, vcc
	v_mov_b32_e32 v1, s25
	v_cndmask_b32_e64 v1, v1, v0, s[20:21]
	v_mov_b32_e32 v0, 0
	v_cndmask_b32_e64 v0, v0, v2, s[20:21]
	flat_load_dwordx4 v[0:3], v[0:1]
	s_waitcnt vmcnt(0) lgkmcnt(0)
	ds_write_b128 v26, v[0:3]
.LBB52_74:
	s_or_b64 exec, exec, s[10:11]
	buffer_load_dword v0, off, s[0:3], 0 offset:344 ; 4-byte Folded Reload
	s_mov_b64 s[26:27], src_private_base
	buffer_load_dword v1, off, s[0:3], 0 offset:356 ; 4-byte Folded Reload
	s_waitcnt vmcnt(1)
	v_add_u32_e32 v16, 0x3800, v0
	buffer_load_dword v0, off, s[0:3], 0 offset:328 ; 4-byte Folded Reload
	s_waitcnt vmcnt(0)
	v_lshlrev_b32_e32 v0, 3, v0
	v_add_u32_e32 v109, v1, v0
	buffer_load_dword v0, off, s[0:3], 0 offset:360 ; 4-byte Folded Reload
	v_mul_lo_u32 v2, s82, v109
	v_cmp_gt_u32_e64 s[18:19], 32, v109
	v_mov_b32_e32 v1, 0
	v_cmp_gt_i32_e64 s[10:11], s30, v109
	v_ashrrev_i32_e32 v3, 31, v2
	v_lshlrev_b64 v[14:15], 2, v[2:3]
	s_waitcnt vmcnt(0)
	v_lshlrev_b32_e32 v111, 2, v0
	v_lshl_or_b32 v0, v109, 7, v111
	v_add_u32_e32 v27, 0x3800, v0
	s_and_saveexec_b64 s[28:29], s[18:19]
	s_cbranch_execz .LBB52_76
; %bb.75:
	v_mov_b32_e32 v0, s31
	v_add_co_u32_e32 v2, vcc, s22, v14
	v_addc_co_u32_e32 v0, vcc, v0, v15, vcc
	v_add_co_u32_e32 v2, vcc, v2, v111
	v_addc_co_u32_e32 v0, vcc, 0, v0, vcc
	v_mov_b32_e32 v3, s27
	v_cndmask_b32_e64 v3, v3, v0, s[10:11]
	v_mov_b32_e32 v0, 0
	buffer_store_dword v1, off, s[0:3], 0
	buffer_store_dword v1, off, s[0:3], 0 offset:4
	buffer_store_dword v1, off, s[0:3], 0 offset:8
	buffer_store_dword v1, off, s[0:3], 0 offset:12
	v_cndmask_b32_e64 v2, v0, v2, s[10:11]
	flat_load_dwordx4 v[2:5], v[2:3]
	s_waitcnt vmcnt(0) lgkmcnt(0)
	ds_write_b128 v27, v[2:5]
.LBB52_76:
	s_or_b64 exec, exec, s[28:29]
	buffer_load_dword v0, off, s[0:3], 0 offset:328 ; 4-byte Folded Reload
	v_mov_b32_e32 v25, 0
	s_waitcnt vmcnt(0) lgkmcnt(0)
	s_barrier
	v_mov_b32_e32 v24, 0
	v_mov_b32_e32 v23, 0
	v_mul_u32_u24_e32 v17, 0x700, v0
	ds_read_b128 v[2:5], v16
	ds_read_b128 v[6:9], v17
	ds_read_b128 v[19:22], v17 offset:224
	ds_read_b128 v[28:31], v17 offset:448
	ds_read_b128 v[32:35], v17 offset:672
	ds_read_b128 v[36:39], v17 offset:896
	ds_read_b128 v[40:43], v17 offset:1120
	ds_read_b128 v[44:47], v17 offset:1344
	ds_read_b128 v[48:51], v17 offset:1568
	s_waitcnt lgkmcnt(7)
	;;#ASMSTART
	v_dot2_f32_f16 v25, v2, v6, v25
	;;#ASMEND
	;;#ASMSTART
	v_dot2_f32_f16 v25, v3, v7, v25
	;;#ASMEND
	;; [unrolled: 3-line block ×4, first 2 shown]
	s_waitcnt lgkmcnt(6)
	;;#ASMSTART
	v_dot2_f32_f16 v24, v2, v19, v24
	;;#ASMEND
	;;#ASMSTART
	v_dot2_f32_f16 v24, v3, v20, v24
	;;#ASMEND
	;; [unrolled: 3-line block ×4, first 2 shown]
	s_waitcnt lgkmcnt(5)
	;;#ASMSTART
	v_dot2_f32_f16 v23, v2, v28, v23
	;;#ASMEND
	;;#ASMSTART
	v_dot2_f32_f16 v23, v3, v29, v23
	;;#ASMEND
	;;#ASMSTART
	v_dot2_f32_f16 v23, v4, v30, v23
	;;#ASMEND
	v_mov_b32_e32 v22, 0
	;;#ASMSTART
	v_dot2_f32_f16 v23, v5, v31, v23
	;;#ASMEND
	s_waitcnt lgkmcnt(4)
	;;#ASMSTART
	v_dot2_f32_f16 v22, v2, v32, v22
	;;#ASMEND
	;;#ASMSTART
	v_dot2_f32_f16 v22, v3, v33, v22
	;;#ASMEND
	;;#ASMSTART
	v_dot2_f32_f16 v22, v4, v34, v22
	;;#ASMEND
	v_mov_b32_e32 v21, 0
	;;#ASMSTART
	v_dot2_f32_f16 v22, v5, v35, v22
	;;#ASMEND
	;; [unrolled: 14-line block ×4, first 2 shown]
	s_waitcnt lgkmcnt(1)
	;;#ASMSTART
	v_dot2_f32_f16 v19, v2, v44, v19
	;;#ASMEND
	;;#ASMSTART
	v_dot2_f32_f16 v19, v3, v45, v19
	;;#ASMEND
	;; [unrolled: 3-line block ×4, first 2 shown]
	s_waitcnt lgkmcnt(0)
	;;#ASMSTART
	v_dot2_f32_f16 v1, v2, v48, v1
	;;#ASMEND
	;;#ASMSTART
	v_dot2_f32_f16 v1, v3, v49, v1
	;;#ASMEND
	;; [unrolled: 3-line block ×4, first 2 shown]
	ds_read_b128 v[2:5], v16 offset:16
	ds_read_b128 v[6:9], v17 offset:16
	;; [unrolled: 1-line block ×9, first 2 shown]
	s_waitcnt lgkmcnt(7)
	;;#ASMSTART
	v_dot2_f32_f16 v25, v2, v6, v25
	;;#ASMEND
	;;#ASMSTART
	v_dot2_f32_f16 v25, v3, v7, v25
	;;#ASMEND
	;;#ASMSTART
	v_dot2_f32_f16 v25, v4, v8, v25
	;;#ASMEND
	;;#ASMSTART
	v_dot2_f32_f16 v25, v5, v9, v25
	;;#ASMEND
	s_waitcnt lgkmcnt(6)
	;;#ASMSTART
	v_dot2_f32_f16 v24, v2, v28, v24
	;;#ASMEND
	;;#ASMSTART
	v_dot2_f32_f16 v24, v3, v29, v24
	;;#ASMEND
	;;#ASMSTART
	v_dot2_f32_f16 v24, v4, v30, v24
	;;#ASMEND
	;;#ASMSTART
	v_dot2_f32_f16 v24, v5, v31, v24
	;;#ASMEND
	;; [unrolled: 13-line block ×8, first 2 shown]
	ds_read_b128 v[2:5], v16 offset:32
	ds_read_b128 v[6:9], v17 offset:32
	;; [unrolled: 1-line block ×9, first 2 shown]
	s_waitcnt lgkmcnt(7)
	;;#ASMSTART
	v_dot2_f32_f16 v25, v2, v6, v25
	;;#ASMEND
	;;#ASMSTART
	v_dot2_f32_f16 v25, v3, v7, v25
	;;#ASMEND
	;;#ASMSTART
	v_dot2_f32_f16 v25, v4, v8, v25
	;;#ASMEND
	;;#ASMSTART
	v_dot2_f32_f16 v25, v5, v9, v25
	;;#ASMEND
	s_waitcnt lgkmcnt(6)
	;;#ASMSTART
	v_dot2_f32_f16 v24, v2, v28, v24
	;;#ASMEND
	;;#ASMSTART
	v_dot2_f32_f16 v24, v3, v29, v24
	;;#ASMEND
	;;#ASMSTART
	v_dot2_f32_f16 v24, v4, v30, v24
	;;#ASMEND
	;;#ASMSTART
	v_dot2_f32_f16 v24, v5, v31, v24
	;;#ASMEND
	;; [unrolled: 13-line block ×8, first 2 shown]
	ds_read_b128 v[2:5], v16 offset:48
	ds_read_b128 v[6:9], v17 offset:48
	;; [unrolled: 1-line block ×9, first 2 shown]
	s_waitcnt lgkmcnt(7)
	;;#ASMSTART
	v_dot2_f32_f16 v25, v2, v6, v25
	;;#ASMEND
	;;#ASMSTART
	v_dot2_f32_f16 v25, v3, v7, v25
	;;#ASMEND
	;;#ASMSTART
	v_dot2_f32_f16 v25, v4, v8, v25
	;;#ASMEND
	;;#ASMSTART
	v_dot2_f32_f16 v25, v5, v9, v25
	;;#ASMEND
	s_waitcnt lgkmcnt(6)
	;;#ASMSTART
	v_dot2_f32_f16 v24, v2, v28, v24
	;;#ASMEND
	;;#ASMSTART
	v_dot2_f32_f16 v24, v3, v29, v24
	;;#ASMEND
	;;#ASMSTART
	v_dot2_f32_f16 v24, v4, v30, v24
	;;#ASMEND
	;;#ASMSTART
	v_dot2_f32_f16 v24, v5, v31, v24
	;;#ASMEND
	;; [unrolled: 13-line block ×8, first 2 shown]
	ds_read_b128 v[2:5], v16 offset:64
	ds_read_b128 v[6:9], v17 offset:64
	ds_read_b128 v[28:31], v17 offset:288
	ds_read_b128 v[32:35], v17 offset:512
	ds_read_b128 v[36:39], v17 offset:736
	ds_read_b128 v[40:43], v17 offset:960
	ds_read_b128 v[44:47], v17 offset:1184
	ds_read_b128 v[48:51], v17 offset:1408
	ds_read_b128 v[52:55], v17 offset:1632
	s_waitcnt lgkmcnt(7)
	;;#ASMSTART
	v_dot2_f32_f16 v25, v2, v6, v25
	;;#ASMEND
	;;#ASMSTART
	v_dot2_f32_f16 v25, v3, v7, v25
	;;#ASMEND
	;;#ASMSTART
	v_dot2_f32_f16 v25, v4, v8, v25
	;;#ASMEND
	;;#ASMSTART
	v_dot2_f32_f16 v25, v5, v9, v25
	;;#ASMEND
	s_waitcnt lgkmcnt(6)
	;;#ASMSTART
	v_dot2_f32_f16 v24, v2, v28, v24
	;;#ASMEND
	;;#ASMSTART
	v_dot2_f32_f16 v24, v3, v29, v24
	;;#ASMEND
	;;#ASMSTART
	v_dot2_f32_f16 v24, v4, v30, v24
	;;#ASMEND
	;;#ASMSTART
	v_dot2_f32_f16 v24, v5, v31, v24
	;;#ASMEND
	;; [unrolled: 13-line block ×8, first 2 shown]
	ds_read_b128 v[2:5], v16 offset:80
	ds_read_b128 v[6:9], v17 offset:80
	;; [unrolled: 1-line block ×9, first 2 shown]
	s_waitcnt lgkmcnt(7)
	;;#ASMSTART
	v_dot2_f32_f16 v25, v2, v6, v25
	;;#ASMEND
	;;#ASMSTART
	v_dot2_f32_f16 v25, v3, v7, v25
	;;#ASMEND
	;;#ASMSTART
	v_dot2_f32_f16 v25, v4, v8, v25
	;;#ASMEND
	;;#ASMSTART
	v_dot2_f32_f16 v25, v5, v9, v25
	;;#ASMEND
	s_waitcnt lgkmcnt(6)
	;;#ASMSTART
	v_dot2_f32_f16 v24, v2, v28, v24
	;;#ASMEND
	;;#ASMSTART
	v_dot2_f32_f16 v24, v3, v29, v24
	;;#ASMEND
	;;#ASMSTART
	v_dot2_f32_f16 v24, v4, v30, v24
	;;#ASMEND
	;;#ASMSTART
	v_dot2_f32_f16 v24, v5, v31, v24
	;;#ASMEND
	;; [unrolled: 13-line block ×8, first 2 shown]
	ds_read_b128 v[2:5], v16 offset:96
	ds_read_b128 v[6:9], v17 offset:96
	;; [unrolled: 1-line block ×9, first 2 shown]
	s_waitcnt lgkmcnt(7)
	;;#ASMSTART
	v_dot2_f32_f16 v25, v2, v6, v25
	;;#ASMEND
	;;#ASMSTART
	v_dot2_f32_f16 v25, v3, v7, v25
	;;#ASMEND
	;;#ASMSTART
	v_dot2_f32_f16 v25, v4, v8, v25
	;;#ASMEND
	;;#ASMSTART
	v_dot2_f32_f16 v25, v5, v9, v25
	;;#ASMEND
	s_waitcnt lgkmcnt(6)
	;;#ASMSTART
	v_dot2_f32_f16 v24, v2, v28, v24
	;;#ASMEND
	;;#ASMSTART
	v_dot2_f32_f16 v24, v3, v29, v24
	;;#ASMEND
	;;#ASMSTART
	v_dot2_f32_f16 v24, v4, v30, v24
	;;#ASMEND
	;;#ASMSTART
	v_dot2_f32_f16 v24, v5, v31, v24
	;;#ASMEND
	;; [unrolled: 13-line block ×8, first 2 shown]
	s_barrier
	s_and_saveexec_b64 s[28:29], s[14:15]
	s_cbranch_execnz .LBB52_83
; %bb.77:
	s_or_b64 exec, exec, s[28:29]
	s_and_saveexec_b64 s[12:13], s[16:17]
	s_cbranch_execnz .LBB52_84
.LBB52_78:
	s_or_b64 exec, exec, s[12:13]
	s_and_saveexec_b64 s[12:13], s[18:19]
	s_cbranch_execz .LBB52_80
.LBB52_79:
	v_mov_b32_e32 v0, 0
	buffer_store_dword v0, off, s[0:3], 0
	buffer_store_dword v0, off, s[0:3], 0 offset:4
	buffer_store_dword v0, off, s[0:3], 0 offset:8
	;; [unrolled: 1-line block ×3, first 2 shown]
	v_mov_b32_e32 v0, s31
	v_add_co_u32_e32 v2, vcc, s22, v14
	v_addc_co_u32_e32 v0, vcc, v0, v15, vcc
	v_add_co_u32_e32 v2, vcc, v2, v111
	v_addc_co_u32_e32 v0, vcc, 0, v0, vcc
	;; [unrolled: 2-line block ×3, first 2 shown]
	v_mov_b32_e32 v3, s27
	v_cndmask_b32_e64 v3, v3, v0, s[10:11]
	v_mov_b32_e32 v0, 0
	v_cndmask_b32_e64 v2, v0, v2, s[10:11]
	flat_load_dwordx4 v[2:5], v[2:3]
	s_waitcnt vmcnt(0) lgkmcnt(0)
	ds_write_b128 v27, v[2:5]
.LBB52_80:
	s_or_b64 exec, exec, s[12:13]
	s_waitcnt lgkmcnt(0)
	s_barrier
	ds_read_b128 v[2:5], v16
	ds_read_b128 v[6:9], v17 offset:112
	ds_read_b128 v[10:13], v17 offset:336
	;; [unrolled: 1-line block ×8, first 2 shown]
	s_waitcnt lgkmcnt(7)
	;;#ASMSTART
	v_dot2_f32_f16 v25, v2, v6, v25
	;;#ASMEND
	;;#ASMSTART
	v_dot2_f32_f16 v25, v3, v7, v25
	;;#ASMEND
	;;#ASMSTART
	v_dot2_f32_f16 v25, v4, v8, v25
	;;#ASMEND
	;;#ASMSTART
	v_dot2_f32_f16 v25, v5, v9, v25
	;;#ASMEND
	s_waitcnt lgkmcnt(6)
	;;#ASMSTART
	v_dot2_f32_f16 v24, v2, v10, v24
	;;#ASMEND
	;;#ASMSTART
	v_dot2_f32_f16 v24, v3, v11, v24
	;;#ASMEND
	;;#ASMSTART
	v_dot2_f32_f16 v24, v4, v12, v24
	;;#ASMEND
	;;#ASMSTART
	v_dot2_f32_f16 v24, v5, v13, v24
	;;#ASMEND
	;; [unrolled: 13-line block ×8, first 2 shown]
	ds_read_b128 v[2:5], v16 offset:16
	ds_read_b128 v[6:9], v17 offset:128
	;; [unrolled: 1-line block ×9, first 2 shown]
	s_waitcnt lgkmcnt(7)
	;;#ASMSTART
	v_dot2_f32_f16 v25, v2, v6, v25
	;;#ASMEND
	;;#ASMSTART
	v_dot2_f32_f16 v25, v3, v7, v25
	;;#ASMEND
	;;#ASMSTART
	v_dot2_f32_f16 v25, v4, v8, v25
	;;#ASMEND
	;;#ASMSTART
	v_dot2_f32_f16 v25, v5, v9, v25
	;;#ASMEND
	s_waitcnt lgkmcnt(6)
	;;#ASMSTART
	v_dot2_f32_f16 v24, v2, v10, v24
	;;#ASMEND
	;;#ASMSTART
	v_dot2_f32_f16 v24, v3, v11, v24
	;;#ASMEND
	;;#ASMSTART
	v_dot2_f32_f16 v24, v4, v12, v24
	;;#ASMEND
	;;#ASMSTART
	v_dot2_f32_f16 v24, v5, v13, v24
	;;#ASMEND
	;; [unrolled: 13-line block ×8, first 2 shown]
	ds_read_b128 v[2:5], v16 offset:32
	ds_read_b128 v[6:9], v17 offset:144
	;; [unrolled: 1-line block ×9, first 2 shown]
	s_waitcnt lgkmcnt(7)
	;;#ASMSTART
	v_dot2_f32_f16 v25, v2, v6, v25
	;;#ASMEND
	;;#ASMSTART
	v_dot2_f32_f16 v25, v3, v7, v25
	;;#ASMEND
	;;#ASMSTART
	v_dot2_f32_f16 v25, v4, v8, v25
	;;#ASMEND
	;;#ASMSTART
	v_dot2_f32_f16 v25, v5, v9, v25
	;;#ASMEND
	s_waitcnt lgkmcnt(6)
	;;#ASMSTART
	v_dot2_f32_f16 v24, v2, v10, v24
	;;#ASMEND
	;;#ASMSTART
	v_dot2_f32_f16 v24, v3, v11, v24
	;;#ASMEND
	;;#ASMSTART
	v_dot2_f32_f16 v24, v4, v12, v24
	;;#ASMEND
	;;#ASMSTART
	v_dot2_f32_f16 v24, v5, v13, v24
	;;#ASMEND
	;; [unrolled: 13-line block ×8, first 2 shown]
	ds_read_b128 v[2:5], v16 offset:48
	ds_read_b128 v[6:9], v17 offset:160
	;; [unrolled: 1-line block ×9, first 2 shown]
	s_waitcnt lgkmcnt(7)
	;;#ASMSTART
	v_dot2_f32_f16 v25, v2, v6, v25
	;;#ASMEND
	;;#ASMSTART
	v_dot2_f32_f16 v25, v3, v7, v25
	;;#ASMEND
	;;#ASMSTART
	v_dot2_f32_f16 v25, v4, v8, v25
	;;#ASMEND
	;;#ASMSTART
	v_dot2_f32_f16 v25, v5, v9, v25
	;;#ASMEND
	s_waitcnt lgkmcnt(6)
	;;#ASMSTART
	v_dot2_f32_f16 v24, v2, v10, v24
	;;#ASMEND
	;;#ASMSTART
	v_dot2_f32_f16 v24, v3, v11, v24
	;;#ASMEND
	;;#ASMSTART
	v_dot2_f32_f16 v24, v4, v12, v24
	;;#ASMEND
	;;#ASMSTART
	v_dot2_f32_f16 v24, v5, v13, v24
	;;#ASMEND
	;; [unrolled: 13-line block ×8, first 2 shown]
	ds_read_b128 v[2:5], v16 offset:64
	ds_read_b128 v[6:9], v17 offset:176
	;; [unrolled: 1-line block ×9, first 2 shown]
	s_waitcnt lgkmcnt(7)
	;;#ASMSTART
	v_dot2_f32_f16 v25, v2, v6, v25
	;;#ASMEND
	;;#ASMSTART
	v_dot2_f32_f16 v25, v3, v7, v25
	;;#ASMEND
	;;#ASMSTART
	v_dot2_f32_f16 v25, v4, v8, v25
	;;#ASMEND
	;;#ASMSTART
	v_dot2_f32_f16 v25, v5, v9, v25
	;;#ASMEND
	s_waitcnt lgkmcnt(6)
	;;#ASMSTART
	v_dot2_f32_f16 v24, v2, v10, v24
	;;#ASMEND
	;;#ASMSTART
	v_dot2_f32_f16 v24, v3, v11, v24
	;;#ASMEND
	;;#ASMSTART
	v_dot2_f32_f16 v24, v4, v12, v24
	;;#ASMEND
	;;#ASMSTART
	v_dot2_f32_f16 v24, v5, v13, v24
	;;#ASMEND
	;; [unrolled: 13-line block ×8, first 2 shown]
	ds_read_b128 v[2:5], v16 offset:80
	ds_read_b128 v[6:9], v17 offset:192
	;; [unrolled: 1-line block ×9, first 2 shown]
	s_waitcnt lgkmcnt(7)
	;;#ASMSTART
	v_dot2_f32_f16 v25, v2, v6, v25
	;;#ASMEND
	;;#ASMSTART
	v_dot2_f32_f16 v25, v3, v7, v25
	;;#ASMEND
	;;#ASMSTART
	v_dot2_f32_f16 v25, v4, v8, v25
	;;#ASMEND
	;;#ASMSTART
	v_dot2_f32_f16 v25, v5, v9, v25
	;;#ASMEND
	s_waitcnt lgkmcnt(6)
	;;#ASMSTART
	v_dot2_f32_f16 v24, v2, v10, v24
	;;#ASMEND
	;;#ASMSTART
	v_dot2_f32_f16 v24, v3, v11, v24
	;;#ASMEND
	;;#ASMSTART
	v_dot2_f32_f16 v24, v4, v12, v24
	;;#ASMEND
	;;#ASMSTART
	v_dot2_f32_f16 v24, v5, v13, v24
	;;#ASMEND
	;; [unrolled: 13-line block ×8, first 2 shown]
	ds_read_b128 v[2:5], v16 offset:96
	ds_read_b128 v[6:9], v17 offset:208
	;; [unrolled: 1-line block ×9, first 2 shown]
	s_waitcnt lgkmcnt(7)
	;;#ASMSTART
	v_dot2_f32_f16 v25, v2, v6, v25
	;;#ASMEND
	;;#ASMSTART
	v_dot2_f32_f16 v25, v3, v7, v25
	;;#ASMEND
	;;#ASMSTART
	v_dot2_f32_f16 v25, v4, v8, v25
	;;#ASMEND
	;;#ASMSTART
	v_dot2_f32_f16 v25, v5, v9, v25
	;;#ASMEND
	s_waitcnt lgkmcnt(6)
	;;#ASMSTART
	v_dot2_f32_f16 v24, v2, v10, v24
	;;#ASMEND
	;;#ASMSTART
	v_dot2_f32_f16 v24, v3, v11, v24
	;;#ASMEND
	;;#ASMSTART
	v_dot2_f32_f16 v24, v4, v12, v24
	;;#ASMEND
	;;#ASMSTART
	v_dot2_f32_f16 v24, v5, v13, v24
	;;#ASMEND
	;; [unrolled: 13-line block ×8, first 2 shown]
	buffer_load_dword v0, off, s[0:3], 0 offset:200 ; 4-byte Folded Reload
	s_cmp_lg_u64 s[70:71], 0
	s_cselect_b64 s[14:15], -1, 0
	v_mov_b32_e32 v10, v72
	v_mov_b32_e32 v11, v73
	;; [unrolled: 1-line block ×8, first 2 shown]
	s_waitcnt vmcnt(0)
	v_cmp_gt_i32_e64 s[12:13], s30, v0
	v_add_u32_e32 v18, s80, v0
	v_cndmask_b32_e64 v0, 0, 1, s[14:15]
	v_cmp_ne_u32_e64 s[14:15], 1, v0
	v_mov_b32_e32 v0, v72
	s_and_saveexec_b64 s[16:17], s[12:13]
	s_cbranch_execz .LBB52_87
; %bb.81:
	s_and_b64 vcc, exec, s[14:15]
	s_cbranch_vccnz .LBB52_85
; %bb.82:
	buffer_load_dword v2, off, s[0:3], 0 offset:332 ; 4-byte Folded Reload
	s_waitcnt vmcnt(0)
	v_mul_hi_u32 v0, s64, v2
	v_add_u32_e32 v0, v2, v0
	v_lshrrev_b32_e32 v0, s65, v0
	v_mul_lo_u32 v0, v0, s66
	v_sub_u32_e32 v0, v2, v0
	v_mad_u64_u32 v[2:3], s[18:19], v0, s81, v[18:19]
	v_mov_b32_e32 v0, s71
	v_ashrrev_i32_e32 v3, 31, v2
	v_lshlrev_b64 v[2:3], 1, v[2:3]
	v_add_co_u32_e32 v2, vcc, s70, v2
	v_addc_co_u32_e32 v3, vcc, v0, v3, vcc
	global_load_ushort v0, v[2:3], off
	s_waitcnt vmcnt(0)
	v_cvt_f32_f16_e32 v0, v0
	buffer_load_dword v2, off, s[0:3], 0 offset:16 ; 4-byte Folded Reload
	s_waitcnt vmcnt(0)
	v_mul_f32_e32 v0, v2, v0
	s_branch .LBB52_86
.LBB52_83:
	v_mov_b32_e32 v0, 0
	buffer_store_dword v0, off, s[0:3], 0
	buffer_store_dword v0, off, s[0:3], 0 offset:4
	buffer_store_dword v0, off, s[0:3], 0 offset:8
	;; [unrolled: 1-line block ×3, first 2 shown]
	v_mov_b32_e32 v0, s31
	v_add_co_u32_e32 v2, vcc, s22, v10
	v_addc_co_u32_e32 v0, vcc, v0, v11, vcc
	v_add_co_u32_e32 v2, vcc, 0xd0, v2
	v_addc_co_u32_e32 v0, vcc, 0, v0, vcc
	v_mov_b32_e32 v3, s23
	v_cndmask_b32_e64 v3, v3, v0, s[12:13]
	v_mov_b32_e32 v0, 0
	v_cndmask_b32_e64 v2, v0, v2, s[12:13]
	flat_load_dwordx4 v[2:5], v[2:3]
	s_waitcnt vmcnt(0) lgkmcnt(0)
	ds_write_b128 v18, v[2:5]
	s_or_b64 exec, exec, s[28:29]
	s_and_saveexec_b64 s[12:13], s[16:17]
	s_cbranch_execz .LBB52_78
.LBB52_84:
	v_mov_b32_e32 v0, 0
	buffer_store_dword v0, off, s[0:3], 0
	buffer_store_dword v0, off, s[0:3], 0 offset:4
	buffer_store_dword v0, off, s[0:3], 0 offset:8
	;; [unrolled: 1-line block ×3, first 2 shown]
	v_mov_b32_e32 v0, s31
	v_add_co_u32_e32 v2, vcc, s22, v12
	v_addc_co_u32_e32 v0, vcc, v0, v13, vcc
	v_add_co_u32_e32 v2, vcc, v2, v106
	v_addc_co_u32_e32 v0, vcc, 0, v0, vcc
	;; [unrolled: 2-line block ×3, first 2 shown]
	v_mov_b32_e32 v3, s25
	v_cndmask_b32_e64 v3, v3, v0, s[20:21]
	v_mov_b32_e32 v0, 0
	v_cndmask_b32_e64 v2, v0, v2, s[20:21]
	flat_load_dwordx4 v[2:5], v[2:3]
	s_waitcnt vmcnt(0) lgkmcnt(0)
	ds_write_b128 v26, v[2:5]
	s_or_b64 exec, exec, s[12:13]
	s_and_saveexec_b64 s[12:13], s[18:19]
	s_cbranch_execnz .LBB52_79
	s_branch .LBB52_80
.LBB52_85:
	v_mov_b32_e32 v0, 0
.LBB52_86:
	v_add_f32_e32 v25, v25, v0
	v_add_f32_e32 v0, 0x40051340, v25
	v_max_f32_e32 v2, v72, v72
	v_mov_b32_e32 v10, v72
	v_max_f32_e32 v0, v2, v0
	v_mov_b32_e32 v11, v73
	v_mov_b32_e32 v12, v74
	;; [unrolled: 1-line block ×7, first 2 shown]
.LBB52_87:
	s_or_b64 exec, exec, s[16:17]
	v_mbcnt_lo_u32_b32 v2, -1, 0
	v_mbcnt_hi_u32_b32 v110, -1, v2
	v_and_b32_e32 v2, 0x60, v110
	v_add_u32_e32 v4, 32, v2
	v_xor_b32_e32 v2, 16, v110
	v_cmp_lt_i32_e32 vcc, v2, v4
	buffer_store_dword v2, off, s[0:3], 0 offset:116 ; 4-byte Folded Spill
	v_cndmask_b32_e32 v2, v110, v2, vcc
	v_lshlrev_b32_e32 v29, 2, v2
	ds_bpermute_b32 v2, v29, v0
	v_xor_b32_e32 v3, 8, v110
	v_cmp_lt_i32_e32 vcc, v3, v4
	buffer_store_dword v3, off, s[0:3], 0 offset:156 ; 4-byte Folded Spill
	v_cndmask_b32_e32 v3, v110, v3, vcc
	s_waitcnt lgkmcnt(0)
	v_max_f32_e32 v2, v2, v2
	v_max_f32_e32 v0, v0, v0
	v_lshlrev_b32_e32 v30, 2, v3
	v_max_f32_e32 v0, v0, v2
	ds_bpermute_b32 v2, v30, v0
	v_xor_b32_e32 v3, 4, v110
	v_cmp_lt_i32_e32 vcc, v3, v4
	buffer_store_dword v3, off, s[0:3], 0 offset:120 ; 4-byte Folded Spill
	v_cndmask_b32_e32 v3, v110, v3, vcc
	s_waitcnt lgkmcnt(0)
	v_max_f32_e32 v2, v2, v2
	v_lshlrev_b32_e32 v26, 2, v3
	v_max_f32_e32 v0, v0, v2
	ds_bpermute_b32 v2, v26, v0
	v_xor_b32_e32 v3, 2, v110
	v_cmp_lt_i32_e32 vcc, v3, v4
	buffer_store_dword v3, off, s[0:3], 0 offset:160 ; 4-byte Folded Spill
	v_cndmask_b32_e32 v3, v110, v3, vcc
	s_waitcnt lgkmcnt(0)
	;; [unrolled: 9-line block ×3, first 2 shown]
	v_max_f32_e32 v2, v2, v2
	v_lshlrev_b32_e32 v28, 2, v3
	v_max_f32_e32 v0, v0, v2
	ds_bpermute_b32 v2, v28, v0
	buffer_store_dword v4, off, s[0:3], 0 offset:112 ; 4-byte Folded Spill
	s_waitcnt lgkmcnt(0)
	v_max_f32_e32 v2, v2, v2
	v_max_f32_e32 v10, v0, v2
	s_and_saveexec_b64 s[16:17], s[12:13]
	s_cbranch_execz .LBB52_92
; %bb.88:
	s_and_b64 vcc, exec, s[14:15]
	s_cbranch_vccnz .LBB52_90
; %bb.89:
	buffer_load_dword v0, off, s[0:3], 0 offset:332 ; 4-byte Folded Reload
	s_waitcnt vmcnt(0)
	v_or_b32_e32 v0, 1, v0
	v_mul_hi_u32 v2, s64, v0
	v_add_u32_e32 v2, v0, v2
	v_lshrrev_b32_e32 v2, s65, v2
	v_mul_lo_u32 v2, v2, s66
	v_sub_u32_e32 v0, v0, v2
	v_mad_u64_u32 v[2:3], s[18:19], v0, s81, v[18:19]
	v_mov_b32_e32 v0, s71
	v_ashrrev_i32_e32 v3, 31, v2
	v_lshlrev_b64 v[2:3], 1, v[2:3]
	v_add_co_u32_e32 v2, vcc, s70, v2
	v_addc_co_u32_e32 v3, vcc, v0, v3, vcc
	global_load_ushort v0, v[2:3], off
	s_waitcnt vmcnt(0)
	v_cvt_f32_f16_e32 v0, v0
	buffer_load_dword v2, off, s[0:3], 0 offset:16 ; 4-byte Folded Reload
	s_waitcnt vmcnt(0)
	v_mul_f32_e32 v0, v2, v0
	s_branch .LBB52_91
.LBB52_90:
	v_mov_b32_e32 v0, 0
.LBB52_91:
	v_add_f32_e32 v24, v24, v0
	v_add_f32_e32 v0, 0x40051340, v24
	v_max_f32_e32 v2, v11, v11
	v_max_f32_e32 v11, v2, v0
.LBB52_92:
	s_or_b64 exec, exec, s[16:17]
	ds_bpermute_b32 v0, v29, v11
	v_max_f32_e32 v2, v11, v11
	s_waitcnt lgkmcnt(0)
	v_max_f32_e32 v0, v0, v0
	v_max_f32_e32 v0, v2, v0
	ds_bpermute_b32 v2, v30, v0
	s_waitcnt lgkmcnt(0)
	v_max_f32_e32 v2, v2, v2
	v_max_f32_e32 v0, v0, v2
	ds_bpermute_b32 v2, v26, v0
	s_waitcnt lgkmcnt(0)
	v_max_f32_e32 v2, v2, v2
	v_max_f32_e32 v0, v0, v2
	ds_bpermute_b32 v2, v27, v0
	s_waitcnt lgkmcnt(0)
	v_max_f32_e32 v2, v2, v2
	v_max_f32_e32 v0, v0, v2
	ds_bpermute_b32 v2, v28, v0
	s_waitcnt lgkmcnt(0)
	v_max_f32_e32 v2, v2, v2
	v_max_f32_e32 v11, v0, v2
	s_and_saveexec_b64 s[16:17], s[12:13]
	s_cbranch_execz .LBB52_97
; %bb.93:
	s_and_b64 vcc, exec, s[14:15]
	s_cbranch_vccnz .LBB52_95
; %bb.94:
	buffer_load_dword v0, off, s[0:3], 0 offset:332 ; 4-byte Folded Reload
	s_waitcnt vmcnt(0)
	v_or_b32_e32 v0, 2, v0
	v_mul_hi_u32 v2, s64, v0
	v_add_u32_e32 v2, v0, v2
	v_lshrrev_b32_e32 v2, s65, v2
	v_mul_lo_u32 v2, v2, s66
	v_sub_u32_e32 v0, v0, v2
	v_mad_u64_u32 v[2:3], s[18:19], v0, s81, v[18:19]
	v_mov_b32_e32 v0, s71
	v_ashrrev_i32_e32 v3, 31, v2
	v_lshlrev_b64 v[2:3], 1, v[2:3]
	v_add_co_u32_e32 v2, vcc, s70, v2
	v_addc_co_u32_e32 v3, vcc, v0, v3, vcc
	global_load_ushort v0, v[2:3], off
	s_waitcnt vmcnt(0)
	v_cvt_f32_f16_e32 v0, v0
	buffer_load_dword v2, off, s[0:3], 0 offset:16 ; 4-byte Folded Reload
	s_waitcnt vmcnt(0)
	v_mul_f32_e32 v0, v2, v0
	s_branch .LBB52_96
.LBB52_95:
	v_mov_b32_e32 v0, 0
.LBB52_96:
	v_add_f32_e32 v23, v23, v0
	v_add_f32_e32 v0, 0x40051340, v23
	v_max_f32_e32 v2, v12, v12
	v_max_f32_e32 v12, v2, v0
.LBB52_97:
	s_or_b64 exec, exec, s[16:17]
	ds_bpermute_b32 v0, v29, v12
	v_max_f32_e32 v2, v12, v12
	s_waitcnt lgkmcnt(0)
	v_max_f32_e32 v0, v0, v0
	v_max_f32_e32 v0, v2, v0
	ds_bpermute_b32 v2, v30, v0
	s_waitcnt lgkmcnt(0)
	v_max_f32_e32 v2, v2, v2
	v_max_f32_e32 v0, v0, v2
	ds_bpermute_b32 v2, v26, v0
	s_waitcnt lgkmcnt(0)
	v_max_f32_e32 v2, v2, v2
	v_max_f32_e32 v0, v0, v2
	ds_bpermute_b32 v2, v27, v0
	s_waitcnt lgkmcnt(0)
	v_max_f32_e32 v2, v2, v2
	v_max_f32_e32 v0, v0, v2
	ds_bpermute_b32 v2, v28, v0
	;; [unrolled: 57-line block ×6, first 2 shown]
	s_waitcnt lgkmcnt(0)
	v_max_f32_e32 v2, v2, v2
	v_max_f32_e32 v16, v0, v2
	s_and_saveexec_b64 s[16:17], s[12:13]
	s_cbranch_execz .LBB52_122
; %bb.118:
	s_and_b64 vcc, exec, s[14:15]
	s_cbranch_vccnz .LBB52_120
; %bb.119:
	buffer_load_dword v0, off, s[0:3], 0 offset:332 ; 4-byte Folded Reload
	s_waitcnt vmcnt(0)
	v_or_b32_e32 v0, 7, v0
	v_mul_hi_u32 v2, s64, v0
	v_add_u32_e32 v2, v0, v2
	v_lshrrev_b32_e32 v2, s65, v2
	v_mul_lo_u32 v2, v2, s66
	v_sub_u32_e32 v0, v0, v2
	v_mad_u64_u32 v[2:3], s[12:13], v0, s81, v[18:19]
	v_mov_b32_e32 v0, s71
	v_ashrrev_i32_e32 v3, 31, v2
	v_lshlrev_b64 v[2:3], 1, v[2:3]
	v_add_co_u32_e32 v2, vcc, s70, v2
	v_addc_co_u32_e32 v3, vcc, v0, v3, vcc
	global_load_ushort v0, v[2:3], off
	s_waitcnt vmcnt(0)
	v_cvt_f32_f16_e32 v0, v0
	buffer_load_dword v2, off, s[0:3], 0 offset:16 ; 4-byte Folded Reload
	s_waitcnt vmcnt(0)
	v_mul_f32_e32 v0, v2, v0
	s_branch .LBB52_121
.LBB52_120:
	v_mov_b32_e32 v0, 0
.LBB52_121:
	v_add_f32_e32 v1, v1, v0
	v_add_f32_e32 v0, 0x40051340, v1
	v_max_f32_e32 v2, v17, v17
	v_max_f32_e32 v17, v2, v0
.LBB52_122:
	s_or_b64 exec, exec, s[16:17]
	v_sub_f32_e32 v3, v25, v10
	s_mov_b32 s14, 0x3fb8aa3b
	v_mul_f32_e32 v4, 0x3fb8aa3b, v3
	v_fma_f32 v5, v3, s14, -v4
	v_rndne_f32_e32 v6, v4
	v_fmac_f32_e32 v5, 0x32a5705f, v3
	v_sub_f32_e32 v4, v4, v6
	v_add_f32_e32 v4, v4, v5
	v_cvt_i32_f32_e32 v6, v6
	v_exp_f32_e32 v4, v4
	s_mov_b64 s[16:17], src_private_base
	s_mov_b32 s15, 0xc2ce8ed0
	s_mov_b32 s16, 0x42b17218
	v_ldexp_f32 v4, v4, v6
	v_cmp_ngt_f32_e32 vcc, s15, v3
	buffer_store_dword v82, off, s[0:3], 0 offset:108 ; 4-byte Folded Spill
	buffer_store_dword v81, off, s[0:3], 0 offset:104 ; 4-byte Folded Spill
	;; [unrolled: 1-line block ×24, first 2 shown]
	s_waitcnt vmcnt(0)
	s_barrier
	v_cndmask_b32_e32 v4, 0, v4, vcc
	v_cmp_nlt_f32_e32 vcc, s16, v3
	v_sub_f32_e32 v3, v24, v11
	buffer_load_dword v24, off, s[0:3], 0 offset:200 ; 4-byte Folded Reload
	ds_bpermute_b32 v0, v29, v17
	v_max_f32_e32 v2, v17, v17
	v_cmp_ngt_f32_e64 s[12:13], s15, v3
	s_waitcnt lgkmcnt(0)
	v_max_f32_e32 v0, v0, v0
	v_max_f32_e32 v0, v2, v0
	ds_bpermute_b32 v2, v30, v0
	s_waitcnt lgkmcnt(0)
	v_max_f32_e32 v2, v2, v2
	v_max_f32_e32 v0, v0, v2
	ds_bpermute_b32 v2, v26, v0
	;; [unrolled: 4-line block ×4, first 2 shown]
	s_waitcnt lgkmcnt(0)
	v_max_f32_e32 v2, v2, v2
	v_max_f32_e32 v17, v0, v2
	v_mov_b32_e32 v0, 0x7f800000
	v_cndmask_b32_e32 v2, v0, v4, vcc
	v_mul_f32_e32 v4, 0x3fb8aa3b, v3
	v_fma_f32 v5, v3, s14, -v4
	v_rndne_f32_e32 v6, v4
	v_fmac_f32_e32 v5, 0x32a5705f, v3
	v_sub_f32_e32 v4, v4, v6
	v_add_f32_e32 v4, v4, v5
	v_exp_f32_e32 v4, v4
	v_cvt_i32_f32_e32 v5, v6
	v_sub_f32_e32 v1, v1, v17
	s_waitcnt vmcnt(0)
	v_cmp_gt_u32_e32 vcc, s30, v24
	v_cndmask_b32_e32 v2, 0, v2, vcc
	buffer_store_dword v2, off, s[0:3], 0 offset:164 ; 4-byte Folded Spill
	v_cvt_f16_f32_e32 v6, v2
	v_ldexp_f32 v2, v4, v5
	v_sub_f32_e32 v4, v23, v12
	v_mul_f32_e32 v5, 0x3fb8aa3b, v4
	v_fma_f32 v7, v4, s14, -v5
	v_rndne_f32_e32 v8, v5
	v_fmac_f32_e32 v7, 0x32a5705f, v4
	v_sub_f32_e32 v5, v5, v8
	v_add_f32_e32 v5, v5, v7
	v_exp_f32_e32 v5, v5
	v_cvt_i32_f32_e32 v7, v8
	v_cndmask_b32_e64 v2, 0, v2, s[12:13]
	v_cmp_nlt_f32_e64 s[12:13], s16, v3
	v_cndmask_b32_e64 v2, v0, v2, s[12:13]
	v_cndmask_b32_e32 v2, 0, v2, vcc
	v_sub_f32_e32 v3, v22, v13
	buffer_store_dword v2, off, s[0:3], 0 offset:168 ; 4-byte Folded Spill
	v_cvt_f16_f32_e32 v8, v2
	v_ldexp_f32 v2, v5, v7
	v_mul_f32_e32 v5, 0x3fb8aa3b, v3
	v_fma_f32 v7, v3, s14, -v5
	v_rndne_f32_e32 v9, v5
	v_fmac_f32_e32 v7, 0x32a5705f, v3
	v_sub_f32_e32 v5, v5, v9
	v_add_f32_e32 v5, v5, v7
	v_cmp_ngt_f32_e64 s[12:13], s15, v4
	v_exp_f32_e32 v5, v5
	v_cvt_i32_f32_e32 v7, v9
	v_cndmask_b32_e64 v2, 0, v2, s[12:13]
	v_cmp_nlt_f32_e64 s[12:13], s16, v4
	v_cndmask_b32_e64 v2, v0, v2, s[12:13]
	v_cndmask_b32_e32 v2, 0, v2, vcc
	buffer_store_dword v2, off, s[0:3], 0 offset:172 ; 4-byte Folded Spill
	v_cvt_f16_f32_e32 v4, v2
	v_ldexp_f32 v2, v5, v7
	v_sub_f32_e32 v5, v21, v14
	v_mul_f32_e32 v7, 0x3fb8aa3b, v5
	v_fma_f32 v9, v5, s14, -v7
	v_rndne_f32_e32 v18, v7
	v_fmac_f32_e32 v9, 0x32a5705f, v5
	v_sub_f32_e32 v7, v7, v18
	v_add_f32_e32 v7, v7, v9
	v_cmp_ngt_f32_e64 s[12:13], s15, v3
	v_exp_f32_e32 v7, v7
	v_cvt_i32_f32_e32 v9, v18
	v_cndmask_b32_e64 v2, 0, v2, s[12:13]
	v_cmp_nlt_f32_e64 s[12:13], s16, v3
	v_cndmask_b32_e64 v2, v0, v2, s[12:13]
	v_cndmask_b32_e32 v2, 0, v2, vcc
	v_sub_f32_e32 v3, v20, v15
	buffer_store_dword v2, off, s[0:3], 0 offset:176 ; 4-byte Folded Spill
	v_cvt_f16_f32_e32 v18, v2
	v_ldexp_f32 v2, v7, v9
	v_mul_f32_e32 v7, 0x3fb8aa3b, v3
	v_fma_f32 v9, v3, s14, -v7
	v_rndne_f32_e32 v20, v7
	v_fmac_f32_e32 v9, 0x32a5705f, v3
	v_sub_f32_e32 v7, v7, v20
	v_add_f32_e32 v7, v7, v9
	v_exp_f32_e32 v7, v7
	v_cvt_i32_f32_e32 v9, v20
	v_cmp_ngt_f32_e64 s[12:13], s15, v5
	v_cndmask_b32_e64 v2, 0, v2, s[12:13]
	v_cmp_nlt_f32_e64 s[12:13], s16, v5
	v_ldexp_f32 v5, v7, v9
	v_sub_f32_e32 v7, v19, v16
	v_mul_f32_e32 v9, 0x3fb8aa3b, v7
	v_fma_f32 v19, v7, s14, -v9
	v_rndne_f32_e32 v20, v9
	v_fmac_f32_e32 v19, 0x32a5705f, v7
	v_sub_f32_e32 v9, v9, v20
	v_add_f32_e32 v9, v9, v19
	v_cndmask_b32_e64 v2, v0, v2, s[12:13]
	v_cmp_ngt_f32_e64 s[12:13], s15, v3
	v_exp_f32_e32 v9, v9
	v_cvt_i32_f32_e32 v19, v20
	v_cndmask_b32_e64 v5, 0, v5, s[12:13]
	v_cmp_nlt_f32_e64 s[12:13], s16, v3
	v_cndmask_b32_e64 v3, v0, v5, s[12:13]
	v_cndmask_b32_e32 v3, 0, v3, vcc
	buffer_store_dword v3, off, s[0:3], 0 offset:184 ; 4-byte Folded Spill
	v_cvt_f16_f32_e32 v5, v3
	v_ldexp_f32 v3, v9, v19
	v_mul_f32_e32 v9, 0x3fb8aa3b, v1
	v_fma_f32 v19, v1, s14, -v9
	v_rndne_f32_e32 v20, v9
	v_fmac_f32_e32 v19, 0x32a5705f, v1
	v_sub_f32_e32 v9, v9, v20
	v_add_f32_e32 v9, v9, v19
	v_exp_f32_e32 v9, v9
	v_cvt_i32_f32_e32 v19, v20
	v_cmp_ngt_f32_e64 s[12:13], s15, v7
	v_cndmask_b32_e64 v3, 0, v3, s[12:13]
	v_cmp_nlt_f32_e64 s[12:13], s16, v7
	v_cndmask_b32_e64 v3, v0, v3, s[12:13]
	v_ldexp_f32 v7, v9, v19
	v_cmp_ngt_f32_e64 s[12:13], s15, v1
	v_cndmask_b32_e64 v7, 0, v7, s[12:13]
	v_cmp_nlt_f32_e64 s[12:13], s16, v1
	v_cndmask_b32_e64 v0, v0, v7, s[12:13]
	buffer_load_dword v7, off, s[0:3], 0 offset:328 ; 4-byte Folded Reload
	v_cndmask_b32_e32 v2, 0, v2, vcc
	v_cndmask_b32_e32 v3, 0, v3, vcc
	;; [unrolled: 1-line block ×3, first 2 shown]
	buffer_store_dword v2, off, s[0:3], 0 offset:180 ; 4-byte Folded Spill
	v_cvt_f16_f32_e32 v2, v2
	buffer_store_dword v3, off, s[0:3], 0 offset:188 ; 4-byte Folded Spill
	v_cvt_f16_f32_e32 v3, v3
	;; [unrolled: 2-line block ×3, first 2 shown]
	v_mov_b32_e32 v1, 0x4840
	v_pack_b32_f16 v2, v2, v5
	s_mul_hi_i32 s15, s80, s8
	v_pack_b32_f16 v3, v3, v0
	v_pack_b32_f16 v0, v6, v8
	s_mul_i32 s14, s80, s8
	s_lshl_b64 s[14:15], s[14:15], 2
	s_add_u32 s16, s73, s14
	v_cmp_gt_u32_e64 s[12:13], 16, v107
	s_addc_u32 s24, s79, s15
	s_waitcnt vmcnt(3)
	v_lshl_add_u32 v108, v7, 9, v1
	v_lshl_add_u32 v7, v24, 4, v108
	v_pack_b32_f16 v1, v4, v18
	ds_write_b128 v7, v[0:3]
	buffer_load_dword v2, off, s[0:3], 0 offset:340 ; 4-byte Folded Reload
	v_mul_lo_u32 v0, s8, v107
	v_mul_u32_u24_e32 v1, 0xe0, v107
	s_waitcnt vmcnt(0)
	v_lshl_or_b32 v1, v2, 2, v1
	v_add_u32_e32 v126, 0x38c0, v1
	v_ashrrev_i32_e32 v1, 31, v0
	v_lshlrev_b64 v[113:114], 2, v[0:1]
	s_and_saveexec_b64 s[14:15], s[12:13]
	s_cbranch_execz .LBB52_124
; %bb.123:
	v_mov_b32_e32 v0, 0
	buffer_store_dword v0, off, s[0:3], 0
	buffer_store_dword v0, off, s[0:3], 0 offset:4
	buffer_store_dword v0, off, s[0:3], 0 offset:8
	;; [unrolled: 1-line block ×3, first 2 shown]
	v_mov_b32_e32 v0, s24
	v_add_co_u32_e32 v1, vcc, s16, v113
	v_addc_co_u32_e32 v0, vcc, v0, v114, vcc
	v_add_co_u32_e32 v1, vcc, v1, v106
	v_addc_co_u32_e32 v0, vcc, 0, v0, vcc
	;; [unrolled: 2-line block ×3, first 2 shown]
	v_mov_b32_e32 v1, s17
	v_cndmask_b32_e64 v1, v1, v0, s[20:21]
	v_mov_b32_e32 v0, 0
	v_cndmask_b32_e64 v0, v0, v2, s[20:21]
	flat_load_dwordx4 v[0:3], v[0:1]
	s_waitcnt vmcnt(0) lgkmcnt(0)
	ds_write_b128 v126, v[0:3]
.LBB52_124:
	s_or_b64 exec, exec, s[14:15]
	v_mul_lo_u32 v0, s8, v109
	v_mul_u32_u24_e32 v2, 0xe0, v109
	s_movk_i32 s18, 0x3880
	s_mov_b64 s[20:21], src_private_base
	v_ashrrev_i32_e32 v1, 31, v0
	v_lshlrev_b64 v[117:118], 2, v[0:1]
	v_cmp_gt_u32_e64 s[14:15], 16, v109
	v_add3_u32 v112, v2, v111, s18
	s_mov_b64 s[18:19], exec
	buffer_load_dword v4, off, s[0:3], 0 offset:352 ; 4-byte Folded Reload
	s_and_b64 s[22:23], s[18:19], s[14:15]
	s_mov_b64 exec, s[22:23]
	s_cbranch_execz .LBB52_126
; %bb.125:
	v_mov_b32_e32 v0, 0
	buffer_store_dword v0, off, s[0:3], 0
	buffer_store_dword v0, off, s[0:3], 0 offset:4
	buffer_store_dword v0, off, s[0:3], 0 offset:8
	;; [unrolled: 1-line block ×3, first 2 shown]
	v_mov_b32_e32 v0, s24
	v_add_co_u32_e32 v1, vcc, s16, v117
	v_addc_co_u32_e32 v0, vcc, v0, v118, vcc
	v_add_co_u32_e32 v1, vcc, v1, v111
	v_addc_co_u32_e32 v0, vcc, 0, v0, vcc
	;; [unrolled: 2-line block ×3, first 2 shown]
	v_mov_b32_e32 v1, s21
	v_cndmask_b32_e64 v1, v1, v0, s[10:11]
	v_mov_b32_e32 v0, 0
	v_cndmask_b32_e64 v0, v0, v2, s[10:11]
	flat_load_dwordx4 v[0:3], v[0:1]
	s_waitcnt vmcnt(0) lgkmcnt(0)
	ds_write_b128 v112, v[0:3]
.LBB52_126:
	s_or_b64 exec, exec, s[18:19]
	buffer_load_dword v0, off, s[0:3], 0 offset:328 ; 4-byte Folded Reload
	buffer_load_dword v2, off, s[0:3], 0 offset:204 ; 4-byte Folded Reload
	s_mov_b64 s[18:19], src_private_base
	s_movk_i32 s18, 0x3800
	s_waitcnt vmcnt(1)
	v_lshl_add_u32 v0, v0, 2, v4
	v_mul_lo_u32 v1, s8, v0
	s_waitcnt vmcnt(0)
	v_lshlrev_b32_e32 v4, 2, v2
	v_mul_u32_u24_e32 v3, 0xe0, v0
	buffer_store_dword v0, off, s[0:3], 0 offset:236 ; 4-byte Folded Spill
	v_ashrrev_i32_e32 v2, 31, v1
	v_lshlrev_b64 v[1:2], 2, v[1:2]
	v_cmp_gt_u32_e64 s[10:11], 16, v0
	buffer_store_dword v1, off, s[0:3], 0 offset:256 ; 4-byte Folded Spill
	s_nop 0
	buffer_store_dword v2, off, s[0:3], 0 offset:260 ; 4-byte Folded Spill
	buffer_store_dword v4, off, s[0:3], 0 offset:248 ; 4-byte Folded Spill
	v_mov_b32_e32 v0, 0
	v_add3_u32 v1, v3, v4, s18
	buffer_store_dword v1, off, s[0:3], 0 offset:244 ; 4-byte Folded Spill
	s_and_saveexec_b64 s[22:23], s[10:11]
	s_cbranch_execz .LBB52_128
; %bb.127:
	buffer_store_dword v0, off, s[0:3], 0
	buffer_store_dword v0, off, s[0:3], 0 offset:4
	buffer_store_dword v0, off, s[0:3], 0 offset:8
	;; [unrolled: 1-line block ×3, first 2 shown]
	buffer_load_dword v1, off, s[0:3], 0 offset:256 ; 4-byte Folded Reload
	buffer_load_dword v2, off, s[0:3], 0 offset:260 ; 4-byte Folded Reload
	v_mov_b32_e32 v0, s24
	buffer_load_dword v3, off, s[0:3], 0 offset:236 ; 4-byte Folded Reload
	buffer_load_dword v4, off, s[0:3], 0 offset:244 ; 4-byte Folded Reload
	s_waitcnt vmcnt(3)
	v_add_co_u32_e32 v1, vcc, s16, v1
	s_waitcnt vmcnt(2)
	v_addc_co_u32_e32 v0, vcc, v0, v2, vcc
	buffer_load_dword v2, off, s[0:3], 0 offset:248 ; 4-byte Folded Reload
	s_waitcnt vmcnt(0)
	v_add_co_u32_e32 v2, vcc, v1, v2
	v_addc_co_u32_e32 v0, vcc, 0, v0, vcc
	v_mov_b32_e32 v1, s19
	v_cmp_gt_i32_e32 vcc, s30, v3
	v_cndmask_b32_e32 v1, v1, v0, vcc
	v_mov_b32_e32 v0, 0
	v_cndmask_b32_e32 v0, v0, v2, vcc
	flat_load_dwordx4 v[0:3], v[0:1]
	s_waitcnt vmcnt(0) lgkmcnt(0)
	ds_write_b128 v4, v[0:3]
.LBB52_128:
	s_or_b64 exec, exec, s[22:23]
	v_sub_f32_e32 v0, v72, v10
	s_mov_b32 s16, 0x3fb8aa3b
	v_mul_f32_e32 v1, 0x3fb8aa3b, v0
	v_fma_f32 v2, v0, s16, -v1
	v_rndne_f32_e32 v3, v1
	v_fmac_f32_e32 v2, 0x32a5705f, v0
	v_sub_f32_e32 v1, v1, v3
	v_add_f32_e32 v1, v1, v2
	v_exp_f32_e32 v1, v1
	v_cvt_i32_f32_e32 v2, v3
	v_sub_f32_e32 v3, v73, v11
	s_mov_b32 s18, 0xc2ce8ed0
	v_mul_f32_e32 v4, 0x3fb8aa3b, v3
	v_ldexp_f32 v1, v1, v2
	v_cmp_ngt_f32_e32 vcc, s18, v0
	s_mov_b32 s20, 0x42b17218
	v_fma_f32 v5, v3, s16, -v4
	v_rndne_f32_e32 v6, v4
	v_cndmask_b32_e32 v1, 0, v1, vcc
	v_mov_b32_e32 v2, 0x7f800000
	v_fmac_f32_e32 v5, 0x32a5705f, v3
	v_sub_f32_e32 v4, v4, v6
	v_cmp_nlt_f32_e32 vcc, s20, v0
	v_add_f32_e32 v4, v4, v5
	v_cndmask_b32_e32 v0, v2, v1, vcc
	v_exp_f32_e32 v4, v4
	v_cvt_i32_f32_e32 v5, v6
	buffer_store_dword v0, off, s[0:3], 0 offset:204 ; 4-byte Folded Spill
	v_cvt_f16_f32_e32 v0, v0
	v_sub_f32_e32 v1, v74, v12
	v_cmp_ngt_f32_e32 vcc, s18, v3
	buffer_store_dword v0, off, s[0:3], 0 offset:264 ; 4-byte Folded Spill
	v_ldexp_f32 v0, v4, v5
	v_mul_f32_e32 v4, 0x3fb8aa3b, v1
	v_fma_f32 v5, v1, s16, -v4
	v_rndne_f32_e32 v6, v4
	v_cndmask_b32_e32 v0, 0, v0, vcc
	v_fmac_f32_e32 v5, 0x32a5705f, v1
	v_sub_f32_e32 v4, v4, v6
	v_cmp_nlt_f32_e32 vcc, s20, v3
	v_add_f32_e32 v4, v4, v5
	v_cndmask_b32_e32 v0, v2, v0, vcc
	v_exp_f32_e32 v4, v4
	v_cvt_i32_f32_e32 v5, v6
	buffer_store_dword v0, off, s[0:3], 0 offset:208 ; 4-byte Folded Spill
	v_cvt_f16_f32_e32 v0, v0
	v_sub_f32_e32 v3, v75, v13
	v_cmp_ngt_f32_e32 vcc, s18, v1
	buffer_store_dword v0, off, s[0:3], 0 offset:312 ; 4-byte Folded Spill
	v_ldexp_f32 v0, v4, v5
	v_mul_f32_e32 v4, 0x3fb8aa3b, v3
	v_fma_f32 v5, v3, s16, -v4
	v_rndne_f32_e32 v6, v4
	v_cndmask_b32_e32 v0, 0, v0, vcc
	;; [unrolled: 17-line block ×6, first 2 shown]
	v_fmac_f32_e32 v5, 0x32a5705f, v3
	v_sub_f32_e32 v4, v4, v6
	v_cmp_nlt_f32_e32 vcc, s20, v1
	v_add_f32_e32 v4, v4, v5
	v_cndmask_b32_e32 v0, v2, v0, vcc
	v_exp_f32_e32 v4, v4
	v_cvt_i32_f32_e32 v5, v6
	buffer_store_dword v0, off, s[0:3], 0 offset:228 ; 4-byte Folded Spill
	v_cvt_f16_f32_e32 v0, v0
	v_cmp_ngt_f32_e32 vcc, s18, v3
	s_or_b32 s16, s80, 16
	s_mul_hi_i32 s23, s16, s8
	buffer_store_dword v0, off, s[0:3], 0 offset:628 ; 4-byte Folded Spill
	v_ldexp_f32 v0, v4, v5
	v_cndmask_b32_e32 v0, 0, v0, vcc
	v_cmp_nlt_f32_e32 vcc, s20, v3
	v_cndmask_b32_e32 v0, v2, v0, vcc
	buffer_store_dword v0, off, s[0:3], 0 offset:232 ; 4-byte Folded Spill
	v_cvt_f16_f32_e32 v0, v0
	s_mul_i32 s22, s16, s8
	s_lshl_b64 s[22:23], s[22:23], 2
	s_add_u32 s8, s73, s22
	buffer_store_dword v0, off, s[0:3], 0 offset:636 ; 4-byte Folded Spill
	s_waitcnt vmcnt(0) lgkmcnt(0)
	s_barrier
	buffer_load_dword v1, off, s[0:3], 0 offset:196 ; 4-byte Folded Reload
	s_addc_u32 s16, s79, s23
	s_add_i32 s30, s30, -16
	s_waitcnt vmcnt(0)
	v_add_u32_e32 v0, 0x3800, v1
	ds_read2_b64 v[38:41], v0 offset1:28
	ds_read_b128 v[102:105], v108
	ds_read_b128 v[98:101], v108 offset:16
	ds_read_b128 v[94:97], v108 offset:32
	ds_read_b128 v[90:93], v108 offset:48
	ds_read2_b64 v[34:37], v0 offset0:56 offset1:84
	ds_read2_b64 v[30:33], v0 offset0:112 offset1:140
	ds_read_b128 v[86:89], v108 offset:64
	ds_read_b128 v[82:85], v108 offset:80
	ds_read2_b64 v[26:29], v0 offset0:168 offset1:196
	ds_read_b128 v[78:81], v108 offset:96
	ds_read_b128 v[74:77], v108 offset:112
	;; [unrolled: 3-line block ×3, first 2 shown]
	v_add_u32_e32 v0, 0x4000, v1
	ds_read2_b64 v[18:21], v0 offset0:24 offset1:52
	ds_read_b128 v[62:65], v108 offset:160
	ds_read_b128 v[58:61], v108 offset:176
	ds_read2_b64 v[5:8], v0 offset0:80 offset1:108
	ds_read_b128 v[54:57], v108 offset:192
	ds_read_b128 v[50:53], v108 offset:208
	ds_read2_b64 v[1:4], v0 offset0:136 offset1:164
	ds_read_b128 v[46:49], v108 offset:224
	ds_read_b128 v[42:45], v108 offset:240
	s_waitcnt lgkmcnt(0)
	s_barrier
	s_and_saveexec_b64 s[22:23], s[12:13]
	s_cbranch_execz .LBB52_130
; %bb.129:
	v_mov_b32_e32 v0, 0
	buffer_store_dword v0, off, s[0:3], 0
	buffer_store_dword v0, off, s[0:3], 0 offset:4
	buffer_store_dword v0, off, s[0:3], 0 offset:8
	;; [unrolled: 1-line block ×3, first 2 shown]
	v_mov_b32_e32 v0, s16
	v_add_co_u32_e32 v9, vcc, s8, v113
	v_addc_co_u32_e32 v0, vcc, v0, v114, vcc
	v_add_co_u32_e32 v9, vcc, v9, v106
	v_addc_co_u32_e32 v0, vcc, 0, v0, vcc
	;; [unrolled: 2-line block ×3, first 2 shown]
	v_mov_b32_e32 v106, s17
	v_cmp_gt_i32_e32 vcc, s30, v107
	v_cndmask_b32_e32 v107, v106, v0, vcc
	v_mov_b32_e32 v0, 0
	v_cndmask_b32_e32 v106, v0, v9, vcc
	flat_load_dwordx4 v[113:116], v[106:107]
	s_waitcnt vmcnt(0) lgkmcnt(0)
	ds_write_b128 v126, v[113:116]
.LBB52_130:
	s_or_b64 exec, exec, s[22:23]
	s_mov_b32 s17, 0x10001
	s_and_saveexec_b64 s[12:13], s[14:15]
	s_cbranch_execz .LBB52_132
; %bb.131:
	v_mov_b32_e32 v0, 0
	buffer_store_dword v0, off, s[0:3], 0
	buffer_store_dword v0, off, s[0:3], 0 offset:4
	buffer_store_dword v0, off, s[0:3], 0 offset:8
	;; [unrolled: 1-line block ×3, first 2 shown]
	v_mov_b32_e32 v0, s16
	v_add_co_u32_e32 v9, vcc, s8, v117
	v_addc_co_u32_e32 v0, vcc, v0, v118, vcc
	v_add_co_u32_e32 v9, vcc, v9, v111
	v_addc_co_u32_e32 v0, vcc, 0, v0, vcc
	v_add_co_u32_e32 v9, vcc, 0x80, v9
	v_addc_co_u32_e32 v0, vcc, 0, v0, vcc
	v_mov_b32_e32 v106, s21
	v_cmp_gt_i32_e32 vcc, s30, v109
	v_cndmask_b32_e32 v107, v106, v0, vcc
	v_mov_b32_e32 v0, 0
	v_cndmask_b32_e32 v106, v0, v9, vcc
	flat_load_dwordx4 v[113:116], v[106:107]
	s_waitcnt vmcnt(0) lgkmcnt(0)
	ds_write_b128 v112, v[113:116]
.LBB52_132:
	s_or_b64 exec, exec, s[12:13]
	v_mul_u32_u24_sdwa v118, v103, s17 dst_sel:DWORD dst_unused:UNUSED_PAD src0_sel:WORD_0 src1_sel:DWORD
	v_mul_u32_u24_sdwa v117, v103, s17 dst_sel:DWORD dst_unused:UNUSED_PAD src0_sel:WORD_1 src1_sel:DWORD
	v_mul_u32_u24_sdwa v116, v104, s17 dst_sel:DWORD dst_unused:UNUSED_PAD src0_sel:WORD_0 src1_sel:DWORD
	v_mul_u32_u24_sdwa v115, v104, s17 dst_sel:DWORD dst_unused:UNUSED_PAD src0_sel:WORD_1 src1_sel:DWORD
	;; [unrolled: 2-line block ×17, first 2 shown]
	buffer_store_dword v83, off, s[0:3], 0 offset:656 ; 4-byte Folded Spill
	v_mul_u32_u24_sdwa v83, v84, s17 dst_sel:DWORD dst_unused:UNUSED_PAD src0_sel:WORD_0 src1_sel:DWORD
	v_mul_u32_u24_sdwa v84, v84, s17 dst_sel:DWORD dst_unused:UNUSED_PAD src0_sel:WORD_1 src1_sel:DWORD
	buffer_store_dword v84, off, s[0:3], 0 offset:648 ; 4-byte Folded Spill
	v_mul_u32_u24_sdwa v84, v85, s17 dst_sel:DWORD dst_unused:UNUSED_PAD src0_sel:WORD_0 src1_sel:DWORD
	v_mul_u32_u24_sdwa v85, v85, s17 dst_sel:DWORD dst_unused:UNUSED_PAD src0_sel:WORD_1 src1_sel:DWORD
	;; [unrolled: 3-line block ×17, first 2 shown]
	buffer_store_dword v68, off, s[0:3], 0 offset:500 ; 4-byte Folded Spill
	v_mul_u32_u24_sdwa v68, v69, s17 dst_sel:DWORD dst_unused:UNUSED_PAD src0_sel:WORD_0 src1_sel:DWORD
	buffer_store_dword v68, off, s[0:3], 0 offset:504 ; 4-byte Folded Spill
	v_mul_u32_u24_sdwa v68, v62, s17 dst_sel:DWORD dst_unused:UNUSED_PAD src0_sel:WORD_0 src1_sel:DWORD
	buffer_store_dword v68, off, s[0:3], 0 offset:480 ; 4-byte Folded Spill
	v_mul_u32_u24_sdwa v68, v62, s17 dst_sel:DWORD dst_unused:UNUSED_PAD src0_sel:WORD_1 src1_sel:DWORD
	v_mul_u32_u24_sdwa v62, v63, s17 dst_sel:DWORD dst_unused:UNUSED_PAD src0_sel:WORD_0 src1_sel:DWORD
	buffer_store_dword v62, off, s[0:3], 0 offset:484 ; 4-byte Folded Spill
	v_mul_u32_u24_sdwa v62, v63, s17 dst_sel:DWORD dst_unused:UNUSED_PAD src0_sel:WORD_1 src1_sel:DWORD
	buffer_store_dword v62, off, s[0:3], 0 offset:488 ; 4-byte Folded Spill
	v_mul_u32_u24_sdwa v62, v65, s17 dst_sel:DWORD dst_unused:UNUSED_PAD src0_sel:WORD_0 src1_sel:DWORD
	buffer_store_dword v62, off, s[0:3], 0 offset:492 ; 4-byte Folded Spill
	v_mul_u32_u24_sdwa v62, v58, s17 dst_sel:DWORD dst_unused:UNUSED_PAD src0_sel:WORD_0 src1_sel:DWORD
	buffer_store_dword v62, off, s[0:3], 0 offset:464 ; 4-byte Folded Spill
	v_mul_u32_u24_sdwa v62, v58, s17 dst_sel:DWORD dst_unused:UNUSED_PAD src0_sel:WORD_1 src1_sel:DWORD
	v_mul_u32_u24_sdwa v58, v59, s17 dst_sel:DWORD dst_unused:UNUSED_PAD src0_sel:WORD_0 src1_sel:DWORD
	buffer_store_dword v58, off, s[0:3], 0 offset:468 ; 4-byte Folded Spill
	v_mul_u32_u24_sdwa v58, v60, s17 dst_sel:DWORD dst_unused:UNUSED_PAD src0_sel:WORD_0 src1_sel:DWORD
	buffer_store_dword v58, off, s[0:3], 0 offset:472 ; 4-byte Folded Spill
	;; [unrolled: 2-line block ×3, first 2 shown]
	v_mul_u32_u24_sdwa v58, v54, s17 dst_sel:DWORD dst_unused:UNUSED_PAD src0_sel:WORD_0 src1_sel:DWORD
	v_mul_u32_u24_sdwa v54, v54, s17 dst_sel:DWORD dst_unused:UNUSED_PAD src0_sel:WORD_1 src1_sel:DWORD
	buffer_store_dword v54, off, s[0:3], 0 offset:432 ; 4-byte Folded Spill
	v_mul_u32_u24_sdwa v54, v55, s17 dst_sel:DWORD dst_unused:UNUSED_PAD src0_sel:WORD_0 src1_sel:DWORD
	buffer_store_dword v54, off, s[0:3], 0 offset:436 ; 4-byte Folded Spill
	v_mul_u32_u24_sdwa v54, v55, s17 dst_sel:DWORD dst_unused:UNUSED_PAD src0_sel:WORD_1 src1_sel:DWORD
	buffer_store_dword v54, off, s[0:3], 0 offset:440 ; 4-byte Folded Spill
	v_mul_u32_u24_sdwa v54, v56, s17 dst_sel:DWORD dst_unused:UNUSED_PAD src0_sel:WORD_0 src1_sel:DWORD
	buffer_store_dword v54, off, s[0:3], 0 offset:444 ; 4-byte Folded Spill
	v_mul_u32_u24_sdwa v54, v56, s17 dst_sel:DWORD dst_unused:UNUSED_PAD src0_sel:WORD_1 src1_sel:DWORD
	buffer_store_dword v54, off, s[0:3], 0 offset:448 ; 4-byte Folded Spill
	v_mul_u32_u24_sdwa v54, v57, s17 dst_sel:DWORD dst_unused:UNUSED_PAD src0_sel:WORD_0 src1_sel:DWORD
	buffer_store_dword v54, off, s[0:3], 0 offset:452 ; 4-byte Folded Spill
	v_mul_u32_u24_sdwa v54, v57, s17 dst_sel:DWORD dst_unused:UNUSED_PAD src0_sel:WORD_1 src1_sel:DWORD
	buffer_store_dword v54, off, s[0:3], 0 offset:456 ; 4-byte Folded Spill
	v_mul_u32_u24_sdwa v54, v50, s17 dst_sel:DWORD dst_unused:UNUSED_PAD src0_sel:WORD_0 src1_sel:DWORD
	v_mul_u32_u24_sdwa v50, v50, s17 dst_sel:DWORD dst_unused:UNUSED_PAD src0_sel:WORD_1 src1_sel:DWORD
	buffer_store_dword v50, off, s[0:3], 0 offset:364 ; 4-byte Folded Spill
	v_mul_u32_u24_sdwa v50, v51, s17 dst_sel:DWORD dst_unused:UNUSED_PAD src0_sel:WORD_0 src1_sel:DWORD
	buffer_store_dword v50, off, s[0:3], 0 offset:368 ; 4-byte Folded Spill
	v_mul_u32_u24_sdwa v50, v51, s17 dst_sel:DWORD dst_unused:UNUSED_PAD src0_sel:WORD_1 src1_sel:DWORD
	buffer_store_dword v50, off, s[0:3], 0 offset:408 ; 4-byte Folded Spill
	v_mul_u32_u24_sdwa v50, v52, s17 dst_sel:DWORD dst_unused:UNUSED_PAD src0_sel:WORD_0 src1_sel:DWORD
	buffer_store_dword v50, off, s[0:3], 0 offset:412 ; 4-byte Folded Spill
	v_mul_u32_u24_sdwa v50, v52, s17 dst_sel:DWORD dst_unused:UNUSED_PAD src0_sel:WORD_1 src1_sel:DWORD
	buffer_store_dword v50, off, s[0:3], 0 offset:416 ; 4-byte Folded Spill
	v_mul_u32_u24_sdwa v50, v53, s17 dst_sel:DWORD dst_unused:UNUSED_PAD src0_sel:WORD_0 src1_sel:DWORD
	buffer_store_dword v50, off, s[0:3], 0 offset:420 ; 4-byte Folded Spill
	v_mul_u32_u24_sdwa v50, v53, s17 dst_sel:DWORD dst_unused:UNUSED_PAD src0_sel:WORD_1 src1_sel:DWORD
	buffer_store_dword v50, off, s[0:3], 0 offset:424 ; 4-byte Folded Spill
	;; [unrolled: 15-line block ×4, first 2 shown]
	buffer_load_dword v42, off, s[0:3], 0 offset:264 ; 4-byte Folded Reload
	v_mul_u32_u24_sdwa v121, v102, s17 dst_sel:DWORD dst_unused:UNUSED_PAD src0_sel:WORD_0 src1_sel:DWORD
	buffer_store_dword v46, off, s[0:3], 0 offset:268 ; 4-byte Folded Spill
	v_mul_u32_u24_sdwa v113, v102, s17 dst_sel:DWORD dst_unused:UNUSED_PAD src0_sel:WORD_1 src1_sel:DWORD
	v_mul_u32_u24_sdwa v111, v101, s17 dst_sel:DWORD dst_unused:UNUSED_PAD src0_sel:WORD_0 src1_sel:DWORD
	v_mul_u32_u24_sdwa v125, v101, s17 dst_sel:DWORD dst_unused:UNUSED_PAD src0_sel:WORD_1 src1_sel:DWORD
	v_mul_u32_u24_sdwa v102, v90, s17 dst_sel:DWORD dst_unused:UNUSED_PAD src0_sel:WORD_0 src1_sel:DWORD
	;; [unrolled: 2-line block ×4, first 2 shown]
	v_mul_u32_u24_sdwa v89, v89, s17 dst_sel:DWORD dst_unused:UNUSED_PAD src0_sel:WORD_1 src1_sel:DWORD
	v_mul_u32_u24_sdwa v69, v69, s17 dst_sel:DWORD dst_unused:UNUSED_PAD src0_sel:WORD_1 src1_sel:DWORD
	v_mul_u32_u24_sdwa v63, v64, s17 dst_sel:DWORD dst_unused:UNUSED_PAD src0_sel:WORD_0 src1_sel:DWORD
	v_mul_u32_u24_sdwa v64, v64, s17 dst_sel:DWORD dst_unused:UNUSED_PAD src0_sel:WORD_1 src1_sel:DWORD
	v_mul_u32_u24_sdwa v65, v65, s17 dst_sel:DWORD dst_unused:UNUSED_PAD src0_sel:WORD_1 src1_sel:DWORD
	;; [unrolled: 1-line block ×5, first 2 shown]
	buffer_store_dword v83, off, s[0:3], 0 offset:652 ; 4-byte Folded Spill
	buffer_store_dword v84, off, s[0:3], 0 offset:644 ; 4-byte Folded Spill
	buffer_store_dword v85, off, s[0:3], 0 offset:632 ; 4-byte Folded Spill
	buffer_store_dword v78, off, s[0:3], 0 offset:620 ; 4-byte Folded Spill
	buffer_store_dword v79, off, s[0:3], 0 offset:612 ; 4-byte Folded Spill
	buffer_store_dword v80, off, s[0:3], 0 offset:604 ; 4-byte Folded Spill
	buffer_store_dword v81, off, s[0:3], 0 offset:596 ; 4-byte Folded Spill
	buffer_store_dword v74, off, s[0:3], 0 offset:588 ; 4-byte Folded Spill
	buffer_store_dword v75, off, s[0:3], 0 offset:580 ; 4-byte Folded Spill
	buffer_store_dword v76, off, s[0:3], 0 offset:572 ; 4-byte Folded Spill
	buffer_store_dword v77, off, s[0:3], 0 offset:560 ; 4-byte Folded Spill
	buffer_store_dword v70, off, s[0:3], 0 offset:552 ; 4-byte Folded Spill
	buffer_store_dword v71, off, s[0:3], 0 offset:544 ; 4-byte Folded Spill
	buffer_store_dword v72, off, s[0:3], 0 offset:536 ; 4-byte Folded Spill
	buffer_store_dword v73, off, s[0:3], 0 offset:524 ; 4-byte Folded Spill
	buffer_store_dword v66, off, s[0:3], 0 offset:516 ; 4-byte Folded Spill
	buffer_store_dword v67, off, s[0:3], 0 offset:508 ; 4-byte Folded Spill
	buffer_store_dword v58, off, s[0:3], 0 offset:428 ; 4-byte Folded Spill
	buffer_store_dword v54, off, s[0:3], 0 offset:360 ; 4-byte Folded Spill
	buffer_store_dword v50, off, s[0:3], 0 offset:316 ; 4-byte Folded Spill
	s_waitcnt vmcnt(21)
	v_mul_u32_u24_e32 v49, 0x10001, v42
	buffer_load_dword v42, off, s[0:3], 0 offset:312 ; 4-byte Folded Reload
	s_waitcnt vmcnt(0)
	v_mul_u32_u24_e32 v48, 0x10001, v42
	buffer_load_dword v42, off, s[0:3], 0 offset:460 ; 4-byte Folded Reload
	s_waitcnt vmcnt(0)
	v_mul_u32_u24_e32 v47, 0x10001, v42
	buffer_load_dword v42, off, s[0:3], 0 offset:496 ; 4-byte Folded Reload
	s_waitcnt vmcnt(0)
	v_mul_u32_u24_e32 v46, 0x10001, v42
	buffer_load_dword v42, off, s[0:3], 0 offset:528 ; 4-byte Folded Reload
	s_waitcnt vmcnt(0)
	v_mul_u32_u24_e32 v45, 0x10001, v42
	buffer_load_dword v42, off, s[0:3], 0 offset:568 ; 4-byte Folded Reload
	s_waitcnt vmcnt(0)
	v_mul_u32_u24_e32 v44, 0x10001, v42
	buffer_load_dword v42, off, s[0:3], 0 offset:628 ; 4-byte Folded Reload
	s_waitcnt vmcnt(0)
	v_mul_u32_u24_e32 v43, 0x10001, v42
	buffer_load_dword v42, off, s[0:3], 0 offset:636 ; 4-byte Folded Reload
	s_waitcnt vmcnt(0)
	v_mul_u32_u24_e32 v42, 0x10001, v42
	s_and_saveexec_b64 s[12:13], s[10:11]
	s_cbranch_execz .LBB52_134
; %bb.133:
	v_mov_b32_e32 v50, 0
	buffer_store_dword v50, off, s[0:3], 0
	buffer_store_dword v50, off, s[0:3], 0 offset:4
	buffer_store_dword v50, off, s[0:3], 0 offset:8
	;; [unrolled: 1-line block ×3, first 2 shown]
	buffer_load_dword v51, off, s[0:3], 0 offset:256 ; 4-byte Folded Reload
	buffer_load_dword v52, off, s[0:3], 0 offset:260 ; 4-byte Folded Reload
	v_mov_b32_e32 v50, s16
	buffer_load_dword v53, off, s[0:3], 0 offset:236 ; 4-byte Folded Reload
	buffer_load_dword v54, off, s[0:3], 0 offset:244 ; 4-byte Folded Reload
	s_waitcnt vmcnt(3)
	v_add_co_u32_e32 v51, vcc, s8, v51
	s_waitcnt vmcnt(2)
	v_addc_co_u32_e32 v50, vcc, v50, v52, vcc
	buffer_load_dword v52, off, s[0:3], 0 offset:248 ; 4-byte Folded Reload
	s_waitcnt vmcnt(0)
	v_add_co_u32_e32 v52, vcc, v51, v52
	v_addc_co_u32_e32 v50, vcc, 0, v50, vcc
	v_mov_b32_e32 v51, s19
	v_cmp_gt_i32_e32 vcc, s30, v53
	v_cndmask_b32_e32 v51, v51, v50, vcc
	v_mov_b32_e32 v50, 0
	v_cndmask_b32_e32 v50, v50, v52, vcc
	flat_load_dwordx4 v[50:53], v[50:51]
	s_waitcnt vmcnt(0) lgkmcnt(0)
	ds_write_b128 v54, v[50:53]
.LBB52_134:
	s_or_b64 exec, exec, s[12:13]
	buffer_load_dword v50, off, s[0:3], 0 offset:16 ; 4-byte Folded Reload
	buffer_load_dword v52, off, s[0:3], 0 offset:72 ; 4-byte Folded Reload
	;; [unrolled: 1-line block ×9, first 2 shown]
	s_mov_b32 s8, 0x10001
	v_mov_b32_e32 v79, v17
	v_mov_b32_e32 v78, v16
	;; [unrolled: 1-line block ×8, first 2 shown]
	s_waitcnt vmcnt(8)
	v_pk_mul_f16 v50, v50, v49
	v_pk_fma_f16 v50, v38, v121, v50
	s_waitcnt vmcnt(0)
	v_pk_mul_f16 v49, v51, v49
	buffer_load_dword v51, off, s[0:3], 0 offset:68 ; 4-byte Folded Reload
	v_pk_fma_f16 v49, v39, v121, v49
	v_pk_fma_f16 v49, v41, v107, v49
	s_waitcnt vmcnt(0)
	v_pk_mul_f16 v51, v51, v48
	v_pk_mul_f16 v48, v52, v48
	buffer_load_dword v52, off, s[0:3], 0 offset:60 ; 4-byte Folded Reload
	v_pk_fma_f16 v51, v38, v113, v51
	v_pk_fma_f16 v48, v39, v113, v48
	v_pk_fma_f16 v48, v41, v124, v48
	s_waitcnt vmcnt(0)
	v_pk_mul_f16 v52, v52, v47
	v_pk_mul_f16 v47, v53, v47
	buffer_load_dword v53, off, s[0:3], 0 offset:52 ; 4-byte Folded Reload
	v_pk_fma_f16 v52, v38, v118, v52
	;; [unrolled: 7-line block ×3, first 2 shown]
	v_pk_fma_f16 v46, v39, v117, v46
	v_pk_fma_f16 v46, v41, v123, v46
	v_pk_fma_f16 v46, v35, v126, v46
	v_pk_fma_f16 v46, v37, v99, v46
	s_waitcnt vmcnt(0)
	v_pk_mul_f16 v54, v54, v45
	v_pk_mul_f16 v45, v55, v45
	buffer_load_dword v55, off, s[0:3], 0 offset:36 ; 4-byte Folded Reload
	v_pk_fma_f16 v54, v38, v116, v54
	v_pk_fma_f16 v45, v39, v116, v45
	v_pk_fma_f16 v45, v41, v120, v45
	v_pk_fma_f16 v45, v35, v112, v45
	v_pk_fma_f16 v45, v37, v98, v45
	v_pk_fma_f16 v45, v31, v90, v45
	s_waitcnt vmcnt(0)
	v_pk_mul_f16 v55, v55, v44
	v_pk_mul_f16 v44, v56, v44
	buffer_load_dword v56, off, s[0:3], 0 offset:28 ; 4-byte Folded Reload
	v_pk_fma_f16 v55, v38, v115, v55
	v_pk_fma_f16 v44, v39, v115, v44
	;; [unrolled: 10-line block ×3, first 2 shown]
	v_pk_fma_f16 v43, v41, v111, v43
	v_pk_fma_f16 v43, v35, v104, v43
	;; [unrolled: 1-line block ×4, first 2 shown]
	s_waitcnt vmcnt(0)
	v_pk_mul_f16 v57, v57, v42
	v_pk_mul_f16 v42, v58, v42
	v_pk_fma_f16 v38, v38, v119, v57
	v_pk_fma_f16 v39, v39, v119, v42
	;; [unrolled: 1-line block ×31, first 2 shown]
	buffer_load_dword v39, off, s[0:3], 0 offset:656 ; 4-byte Folded Reload
	v_pk_fma_f16 v47, v34, v126, v52
	v_pk_fma_f16 v49, v34, v112, v53
	;; [unrolled: 1-line block ×23, first 2 shown]
	s_waitcnt vmcnt(0)
	v_pk_fma_f16 v38, v32, v39, v40
	v_pk_fma_f16 v39, v33, v39, v41
	buffer_load_dword v41, off, s[0:3], 0 offset:652 ; 4-byte Folded Reload
	s_waitcnt vmcnt(0)
	v_pk_fma_f16 v40, v32, v41, v42
	v_pk_fma_f16 v41, v33, v41, v45
	buffer_load_dword v45, off, s[0:3], 0 offset:648 ; 4-byte Folded Reload
	s_waitcnt vmcnt(0)
	v_pk_fma_f16 v42, v32, v45, v46
	buffer_load_dword v46, off, s[0:3], 0 offset:644 ; 4-byte Folded Reload
	v_pk_fma_f16 v44, v33, v45, v44
	s_waitcnt vmcnt(0)
	v_pk_fma_f16 v45, v32, v46, v47
	v_pk_fma_f16 v43, v33, v46, v43
	buffer_load_dword v46, off, s[0:3], 0 offset:640 ; 4-byte Folded Reload
	s_waitcnt vmcnt(0)
	v_pk_fma_f16 v31, v33, v46, v31
	buffer_load_dword v33, off, s[0:3], 0 offset:632 ; 4-byte Folded Reload
	v_pk_fma_f16 v30, v32, v46, v30
	;; [unrolled: 8-line block ×3, first 2 shown]
	s_waitcnt vmcnt(0)
	v_pk_fma_f16 v35, v26, v36, v37
	buffer_load_dword v37, off, s[0:3], 0 offset:616 ; 4-byte Folded Reload
	v_pk_fma_f16 v0, v27, v36, v0
	s_waitcnt vmcnt(0)
	v_pk_fma_f16 v36, v26, v37, v38
	v_pk_fma_f16 v37, v27, v37, v39
	buffer_load_dword v39, off, s[0:3], 0 offset:612 ; 4-byte Folded Reload
	s_waitcnt vmcnt(0)
	v_pk_fma_f16 v38, v26, v39, v40
	v_pk_fma_f16 v39, v27, v39, v41
	buffer_load_dword v41, off, s[0:3], 0 offset:608 ; 4-byte Folded Reload
	;; [unrolled: 4-line block ×4, first 2 shown]
	buffer_load_dword v45, off, s[0:3], 0 offset:524 ; 4-byte Folded Reload
	s_waitcnt vmcnt(1)
	v_pk_fma_f16 v27, v27, v44, v31
	buffer_load_dword v31, off, s[0:3], 0 offset:596 ; 4-byte Folded Reload
	v_pk_fma_f16 v26, v26, v44, v30
	buffer_load_dword v44, off, s[0:3], 0 offset:520 ; 4-byte Folded Reload
	s_waitcnt vmcnt(1)
	v_pk_fma_f16 v30, v28, v31, v32
	v_pk_fma_f16 v31, v29, v31, v33
	buffer_load_dword v33, off, s[0:3], 0 offset:592 ; 4-byte Folded Reload
	s_waitcnt vmcnt(0)
	v_pk_fma_f16 v32, v28, v33, v34
	buffer_load_dword v34, off, s[0:3], 0 offset:588 ; 4-byte Folded Reload
	v_pk_fma_f16 v9, v29, v33, v9
	s_waitcnt vmcnt(0)
	v_pk_fma_f16 v33, v28, v34, v35
	buffer_load_dword v35, off, s[0:3], 0 offset:584 ; 4-byte Folded Reload
	v_pk_fma_f16 v0, v29, v34, v0
	s_waitcnt vmcnt(0)
	v_pk_fma_f16 v34, v28, v35, v36
	v_pk_fma_f16 v35, v29, v35, v37
	buffer_load_dword v37, off, s[0:3], 0 offset:580 ; 4-byte Folded Reload
	s_waitcnt vmcnt(0)
	v_pk_fma_f16 v36, v28, v37, v38
	v_pk_fma_f16 v37, v29, v37, v39
	buffer_load_dword v39, off, s[0:3], 0 offset:576 ; 4-byte Folded Reload
	;; [unrolled: 4-line block ×3, first 2 shown]
	s_waitcnt vmcnt(0)
	v_pk_fma_f16 v40, v28, v41, v42
	buffer_load_dword v42, off, s[0:3], 0 offset:564 ; 4-byte Folded Reload
	v_pk_fma_f16 v41, v29, v41, v43
	buffer_load_dword v43, off, s[0:3], 0 offset:516 ; 4-byte Folded Reload
	s_waitcnt vmcnt(1)
	v_pk_fma_f16 v27, v29, v42, v27
	buffer_load_dword v29, off, s[0:3], 0 offset:560 ; 4-byte Folded Reload
	v_pk_fma_f16 v26, v28, v42, v26
	buffer_load_dword v42, off, s[0:3], 0 offset:536 ; 4-byte Folded Reload
	s_waitcnt vmcnt(1)
	v_pk_fma_f16 v28, v22, v29, v30
	v_pk_fma_f16 v29, v23, v29, v31
	buffer_load_dword v31, off, s[0:3], 0 offset:556 ; 4-byte Folded Reload
	s_waitcnt vmcnt(0)
	v_pk_fma_f16 v30, v22, v31, v32
	buffer_load_dword v32, off, s[0:3], 0 offset:552 ; 4-byte Folded Reload
	v_pk_fma_f16 v9, v23, v31, v9
	v_pk_fma_f16 v9, v25, v44, v9
	;; [unrolled: 1-line block ×4, first 2 shown]
	s_waitcnt vmcnt(0)
	v_pk_fma_f16 v31, v22, v32, v33
	buffer_load_dword v33, off, s[0:3], 0 offset:548 ; 4-byte Folded Reload
	v_pk_fma_f16 v0, v23, v32, v0
	s_waitcnt vmcnt(0)
	v_pk_fma_f16 v32, v22, v33, v34
	v_pk_fma_f16 v33, v23, v33, v35
	buffer_load_dword v35, off, s[0:3], 0 offset:544 ; 4-byte Folded Reload
	s_waitcnt vmcnt(0)
	v_pk_fma_f16 v34, v22, v35, v36
	v_pk_fma_f16 v35, v23, v35, v37
	buffer_load_dword v37, off, s[0:3], 0 offset:540 ; 4-byte Folded Reload
	;; [unrolled: 4-line block ×3, first 2 shown]
	v_pk_fma_f16 v38, v22, v42, v40
	buffer_load_dword v40, off, s[0:3], 0 offset:504 ; 4-byte Folded Reload
	s_waitcnt vmcnt(1)
	v_pk_fma_f16 v22, v22, v39, v26
	v_pk_fma_f16 v26, v23, v42, v41
	;; [unrolled: 1-line block ×3, first 2 shown]
	buffer_load_dword v42, off, s[0:3], 0 offset:512 ; 4-byte Folded Reload
	buffer_load_dword v41, off, s[0:3], 0 offset:508 ; 4-byte Folded Reload
	;; [unrolled: 1-line block ×3, first 2 shown]
	v_pk_fma_f16 v27, v24, v45, v28
	v_pk_fma_f16 v28, v24, v44, v30
	;; [unrolled: 1-line block ×4, first 2 shown]
	s_waitcnt vmcnt(3)
	v_pk_fma_f16 v26, v25, v40, v26
	v_pk_fma_f16 v0, v25, v43, v0
	;; [unrolled: 1-line block ×3, first 2 shown]
	s_waitcnt vmcnt(2)
	v_pk_fma_f16 v31, v24, v42, v32
	s_waitcnt vmcnt(1)
	v_pk_fma_f16 v32, v24, v41, v34
	;; [unrolled: 2-line block ×3, first 2 shown]
	v_pk_fma_f16 v36, v24, v40, v38
	v_pk_fma_f16 v24, v25, v45, v29
	;; [unrolled: 1-line block ×5, first 2 shown]
	buffer_load_dword v37, off, s[0:3], 0 offset:480 ; 4-byte Folded Reload
	buffer_load_dword v38, off, s[0:3], 0 offset:484 ; 4-byte Folded Reload
	;; [unrolled: 1-line block ×4, first 2 shown]
	s_waitcnt vmcnt(3)
	v_pk_fma_f16 v25, v18, v37, v27
	v_pk_fma_f16 v27, v18, v68, v28
	s_waitcnt vmcnt(2)
	v_pk_fma_f16 v28, v18, v38, v30
	s_waitcnt vmcnt(1)
	v_pk_fma_f16 v30, v18, v39, v31
	v_pk_fma_f16 v31, v18, v63, v32
	v_pk_fma_f16 v32, v18, v64, v34
	s_waitcnt vmcnt(0)
	v_pk_fma_f16 v34, v18, v40, v36
	v_pk_fma_f16 v18, v18, v65, v22
	;; [unrolled: 1-line block ×7, first 2 shown]
	buffer_load_dword v35, off, s[0:3], 0 offset:464 ; 4-byte Folded Reload
	buffer_load_dword v36, off, s[0:3], 0 offset:468 ; 4-byte Folded Reload
	;; [unrolled: 1-line block ×4, first 2 shown]
	v_pk_fma_f16 v26, v19, v40, v26
	v_pk_fma_f16 v19, v19, v65, v23
	;; [unrolled: 1-line block ×3, first 2 shown]
	buffer_load_dword v39, off, s[0:3], 0 offset:452 ; 4-byte Folded Reload
	v_pk_fma_f16 v19, v21, v61, v19
	s_waitcnt vmcnt(4)
	v_pk_fma_f16 v23, v20, v35, v25
	v_pk_fma_f16 v25, v20, v62, v27
	s_waitcnt vmcnt(3)
	v_pk_fma_f16 v27, v20, v36, v28
	;; [unrolled: 3-line block ×4, first 2 shown]
	v_pk_fma_f16 v20, v21, v35, v22
	v_pk_fma_f16 v0, v21, v36, v0
	v_pk_fma_f16 v22, v21, v59, v24
	v_pk_fma_f16 v24, v21, v37, v29
	v_pk_fma_f16 v29, v21, v60, v33
	v_pk_fma_f16 v26, v21, v38, v26
	buffer_load_dword v33, off, s[0:3], 0 offset:428 ; 4-byte Folded Reload
	buffer_load_dword v34, off, s[0:3], 0 offset:432 ; 4-byte Folded Reload
	;; [unrolled: 1-line block ×6, first 2 shown]
	s_waitcnt vmcnt(6)
	v_pk_fma_f16 v26, v6, v39, v26
	s_waitcnt vmcnt(5)
	v_pk_fma_f16 v21, v5, v33, v23
	;; [unrolled: 2-line block ×7, first 2 shown]
	v_pk_fma_f16 v31, v5, v39, v32
	buffer_load_dword v32, off, s[0:3], 0 offset:456 ; 4-byte Folded Reload
	v_pk_fma_f16 v9, v6, v34, v9
	v_pk_fma_f16 v0, v6, v35, v0
	buffer_load_dword v34, off, s[0:3], 0 offset:368 ; 4-byte Folded Reload
	buffer_load_dword v35, off, s[0:3], 0 offset:408 ; 4-byte Folded Reload
	s_waitcnt vmcnt(2)
	v_pk_fma_f16 v5, v5, v32, v18
	v_pk_fma_f16 v18, v6, v33, v20
	;; [unrolled: 1-line block ×6, first 2 shown]
	buffer_load_dword v32, off, s[0:3], 0 offset:360 ; 4-byte Folded Reload
	buffer_load_dword v33, off, s[0:3], 0 offset:364 ; 4-byte Folded Reload
	;; [unrolled: 1-line block ×4, first 2 shown]
	s_waitcnt vmcnt(5)
	v_pk_fma_f16 v0, v8, v34, v0
	s_waitcnt vmcnt(3)
	v_pk_fma_f16 v19, v7, v32, v21
	;; [unrolled: 2-line block ×3, first 2 shown]
	v_pk_fma_f16 v23, v7, v34, v25
	v_pk_fma_f16 v25, v7, v35, v27
	s_waitcnt vmcnt(1)
	v_pk_fma_f16 v27, v7, v36, v28
	s_waitcnt vmcnt(0)
	v_pk_fma_f16 v28, v7, v37, v30
	buffer_load_dword v30, off, s[0:3], 0 offset:420 ; 4-byte Folded Reload
	v_pk_fma_f16 v9, v8, v33, v9
	buffer_load_dword v33, off, s[0:3], 0 offset:328 ; 4-byte Folded Reload
	buffer_load_dword v34, off, s[0:3], 0 offset:340 ; 4-byte Folded Reload
	s_waitcnt vmcnt(2)
	v_pk_fma_f16 v29, v7, v30, v31
	buffer_load_dword v31, off, s[0:3], 0 offset:424 ; 4-byte Folded Reload
	s_waitcnt vmcnt(0)
	v_pk_fma_f16 v5, v7, v31, v5
	v_pk_fma_f16 v7, v8, v32, v18
	;; [unrolled: 1-line block ×7, first 2 shown]
	buffer_load_dword v30, off, s[0:3], 0 offset:316 ; 4-byte Folded Reload
	buffer_load_dword v31, off, s[0:3], 0 offset:320 ; 4-byte Folded Reload
	;; [unrolled: 1-line block ×4, first 2 shown]
	s_waitcnt vmcnt(3)
	v_pk_fma_f16 v8, v1, v30, v19
	s_waitcnt vmcnt(2)
	v_pk_fma_f16 v19, v1, v31, v21
	;; [unrolled: 2-line block ×4, first 2 shown]
	buffer_load_dword v28, off, s[0:3], 0 offset:352 ; 4-byte Folded Reload
	v_pk_fma_f16 v23, v1, v33, v25
	v_pk_fma_f16 v25, v1, v34, v27
	;; [unrolled: 1-line block ×3, first 2 shown]
	s_waitcnt vmcnt(0)
	v_pk_fma_f16 v27, v1, v28, v29
	buffer_load_dword v29, off, s[0:3], 0 offset:356 ; 4-byte Folded Reload
	s_waitcnt vmcnt(0)
	v_pk_fma_f16 v1, v1, v29, v5
	v_pk_fma_f16 v5, v2, v30, v7
	;; [unrolled: 1-line block ×8, first 2 shown]
	buffer_load_dword v6, off, s[0:3], 0 offset:268 ; 4-byte Folded Reload
	buffer_load_dword v24, off, s[0:3], 0 offset:300 ; 4-byte Folded Reload
	s_waitcnt vmcnt(1)
	v_pk_fma_f16 v30, v3, v6, v8
	buffer_load_dword v8, off, s[0:3], 0 offset:276 ; 4-byte Folded Reload
	s_waitcnt vmcnt(1)
	v_pk_fma_f16 v35, v3, v24, v26
	buffer_load_dword v26, off, s[0:3], 0 offset:308 ; 4-byte Folded Reload
	v_pk_fma_f16 v38, v4, v6, v5
	v_pk_fma_f16 v42, v4, v24, v20
	s_waitcnt vmcnt(1)
	v_pk_fma_f16 v31, v3, v8, v19
	buffer_load_dword v19, off, s[0:3], 0 offset:284 ; 4-byte Folded Reload
	s_waitcnt vmcnt(1)
	v_pk_fma_f16 v37, v3, v26, v1
	v_pk_fma_f16 v39, v4, v8, v7
	;; [unrolled: 1-line block ×3, first 2 shown]
	s_waitcnt vmcnt(0)
	v_pk_fma_f16 v32, v3, v19, v21
	buffer_load_dword v21, off, s[0:3], 0 offset:292 ; 4-byte Folded Reload
	v_pk_fma_f16 v40, v4, v19, v0
	s_waitcnt vmcnt(0)
	v_pk_fma_f16 v33, v3, v21, v23
	buffer_load_dword v23, off, s[0:3], 0 offset:296 ; 4-byte Folded Reload
	v_pk_fma_f16 v9, v4, v21, v9
	s_waitcnt vmcnt(0)
	v_pk_fma_f16 v34, v3, v23, v25
	buffer_load_dword v25, off, s[0:3], 0 offset:304 ; 4-byte Folded Reload
	buffer_load_dword v0, off, s[0:3], 0 offset:88 ; 4-byte Folded Reload
	;; [unrolled: 1-line block ×4, first 2 shown]
	v_pk_fma_f16 v41, v4, v23, v18
	s_waitcnt vmcnt(3)
	v_pk_fma_f16 v36, v3, v25, v27
	s_waitcnt vmcnt(0)
	v_fmac_f32_e32 v124, v0, v1
	buffer_load_dword v0, off, s[0:3], 0 offset:92 ; 4-byte Folded Reload
	buffer_load_dword v125, off, s[0:3], 0 offset:168 ; 4-byte Folded Reload
	;; [unrolled: 1-line block ×3, first 2 shown]
	v_pk_fma_f16 v43, v4, v25, v22
	s_waitcnt vmcnt(0)
	v_fmac_f32_e32 v125, v0, v1
	buffer_load_dword v0, off, s[0:3], 0 offset:96 ; 4-byte Folded Reload
	buffer_load_dword v126, off, s[0:3], 0 offset:172 ; 4-byte Folded Reload
	buffer_load_dword v1, off, s[0:3], 0 offset:212 ; 4-byte Folded Reload
	s_waitcnt vmcnt(0)
	v_fmac_f32_e32 v126, v0, v1
	buffer_load_dword v0, off, s[0:3], 0 offset:84 ; 4-byte Folded Reload
	buffer_load_dword v100, off, s[0:3], 0 offset:176 ; 4-byte Folded Reload
	buffer_load_dword v1, off, s[0:3], 0 offset:216 ; 4-byte Folded Reload
	;; [unrolled: 5-line block ×6, first 2 shown]
	s_waitcnt vmcnt(0) lgkmcnt(0)
	s_barrier
	buffer_load_dword v49, off, s[0:3], 0 offset:196 ; 4-byte Folded Reload
	v_fmac_f32_e32 v81, v0, v1
	s_waitcnt vmcnt(0)
	v_add_u32_e32 v0, 0x3800, v49
	ds_read2_b64 v[1:4], v0 offset1:28
	ds_read_b128 v[5:8], v108 offset:256
	ds_read_b128 v[18:21], v108 offset:272
	;; [unrolled: 1-line block ×4, first 2 shown]
	s_waitcnt lgkmcnt(3)
	v_mul_u32_u24_sdwa v45, v5, s8 dst_sel:DWORD dst_unused:UNUSED_PAD src0_sel:WORD_0 src1_sel:DWORD
	v_mul_u32_u24_sdwa v5, v5, s8 dst_sel:DWORD dst_unused:UNUSED_PAD src0_sel:WORD_1 src1_sel:DWORD
	v_mul_u32_u24_sdwa v46, v6, s8 dst_sel:DWORD dst_unused:UNUSED_PAD src0_sel:WORD_0 src1_sel:DWORD
	v_mul_u32_u24_sdwa v6, v6, s8 dst_sel:DWORD dst_unused:UNUSED_PAD src0_sel:WORD_1 src1_sel:DWORD
	;; [unrolled: 2-line block ×4, first 2 shown]
	v_pk_fma_f16 v30, v1, v45, v30
	v_pk_fma_f16 v31, v1, v5, v31
	;; [unrolled: 1-line block ×16, first 2 shown]
	s_waitcnt lgkmcnt(2)
	v_mul_u32_u24_sdwa v8, v18, s8 dst_sel:DWORD dst_unused:UNUSED_PAD src0_sel:WORD_0 src1_sel:DWORD
	v_mul_u32_u24_sdwa v18, v18, s8 dst_sel:DWORD dst_unused:UNUSED_PAD src0_sel:WORD_1 src1_sel:DWORD
	v_mul_u32_u24_sdwa v40, v19, s8 dst_sel:DWORD dst_unused:UNUSED_PAD src0_sel:WORD_0 src1_sel:DWORD
	v_mul_u32_u24_sdwa v19, v19, s8 dst_sel:DWORD dst_unused:UNUSED_PAD src0_sel:WORD_1 src1_sel:DWORD
	;; [unrolled: 2-line block ×4, first 2 shown]
	v_pk_fma_f16 v30, v3, v8, v30
	v_pk_fma_f16 v31, v3, v18, v31
	;; [unrolled: 1-line block ×16, first 2 shown]
	ds_read2_b64 v[1:4], v0 offset0:56 offset1:84
	s_waitcnt lgkmcnt(2)
	v_mul_u32_u24_sdwa v21, v22, s8 dst_sel:DWORD dst_unused:UNUSED_PAD src0_sel:WORD_0 src1_sel:DWORD
	v_mul_u32_u24_sdwa v22, v22, s8 dst_sel:DWORD dst_unused:UNUSED_PAD src0_sel:WORD_1 src1_sel:DWORD
	v_mul_u32_u24_sdwa v37, v23, s8 dst_sel:DWORD dst_unused:UNUSED_PAD src0_sel:WORD_0 src1_sel:DWORD
	v_mul_u32_u24_sdwa v23, v23, s8 dst_sel:DWORD dst_unused:UNUSED_PAD src0_sel:WORD_1 src1_sel:DWORD
	;; [unrolled: 2-line block ×4, first 2 shown]
	s_waitcnt lgkmcnt(0)
	v_pk_fma_f16 v30, v1, v21, v30
	v_pk_fma_f16 v31, v1, v22, v31
	;; [unrolled: 1-line block ×16, first 2 shown]
	v_mul_u32_u24_sdwa v20, v26, s8 dst_sel:DWORD dst_unused:UNUSED_PAD src0_sel:WORD_0 src1_sel:DWORD
	v_mul_u32_u24_sdwa v21, v26, s8 dst_sel:DWORD dst_unused:UNUSED_PAD src0_sel:WORD_1 src1_sel:DWORD
	v_mul_u32_u24_sdwa v22, v27, s8 dst_sel:DWORD dst_unused:UNUSED_PAD src0_sel:WORD_0 src1_sel:DWORD
	v_mul_u32_u24_sdwa v23, v27, s8 dst_sel:DWORD dst_unused:UNUSED_PAD src0_sel:WORD_1 src1_sel:DWORD
	;; [unrolled: 2-line block ×4, first 2 shown]
	v_pk_fma_f16 v28, v3, v20, v30
	v_pk_fma_f16 v29, v3, v21, v31
	;; [unrolled: 1-line block ×11, first 2 shown]
	ds_read_b128 v[5:8], v108 offset:320
	v_pk_fma_f16 v33, v3, v25, v35
	v_pk_fma_f16 v35, v3, v27, v1
	;; [unrolled: 1-line block ×5, first 2 shown]
	ds_read2_b64 v[1:4], v0 offset0:112 offset1:140
	ds_read_b128 v[18:21], v108 offset:336
	s_waitcnt lgkmcnt(2)
	v_mul_u32_u24_sdwa v27, v5, s8 dst_sel:DWORD dst_unused:UNUSED_PAD src0_sel:WORD_0 src1_sel:DWORD
	v_mul_u32_u24_sdwa v5, v5, s8 dst_sel:DWORD dst_unused:UNUSED_PAD src0_sel:WORD_1 src1_sel:DWORD
	v_mul_u32_u24_sdwa v38, v6, s8 dst_sel:DWORD dst_unused:UNUSED_PAD src0_sel:WORD_0 src1_sel:DWORD
	v_mul_u32_u24_sdwa v6, v6, s8 dst_sel:DWORD dst_unused:UNUSED_PAD src0_sel:WORD_1 src1_sel:DWORD
	;; [unrolled: 2-line block ×4, first 2 shown]
	s_waitcnt lgkmcnt(1)
	v_pk_fma_f16 v28, v1, v27, v28
	v_pk_fma_f16 v29, v1, v5, v29
	;; [unrolled: 1-line block ×16, first 2 shown]
	s_waitcnt lgkmcnt(0)
	v_mul_u32_u24_sdwa v8, v18, s8 dst_sel:DWORD dst_unused:UNUSED_PAD src0_sel:WORD_0 src1_sel:DWORD
	v_mul_u32_u24_sdwa v18, v18, s8 dst_sel:DWORD dst_unused:UNUSED_PAD src0_sel:WORD_1 src1_sel:DWORD
	v_mul_u32_u24_sdwa v24, v19, s8 dst_sel:DWORD dst_unused:UNUSED_PAD src0_sel:WORD_0 src1_sel:DWORD
	v_mul_u32_u24_sdwa v19, v19, s8 dst_sel:DWORD dst_unused:UNUSED_PAD src0_sel:WORD_1 src1_sel:DWORD
	v_mul_u32_u24_sdwa v25, v20, s8 dst_sel:DWORD dst_unused:UNUSED_PAD src0_sel:WORD_0 src1_sel:DWORD
	v_mul_u32_u24_sdwa v20, v20, s8 dst_sel:DWORD dst_unused:UNUSED_PAD src0_sel:WORD_1 src1_sel:DWORD
	v_mul_u32_u24_sdwa v26, v21, s8 dst_sel:DWORD dst_unused:UNUSED_PAD src0_sel:WORD_0 src1_sel:DWORD
	v_mul_u32_u24_sdwa v21, v21, s8 dst_sel:DWORD dst_unused:UNUSED_PAD src0_sel:WORD_1 src1_sel:DWORD
	v_pk_fma_f16 v28, v3, v8, v28
	v_pk_fma_f16 v30, v3, v24, v30
	;; [unrolled: 1-line block ×9, first 2 shown]
	ds_read_b128 v[5:8], v108 offset:352
	v_pk_fma_f16 v29, v3, v18, v29
	v_pk_fma_f16 v31, v3, v19, v31
	;; [unrolled: 1-line block ×7, first 2 shown]
	ds_read2_b64 v[1:4], v0 offset0:168 offset1:196
	ds_read_b128 v[18:21], v108 offset:368
	s_waitcnt lgkmcnt(2)
	v_mul_u32_u24_sdwa v37, v5, s8 dst_sel:DWORD dst_unused:UNUSED_PAD src0_sel:WORD_0 src1_sel:DWORD
	v_mul_u32_u24_sdwa v5, v5, s8 dst_sel:DWORD dst_unused:UNUSED_PAD src0_sel:WORD_1 src1_sel:DWORD
	v_mul_u32_u24_sdwa v38, v6, s8 dst_sel:DWORD dst_unused:UNUSED_PAD src0_sel:WORD_0 src1_sel:DWORD
	v_mul_u32_u24_sdwa v6, v6, s8 dst_sel:DWORD dst_unused:UNUSED_PAD src0_sel:WORD_1 src1_sel:DWORD
	;; [unrolled: 2-line block ×4, first 2 shown]
	s_waitcnt lgkmcnt(1)
	v_pk_fma_f16 v28, v1, v37, v28
	v_pk_fma_f16 v29, v1, v5, v29
	;; [unrolled: 1-line block ×16, first 2 shown]
	s_waitcnt lgkmcnt(0)
	v_mul_u32_u24_sdwa v8, v18, s8 dst_sel:DWORD dst_unused:UNUSED_PAD src0_sel:WORD_0 src1_sel:DWORD
	v_mul_u32_u24_sdwa v18, v18, s8 dst_sel:DWORD dst_unused:UNUSED_PAD src0_sel:WORD_1 src1_sel:DWORD
	v_mul_u32_u24_sdwa v24, v19, s8 dst_sel:DWORD dst_unused:UNUSED_PAD src0_sel:WORD_0 src1_sel:DWORD
	v_mul_u32_u24_sdwa v19, v19, s8 dst_sel:DWORD dst_unused:UNUSED_PAD src0_sel:WORD_1 src1_sel:DWORD
	;; [unrolled: 2-line block ×4, first 2 shown]
	v_pk_fma_f16 v28, v3, v8, v28
	v_pk_fma_f16 v30, v3, v24, v30
	;; [unrolled: 1-line block ×9, first 2 shown]
	ds_read_b128 v[5:8], v108 offset:384
	v_pk_fma_f16 v29, v3, v18, v29
	v_pk_fma_f16 v31, v3, v19, v31
	;; [unrolled: 1-line block ×7, first 2 shown]
	ds_read2_b64 v[0:3], v0 offset0:224 offset1:252
	ds_read_b128 v[18:21], v108 offset:400
	s_waitcnt lgkmcnt(2)
	v_mul_u32_u24_sdwa v26, v5, s8 dst_sel:DWORD dst_unused:UNUSED_PAD src0_sel:WORD_0 src1_sel:DWORD
	v_mul_u32_u24_sdwa v5, v5, s8 dst_sel:DWORD dst_unused:UNUSED_PAD src0_sel:WORD_1 src1_sel:DWORD
	v_mul_u32_u24_sdwa v37, v6, s8 dst_sel:DWORD dst_unused:UNUSED_PAD src0_sel:WORD_0 src1_sel:DWORD
	v_mul_u32_u24_sdwa v6, v6, s8 dst_sel:DWORD dst_unused:UNUSED_PAD src0_sel:WORD_1 src1_sel:DWORD
	;; [unrolled: 2-line block ×4, first 2 shown]
	s_waitcnt lgkmcnt(1)
	v_pk_fma_f16 v28, v0, v26, v28
	v_pk_fma_f16 v29, v0, v5, v29
	;; [unrolled: 1-line block ×16, first 2 shown]
	s_waitcnt lgkmcnt(0)
	v_mul_u32_u24_sdwa v4, v18, s8 dst_sel:DWORD dst_unused:UNUSED_PAD src0_sel:WORD_0 src1_sel:DWORD
	v_mul_u32_u24_sdwa v8, v18, s8 dst_sel:DWORD dst_unused:UNUSED_PAD src0_sel:WORD_1 src1_sel:DWORD
	v_mul_u32_u24_sdwa v18, v19, s8 dst_sel:DWORD dst_unused:UNUSED_PAD src0_sel:WORD_0 src1_sel:DWORD
	v_mul_u32_u24_sdwa v19, v19, s8 dst_sel:DWORD dst_unused:UNUSED_PAD src0_sel:WORD_1 src1_sel:DWORD
	;; [unrolled: 2-line block ×4, first 2 shown]
	v_pk_fma_f16 v27, v2, v4, v28
	v_pk_fma_f16 v28, v2, v8, v29
	;; [unrolled: 1-line block ×10, first 2 shown]
	ds_read_b128 v[4:7], v108 offset:416
	v_add_u32_e32 v36, 0x4000, v49
	v_pk_fma_f16 v32, v2, v20, v33
	v_pk_fma_f16 v33, v2, v25, v34
	;; [unrolled: 1-line block ×6, first 2 shown]
	ds_read2_b64 v[0:3], v36 offset0:24 offset1:52
	ds_read_b128 v[18:21], v108 offset:432
	s_waitcnt lgkmcnt(2)
	v_mul_u32_u24_sdwa v37, v4, s8 dst_sel:DWORD dst_unused:UNUSED_PAD src0_sel:WORD_0 src1_sel:DWORD
	v_mul_u32_u24_sdwa v4, v4, s8 dst_sel:DWORD dst_unused:UNUSED_PAD src0_sel:WORD_1 src1_sel:DWORD
	v_mul_u32_u24_sdwa v38, v5, s8 dst_sel:DWORD dst_unused:UNUSED_PAD src0_sel:WORD_0 src1_sel:DWORD
	v_mul_u32_u24_sdwa v5, v5, s8 dst_sel:DWORD dst_unused:UNUSED_PAD src0_sel:WORD_1 src1_sel:DWORD
	;; [unrolled: 2-line block ×4, first 2 shown]
	s_waitcnt lgkmcnt(1)
	v_pk_fma_f16 v27, v0, v37, v27
	v_pk_fma_f16 v28, v0, v4, v28
	;; [unrolled: 1-line block ×16, first 2 shown]
	s_waitcnt lgkmcnt(0)
	v_mul_u32_u24_sdwa v7, v18, s8 dst_sel:DWORD dst_unused:UNUSED_PAD src0_sel:WORD_0 src1_sel:DWORD
	v_mul_u32_u24_sdwa v18, v18, s8 dst_sel:DWORD dst_unused:UNUSED_PAD src0_sel:WORD_1 src1_sel:DWORD
	v_mul_u32_u24_sdwa v23, v19, s8 dst_sel:DWORD dst_unused:UNUSED_PAD src0_sel:WORD_0 src1_sel:DWORD
	v_mul_u32_u24_sdwa v19, v19, s8 dst_sel:DWORD dst_unused:UNUSED_PAD src0_sel:WORD_1 src1_sel:DWORD
	;; [unrolled: 2-line block ×4, first 2 shown]
	v_pk_fma_f16 v27, v2, v7, v27
	v_pk_fma_f16 v29, v2, v23, v29
	;; [unrolled: 1-line block ×9, first 2 shown]
	ds_read_b128 v[4:7], v108 offset:448
	v_pk_fma_f16 v28, v2, v18, v28
	v_pk_fma_f16 v30, v2, v19, v30
	;; [unrolled: 1-line block ×7, first 2 shown]
	ds_read2_b64 v[0:3], v36 offset0:80 offset1:108
	ds_read_b128 v[18:21], v108 offset:464
	s_waitcnt lgkmcnt(2)
	v_mul_u32_u24_sdwa v37, v4, s8 dst_sel:DWORD dst_unused:UNUSED_PAD src0_sel:WORD_0 src1_sel:DWORD
	v_mul_u32_u24_sdwa v4, v4, s8 dst_sel:DWORD dst_unused:UNUSED_PAD src0_sel:WORD_1 src1_sel:DWORD
	v_mul_u32_u24_sdwa v38, v5, s8 dst_sel:DWORD dst_unused:UNUSED_PAD src0_sel:WORD_0 src1_sel:DWORD
	v_mul_u32_u24_sdwa v5, v5, s8 dst_sel:DWORD dst_unused:UNUSED_PAD src0_sel:WORD_1 src1_sel:DWORD
	;; [unrolled: 2-line block ×4, first 2 shown]
	s_waitcnt lgkmcnt(1)
	v_pk_fma_f16 v27, v0, v37, v27
	v_pk_fma_f16 v28, v0, v4, v28
	;; [unrolled: 1-line block ×16, first 2 shown]
	s_waitcnt lgkmcnt(0)
	v_mul_u32_u24_sdwa v7, v18, s8 dst_sel:DWORD dst_unused:UNUSED_PAD src0_sel:WORD_0 src1_sel:DWORD
	v_mul_u32_u24_sdwa v18, v18, s8 dst_sel:DWORD dst_unused:UNUSED_PAD src0_sel:WORD_1 src1_sel:DWORD
	v_mul_u32_u24_sdwa v23, v19, s8 dst_sel:DWORD dst_unused:UNUSED_PAD src0_sel:WORD_0 src1_sel:DWORD
	v_mul_u32_u24_sdwa v19, v19, s8 dst_sel:DWORD dst_unused:UNUSED_PAD src0_sel:WORD_1 src1_sel:DWORD
	;; [unrolled: 2-line block ×4, first 2 shown]
	v_pk_fma_f16 v27, v2, v7, v27
	v_pk_fma_f16 v29, v2, v23, v29
	;; [unrolled: 1-line block ×9, first 2 shown]
	ds_read_b128 v[4:7], v108 offset:480
	v_pk_fma_f16 v28, v2, v18, v28
	v_pk_fma_f16 v30, v2, v19, v30
	;; [unrolled: 1-line block ×7, first 2 shown]
	ds_read2_b64 v[0:3], v36 offset0:136 offset1:164
	ds_read_b128 v[18:21], v108 offset:496
	s_waitcnt lgkmcnt(2)
	v_mul_u32_u24_sdwa v36, v4, s8 dst_sel:DWORD dst_unused:UNUSED_PAD src0_sel:WORD_0 src1_sel:DWORD
	v_mul_u32_u24_sdwa v4, v4, s8 dst_sel:DWORD dst_unused:UNUSED_PAD src0_sel:WORD_1 src1_sel:DWORD
	v_mul_u32_u24_sdwa v37, v5, s8 dst_sel:DWORD dst_unused:UNUSED_PAD src0_sel:WORD_0 src1_sel:DWORD
	v_mul_u32_u24_sdwa v5, v5, s8 dst_sel:DWORD dst_unused:UNUSED_PAD src0_sel:WORD_1 src1_sel:DWORD
	;; [unrolled: 2-line block ×4, first 2 shown]
	s_waitcnt lgkmcnt(1)
	v_pk_fma_f16 v27, v0, v36, v27
	v_pk_fma_f16 v28, v0, v4, v28
	;; [unrolled: 1-line block ×16, first 2 shown]
	s_waitcnt lgkmcnt(0)
	v_mul_u32_u24_sdwa v7, v18, s8 dst_sel:DWORD dst_unused:UNUSED_PAD src0_sel:WORD_0 src1_sel:DWORD
	v_mul_u32_u24_sdwa v18, v18, s8 dst_sel:DWORD dst_unused:UNUSED_PAD src0_sel:WORD_1 src1_sel:DWORD
	v_mul_u32_u24_sdwa v23, v19, s8 dst_sel:DWORD dst_unused:UNUSED_PAD src0_sel:WORD_0 src1_sel:DWORD
	v_mul_u32_u24_sdwa v19, v19, s8 dst_sel:DWORD dst_unused:UNUSED_PAD src0_sel:WORD_1 src1_sel:DWORD
	;; [unrolled: 2-line block ×4, first 2 shown]
	v_pk_fma_f16 v70, v2, v7, v27
	v_pk_fma_f16 v68, v2, v18, v28
	;; [unrolled: 1-line block ×16, first 2 shown]
	s_barrier
.LBB52_135:
	buffer_load_dword v7, off, s[0:3], 0 offset:112 ; 4-byte Folded Reload
	buffer_load_dword v0, off, s[0:3], 0 offset:116 ; 4-byte Folded Reload
	;; [unrolled: 1-line block ×6, first 2 shown]
	s_cmp_eq_u64 s[56:57], 0
	s_cselect_b64 s[10:11], -1, 0
	s_cmp_lg_u32 s9, 0
	s_cselect_b64 s[12:13], -1, 0
	s_or_b64 s[10:11], s[12:13], s[10:11]
	s_waitcnt vmcnt(4)
	v_cmp_lt_i32_e32 vcc, v0, v7
	v_cndmask_b32_e32 v0, v110, v0, vcc
	v_lshlrev_b32_e32 v0, 2, v0
	ds_bpermute_b32 v2, v0, v124
	s_waitcnt vmcnt(3)
	v_cmp_lt_i32_e32 vcc, v1, v7
	v_cndmask_b32_e32 v1, v110, v1, vcc
	v_lshlrev_b32_e32 v1, 2, v1
	s_waitcnt vmcnt(2)
	v_cmp_lt_i32_e32 vcc, v3, v7
	s_waitcnt lgkmcnt(0)
	v_add_f32_e32 v2, v124, v2
	ds_bpermute_b32 v5, v1, v2
	v_cndmask_b32_e32 v3, v110, v3, vcc
	v_lshlrev_b32_e32 v3, 2, v3
	ds_bpermute_b32 v6, v0, v125
	s_waitcnt vmcnt(1)
	v_cmp_lt_i32_e32 vcc, v4, v7
	s_waitcnt lgkmcnt(1)
	v_add_f32_e32 v2, v2, v5
	ds_bpermute_b32 v5, v3, v2
	v_cndmask_b32_e32 v4, v110, v4, vcc
	s_waitcnt vmcnt(0)
	v_cmp_lt_i32_e32 vcc, v8, v7
	s_waitcnt lgkmcnt(1)
	v_add_f32_e32 v6, v125, v6
	v_lshlrev_b32_e32 v4, 2, v4
	v_cndmask_b32_e32 v7, v110, v8, vcc
	ds_bpermute_b32 v8, v1, v6
	s_waitcnt lgkmcnt(1)
	v_add_f32_e32 v2, v2, v5
	ds_bpermute_b32 v9, v0, v126
	ds_bpermute_b32 v5, v4, v2
	v_lshlrev_b32_e32 v7, 2, v7
	s_waitcnt lgkmcnt(2)
	v_add_f32_e32 v6, v6, v8
	ds_bpermute_b32 v8, v3, v6
	s_waitcnt lgkmcnt(2)
	v_add_f32_e32 v9, v126, v9
	s_waitcnt lgkmcnt(1)
	v_add_f32_e32 v2, v2, v5
	ds_bpermute_b32 v10, v1, v9
	ds_bpermute_b32 v5, v7, v2
	s_waitcnt lgkmcnt(2)
	v_add_f32_e32 v6, v6, v8
	ds_bpermute_b32 v8, v4, v6
	ds_bpermute_b32 v12, v0, v100
	s_waitcnt lgkmcnt(3)
	v_add_f32_e32 v9, v9, v10
	s_waitcnt lgkmcnt(2)
	v_add_f32_e32 v10, v2, v5
	ds_bpermute_b32 v5, v0, v80
	ds_bpermute_b32 v11, v3, v9
	s_waitcnt lgkmcnt(3)
	v_add_f32_e32 v2, v6, v8
	s_waitcnt lgkmcnt(2)
	v_add_f32_e32 v8, v100, v12
	ds_bpermute_b32 v13, v7, v2
	s_waitcnt lgkmcnt(2)
	v_add_f32_e32 v5, v80, v5
	s_waitcnt lgkmcnt(1)
	v_add_f32_e32 v6, v9, v11
	ds_bpermute_b32 v9, v1, v8
	ds_bpermute_b32 v12, v1, v5
	;; [unrolled: 1-line block ×3, first 2 shown]
	s_and_b64 vcc, exec, s[10:11]
	s_waitcnt lgkmcnt(2)
	v_add_f32_e32 v8, v8, v9
	s_waitcnt lgkmcnt(1)
	v_add_f32_e32 v5, v5, v12
	ds_bpermute_b32 v9, v3, v8
	ds_bpermute_b32 v12, v3, v5
	s_waitcnt lgkmcnt(2)
	v_add_f32_e32 v6, v6, v11
	v_add_f32_e32 v11, v2, v13
	ds_bpermute_b32 v14, v7, v6
	s_waitcnt lgkmcnt(2)
	v_add_f32_e32 v8, v8, v9
	s_waitcnt lgkmcnt(1)
	v_add_f32_e32 v2, v5, v12
	ds_bpermute_b32 v9, v4, v8
	ds_bpermute_b32 v5, v4, v2
	s_waitcnt lgkmcnt(2)
	v_add_f32_e32 v12, v6, v14
	s_waitcnt lgkmcnt(1)
	v_add_f32_e32 v6, v8, v9
	ds_bpermute_b32 v9, v0, v99
	s_waitcnt lgkmcnt(1)
	v_add_f32_e32 v2, v2, v5
	ds_bpermute_b32 v5, v0, v82
	ds_bpermute_b32 v0, v0, v81
	ds_bpermute_b32 v8, v7, v6
	s_waitcnt lgkmcnt(3)
	v_add_f32_e32 v9, v99, v9
	ds_bpermute_b32 v13, v1, v9
	s_waitcnt lgkmcnt(3)
	v_add_f32_e32 v5, v82, v5
	s_waitcnt lgkmcnt(2)
	v_add_f32_e32 v0, v81, v0
	ds_bpermute_b32 v15, v1, v5
	ds_bpermute_b32 v1, v1, v0
	s_waitcnt lgkmcnt(2)
	v_add_f32_e32 v9, v9, v13
	ds_bpermute_b32 v13, v3, v9
	ds_bpermute_b32 v14, v7, v2
	s_waitcnt lgkmcnt(3)
	v_add_f32_e32 v5, v5, v15
	s_waitcnt lgkmcnt(2)
	v_add_f32_e32 v0, v0, v1
	ds_bpermute_b32 v15, v3, v5
	ds_bpermute_b32 v1, v3, v0
	s_waitcnt lgkmcnt(3)
	v_add_f32_e32 v3, v9, v13
	ds_bpermute_b32 v9, v4, v3
	s_waitcnt lgkmcnt(3)
	v_add_f32_e32 v14, v2, v14
	s_waitcnt lgkmcnt(2)
	v_add_f32_e32 v5, v5, v15
	;; [unrolled: 2-line block ×3, first 2 shown]
	ds_bpermute_b32 v13, v4, v5
	ds_bpermute_b32 v1, v4, v0
	s_waitcnt lgkmcnt(2)
	v_add_f32_e32 v3, v3, v9
	ds_bpermute_b32 v4, v7, v3
	s_waitcnt lgkmcnt(2)
	v_add_f32_e32 v5, v5, v13
	s_waitcnt lgkmcnt(1)
	v_add_f32_e32 v0, v0, v1
	ds_bpermute_b32 v9, v7, v5
	ds_bpermute_b32 v1, v7, v0
	v_add_f32_e32 v13, v6, v8
	s_waitcnt lgkmcnt(2)
	v_add_f32_e32 v15, v3, v4
	s_waitcnt lgkmcnt(1)
	;; [unrolled: 2-line block ×3, first 2 shown]
	v_add_f32_e32 v17, v0, v1
	s_cbranch_vccnz .LBB52_138
; %bb.136:
	s_lshl_b64 s[10:11], s[68:69], 2
	s_add_u32 s10, s56, s10
	s_addc_u32 s11, s57, s11
	v_mov_b32_e32 v0, 0
	global_load_dword v1, v0, s[10:11]
	v_max_f32_e32 v2, v72, v72
	v_max_f32_e32 v3, v73, v73
	s_mov_b32 s11, 0x3fb8aa3b
	v_max_f32_e32 v4, v74, v74
	s_mov_b32 s10, 0xc2ce8ed0
	s_mov_b32 s8, 0x42b17218
	v_mov_b32_e32 v0, 0x7f800000
	s_waitcnt vmcnt(0)
	v_max_f32_e32 v25, v1, v1
	v_max_f32_e32 v26, v2, v25
	v_sub_f32_e32 v2, v72, v26
	v_max_f32_e32 v27, v3, v25
	v_sub_f32_e32 v3, v1, v26
	v_mul_f32_e32 v8, 0x3fb8aa3b, v2
	v_max_f32_e32 v28, v4, v25
	v_sub_f32_e32 v4, v73, v27
	v_mul_f32_e32 v9, 0x3fb8aa3b, v3
	v_fma_f32 v22, v2, s11, -v8
	v_rndne_f32_e32 v23, v8
	v_sub_f32_e32 v5, v1, v27
	v_mul_f32_e32 v18, 0x3fb8aa3b, v4
	v_fma_f32 v24, v3, s11, -v9
	v_rndne_f32_e32 v29, v9
	v_fmac_f32_e32 v22, 0x32a5705f, v2
	v_sub_f32_e32 v8, v8, v23
	v_sub_f32_e32 v6, v74, v28
	v_mul_f32_e32 v19, 0x3fb8aa3b, v5
	v_fma_f32 v30, v4, s11, -v18
	v_rndne_f32_e32 v31, v18
	v_fmac_f32_e32 v24, 0x32a5705f, v3
	v_sub_f32_e32 v9, v9, v29
	v_add_f32_e32 v8, v8, v22
	v_mul_f32_e32 v20, 0x3fb8aa3b, v6
	v_fma_f32 v32, v5, s11, -v19
	v_rndne_f32_e32 v33, v19
	v_cvt_i32_f32_e32 v23, v23
	v_fmac_f32_e32 v30, 0x32a5705f, v4
	v_sub_f32_e32 v18, v18, v31
	v_add_f32_e32 v9, v9, v24
	v_exp_f32_e32 v8, v8
	v_fma_f32 v34, v6, s11, -v20
	v_rndne_f32_e32 v35, v20
	v_cvt_i32_f32_e32 v29, v29
	v_fmac_f32_e32 v32, 0x32a5705f, v5
	v_sub_f32_e32 v19, v19, v33
	v_add_f32_e32 v18, v18, v30
	v_exp_f32_e32 v9, v9
	v_cvt_i32_f32_e32 v31, v31
	v_fmac_f32_e32 v34, 0x32a5705f, v6
	v_sub_f32_e32 v20, v20, v35
	v_add_f32_e32 v19, v19, v32
	v_exp_f32_e32 v18, v18
	v_cvt_i32_f32_e32 v33, v33
	v_add_f32_e32 v20, v20, v34
	v_exp_f32_e32 v19, v19
	v_cvt_i32_f32_e32 v35, v35
	v_exp_f32_e32 v20, v20
	v_ldexp_f32 v8, v8, v23
	v_cmp_ngt_f32_e32 vcc, s10, v2
	v_ldexp_f32 v9, v9, v29
	v_cndmask_b32_e32 v8, 0, v8, vcc
	v_cmp_ngt_f32_e32 vcc, s10, v3
	v_ldexp_f32 v18, v18, v31
	v_cndmask_b32_e32 v9, 0, v9, vcc
	;; [unrolled: 3-line block ×4, first 2 shown]
	v_cmp_ngt_f32_e32 vcc, s10, v6
	v_sub_f32_e32 v7, v1, v28
	v_cndmask_b32_e32 v20, 0, v20, vcc
	v_cmp_nlt_f32_e32 vcc, s8, v2
	v_mul_f32_e32 v21, 0x3fb8aa3b, v7
	v_cndmask_b32_e32 v2, v0, v8, vcc
	v_cmp_nlt_f32_e32 vcc, s8, v3
	v_fma_f32 v36, v7, s11, -v21
	v_rndne_f32_e32 v37, v21
	v_cndmask_b32_e32 v18, v0, v9, vcc
	v_cmp_nlt_f32_e32 vcc, s8, v4
	v_fmac_f32_e32 v36, 0x32a5705f, v7
	v_sub_f32_e32 v21, v21, v37
	v_cndmask_b32_e32 v3, v0, v22, vcc
	v_add_f32_e32 v21, v21, v36
	v_cmp_nlt_f32_e32 vcc, s8, v5
	v_cvt_f16_f32_e32 v4, v2
	v_cvt_f16_f32_e32 v5, v3
	v_cvt_i32_f32_e32 v37, v37
	v_exp_f32_e32 v21, v21
	v_cndmask_b32_e32 v19, v0, v19, vcc
	v_fmac_f32_e32 v18, v10, v2
	v_fmac_f32_e32 v19, v11, v3
	v_mul_u32_u24_e32 v2, 0x10001, v4
	v_mul_u32_u24_e32 v3, 0x10001, v5
	v_cmp_nlt_f32_e32 vcc, s8, v6
	v_pk_mul_f16 v70, v70, v2
	v_pk_mul_f16 v71, v71, v2
	;; [unrolled: 1-line block ×4, first 2 shown]
	v_cndmask_b32_e32 v2, v0, v20, vcc
	v_ldexp_f32 v3, v21, v37
	v_cmp_ngt_f32_e32 vcc, s10, v7
	v_cndmask_b32_e32 v3, 0, v3, vcc
	v_cmp_nlt_f32_e32 vcc, s8, v7
	v_cndmask_b32_e32 v20, v0, v3, vcc
	v_max_f32_e32 v3, v75, v75
	v_max_f32_e32 v29, v3, v25
	v_sub_f32_e32 v3, v75, v29
	v_mul_f32_e32 v4, 0x3fb8aa3b, v3
	v_fma_f32 v5, v3, s11, -v4
	v_rndne_f32_e32 v6, v4
	v_fmac_f32_e32 v5, 0x32a5705f, v3
	v_sub_f32_e32 v4, v4, v6
	v_fmac_f32_e32 v20, v12, v2
	v_cvt_f16_f32_e32 v2, v2
	v_add_f32_e32 v4, v4, v5
	v_exp_f32_e32 v4, v4
	v_cvt_i32_f32_e32 v5, v6
	v_mul_u32_u24_e32 v2, 0x10001, v2
	v_pk_mul_f16 v66, v66, v2
	v_pk_mul_f16 v67, v67, v2
	v_ldexp_f32 v2, v4, v5
	v_sub_f32_e32 v4, v1, v29
	v_mul_f32_e32 v5, 0x3fb8aa3b, v4
	v_fma_f32 v6, v4, s11, -v5
	v_rndne_f32_e32 v7, v5
	v_fmac_f32_e32 v6, 0x32a5705f, v4
	v_sub_f32_e32 v5, v5, v7
	v_add_f32_e32 v5, v5, v6
	v_exp_f32_e32 v5, v5
	v_cvt_i32_f32_e32 v6, v7
	v_cmp_ngt_f32_e32 vcc, s10, v3
	v_cndmask_b32_e32 v2, 0, v2, vcc
	v_cmp_nlt_f32_e32 vcc, s8, v3
	v_cndmask_b32_e32 v2, v0, v2, vcc
	v_ldexp_f32 v3, v5, v6
	v_cmp_ngt_f32_e32 vcc, s10, v4
	v_cndmask_b32_e32 v3, 0, v3, vcc
	v_cmp_nlt_f32_e32 vcc, s8, v4
	v_cndmask_b32_e32 v21, v0, v3, vcc
	v_max_f32_e32 v3, v76, v76
	v_max_f32_e32 v30, v3, v25
	v_sub_f32_e32 v3, v76, v30
	v_mul_f32_e32 v4, 0x3fb8aa3b, v3
	v_fma_f32 v5, v3, s11, -v4
	v_rndne_f32_e32 v6, v4
	v_fmac_f32_e32 v5, 0x32a5705f, v3
	v_sub_f32_e32 v4, v4, v6
	v_fmac_f32_e32 v21, v13, v2
	v_cvt_f16_f32_e32 v2, v2
	v_add_f32_e32 v4, v4, v5
	v_exp_f32_e32 v4, v4
	v_cvt_i32_f32_e32 v5, v6
	v_mul_u32_u24_e32 v2, 0x10001, v2
	v_pk_mul_f16 v64, v64, v2
	v_pk_mul_f16 v65, v65, v2
	v_ldexp_f32 v2, v4, v5
	v_sub_f32_e32 v4, v1, v30
	v_mul_f32_e32 v5, 0x3fb8aa3b, v4
	v_fma_f32 v6, v4, s11, -v5
	v_rndne_f32_e32 v7, v5
	v_fmac_f32_e32 v6, 0x32a5705f, v4
	v_sub_f32_e32 v5, v5, v7
	v_add_f32_e32 v5, v5, v6
	v_exp_f32_e32 v5, v5
	v_cvt_i32_f32_e32 v6, v7
	v_cmp_ngt_f32_e32 vcc, s10, v3
	v_cndmask_b32_e32 v2, 0, v2, vcc
	v_cmp_nlt_f32_e32 vcc, s8, v3
	;; [unrolled: 35-line block ×4, first 2 shown]
	v_cndmask_b32_e32 v2, v0, v2, vcc
	v_ldexp_f32 v3, v5, v6
	v_cmp_ngt_f32_e32 vcc, s10, v4
	v_cndmask_b32_e32 v3, 0, v3, vcc
	v_cmp_nlt_f32_e32 vcc, s8, v4
	v_cndmask_b32_e32 v24, v0, v3, vcc
	v_max_f32_e32 v3, v79, v79
	v_max_f32_e32 v33, v3, v25
	v_sub_f32_e32 v3, v79, v33
	v_mul_f32_e32 v4, 0x3fb8aa3b, v3
	v_fma_f32 v5, v3, s11, -v4
	v_rndne_f32_e32 v6, v4
	v_fmac_f32_e32 v5, 0x32a5705f, v3
	v_sub_f32_e32 v4, v4, v6
	v_fmac_f32_e32 v24, v16, v2
	v_cvt_f16_f32_e32 v2, v2
	v_add_f32_e32 v4, v4, v5
	v_exp_f32_e32 v4, v4
	v_cvt_i32_f32_e32 v5, v6
	v_mul_u32_u24_e32 v2, 0x10001, v2
	v_sub_f32_e32 v1, v1, v33
	v_pk_mul_f16 v58, v58, v2
	v_pk_mul_f16 v59, v59, v2
	v_ldexp_f32 v2, v4, v5
	v_mul_f32_e32 v4, 0x3fb8aa3b, v1
	v_fma_f32 v5, v1, s11, -v4
	v_rndne_f32_e32 v6, v4
	v_fmac_f32_e32 v5, 0x32a5705f, v1
	v_sub_f32_e32 v4, v4, v6
	v_add_f32_e32 v4, v4, v5
	v_exp_f32_e32 v4, v4
	v_cvt_i32_f32_e32 v5, v6
	v_cmp_ngt_f32_e32 vcc, s10, v3
	v_cndmask_b32_e32 v2, 0, v2, vcc
	v_cmp_nlt_f32_e32 vcc, s8, v3
	v_cndmask_b32_e32 v2, v0, v2, vcc
	v_ldexp_f32 v3, v4, v5
	v_cvt_f16_f32_e32 v4, v2
	v_cmp_ngt_f32_e32 vcc, s10, v1
	v_cndmask_b32_e32 v3, 0, v3, vcc
	v_cmp_nlt_f32_e32 vcc, s8, v1
	v_cndmask_b32_e32 v25, v0, v3, vcc
	v_fmac_f32_e32 v25, v17, v2
	v_mul_u32_u24_e32 v0, 0x10001, v4
	v_mov_b32_e32 v10, v18
	v_mov_b32_e32 v79, v33
	v_pk_mul_f16 v57, v57, v0
	v_pk_mul_f16 v56, v56, v0
	v_mov_b32_e32 v11, v19
	v_mov_b32_e32 v12, v20
	;; [unrolled: 1-line block ×14, first 2 shown]
	buffer_load_dword v0, off, s[0:3], 0 offset:332 ; 4-byte Folded Reload
	s_waitcnt vmcnt(0)
	v_cmp_gt_i32_e32 vcc, s66, v0
	s_and_saveexec_b64 s[10:11], vcc
	s_cbranch_execnz .LBB52_139
.LBB52_137:
	s_endpgm
.LBB52_138:
	v_mov_b32_e32 v18, v10
	v_mov_b32_e32 v19, v11
	;; [unrolled: 1-line block ×8, first 2 shown]
	buffer_load_dword v0, off, s[0:3], 0 offset:332 ; 4-byte Folded Reload
	s_waitcnt vmcnt(0)
	v_cmp_gt_i32_e32 vcc, s66, v0
	s_and_saveexec_b64 s[10:11], vcc
	s_cbranch_execz .LBB52_137
.LBB52_139:
	s_load_dword s8, s[4:5], 0xd4
	v_mov_b32_e32 v0, 1.0
	s_waitcnt lgkmcnt(0)
	s_cmp_lg_u32 s8, 1
	s_cselect_b64 s[4:5], -1, 0
	s_cmp_eq_u32 s8, 1
	s_cselect_b64 s[12:13], -1, 0
	s_and_b64 vcc, exec, s[4:5]
	s_cbranch_vccnz .LBB52_141
; %bb.140:
	v_div_scale_f32 v0, s[10:11], v18, v18, 1.0
	v_div_scale_f32 v1, vcc, 1.0, v18, 1.0
	v_rcp_f32_e32 v2, v0
	v_fma_f32 v3, -v0, v2, 1.0
	v_fmac_f32_e32 v2, v3, v2
	v_mul_f32_e32 v3, v1, v2
	v_fma_f32 v4, -v0, v3, v1
	v_fmac_f32_e32 v3, v4, v2
	v_fma_f32 v0, -v0, v3, v1
	v_div_fmas_f32 v0, v0, v2, v3
	v_div_fixup_f32 v0, v0, v18, 1.0
.LBB52_141:
	buffer_load_dword v1, off, s[0:3], 0 offset:348 ; 4-byte Folded Reload
	s_mul_i32 s14, s78, s66
	s_add_i32 s14, s14, s33
	s_waitcnt vmcnt(0)
	v_add_u32_e32 v1, s14, v1
	v_mul_lo_u32 v1, v1, s67
	v_add_u32_e32 v1, s68, v1
	v_mul_lo_u32 v1, s8, v1
	v_add_u32_e32 v26, s9, v1
	s_and_saveexec_b64 s[10:11], s[6:7]
	s_cbranch_execz .LBB52_143
; %bb.142:
	buffer_load_dword v1, off, s[0:3], 0 offset:372 ; 4-byte Folded Reload
	buffer_load_dword v2, off, s[0:3], 0 offset:376 ; 4-byte Folded Reload
	s_movk_i32 s15, 0x70
	v_mov_b32_e32 v3, s61
	v_cvt_f32_f16_sdwa v6, v70 dst_sel:DWORD dst_unused:UNUSED_PAD src0_sel:WORD_1
	v_cvt_f32_f16_e32 v7, v70
	s_waitcnt vmcnt(0)
	v_mad_u64_u32 v[1:2], s[16:17], v26, s15, v[1:2]
	v_mov_b32_e32 v2, 0
	v_lshlrev_b64 v[1:2], 2, v[1:2]
	v_add_co_u32_e32 v4, vcc, s60, v1
	v_addc_co_u32_e32 v5, vcc, v3, v2, vcc
	v_cvt_f32_f16_sdwa v1, v71 dst_sel:DWORD dst_unused:UNUSED_PAD src0_sel:WORD_1
	v_cvt_f32_f16_e32 v2, v71
	v_mul_f32_e32 v3, v0, v1
	v_mul_f32_e32 v2, v0, v2
	;; [unrolled: 1-line block ×4, first 2 shown]
	global_store_dwordx4 v[4:5], v[0:3], off
.LBB52_143:
	s_or_b64 exec, exec, s[10:11]
	buffer_load_dword v0, off, s[0:3], 0 offset:200 ; 4-byte Folded Reload
	s_waitcnt vmcnt(0)
	v_cmp_eq_u32_e32 vcc, 0, v0
	s_and_b64 s[10:11], vcc, s[4:5]
	s_and_saveexec_b64 s[4:5], s[10:11]
	s_cbranch_execz .LBB52_145
; %bb.144:
	v_ashrrev_i32_e32 v27, 31, v26
	v_lshlrev_b64 v[0:1], 3, v[26:27]
	v_mov_b32_e32 v2, s63
	v_add_co_u32_e32 v0, vcc, s62, v0
	v_addc_co_u32_e32 v1, vcc, v2, v1, vcc
	v_mov_b32_e32 v2, v72
	v_mov_b32_e32 v3, v10
	global_store_dwordx2 v[0:1], v[2:3], off
.LBB52_145:
	s_or_b64 exec, exec, s[4:5]
	buffer_load_dword v0, off, s[0:3], 0 offset:336 ; 4-byte Folded Reload
	s_waitcnt vmcnt(0)
	v_cmp_gt_i32_e32 vcc, s66, v0
	s_and_b64 exec, exec, vcc
	s_cbranch_execz .LBB52_137
; %bb.146:
	v_cndmask_b32_e64 v0, 0, 1, s[12:13]
	v_cmp_ne_u32_e64 s[4:5], 1, v0
	s_andn2_b64 vcc, exec, s[12:13]
	v_mov_b32_e32 v1, 1.0
	s_cbranch_vccnz .LBB52_148
; %bb.147:
	v_div_scale_f32 v0, s[12:13], v19, v19, 1.0
	v_div_scale_f32 v1, vcc, 1.0, v19, 1.0
	v_rcp_f32_e32 v2, v0
	v_fma_f32 v3, -v0, v2, 1.0
	v_fmac_f32_e32 v2, v3, v2
	v_mul_f32_e32 v3, v1, v2
	v_fma_f32 v4, -v0, v3, v1
	v_fmac_f32_e32 v3, v4, v2
	v_fma_f32 v0, -v0, v3, v1
	v_div_fmas_f32 v0, v0, v2, v3
	v_div_fixup_f32 v1, v0, v19, 1.0
.LBB52_148:
	buffer_load_dword v0, off, s[0:3], 0 offset:384 ; 4-byte Folded Reload
	s_waitcnt vmcnt(0)
	v_add_u32_e32 v0, s14, v0
	v_mul_lo_u32 v0, v0, s67
	v_add_u32_e32 v0, s68, v0
	v_mul_lo_u32 v0, s8, v0
	v_add_u32_e32 v0, s9, v0
	s_and_saveexec_b64 s[12:13], s[6:7]
	s_cbranch_execz .LBB52_150
; %bb.149:
	buffer_load_dword v2, off, s[0:3], 0 offset:372 ; 4-byte Folded Reload
	buffer_load_dword v3, off, s[0:3], 0 offset:376 ; 4-byte Folded Reload
	s_movk_i32 s15, 0x70
	v_mov_b32_e32 v4, s61
	v_cvt_f32_f16_sdwa v7, v68 dst_sel:DWORD dst_unused:UNUSED_PAD src0_sel:WORD_1
	v_cvt_f32_f16_e32 v8, v68
	s_waitcnt vmcnt(0)
	v_mad_u64_u32 v[2:3], s[16:17], v0, s15, v[2:3]
	v_mov_b32_e32 v3, 0
	v_lshlrev_b64 v[2:3], 2, v[2:3]
	v_add_co_u32_e32 v5, vcc, s60, v2
	v_addc_co_u32_e32 v6, vcc, v4, v3, vcc
	v_cvt_f32_f16_sdwa v2, v69 dst_sel:DWORD dst_unused:UNUSED_PAD src0_sel:WORD_1
	v_cvt_f32_f16_e32 v3, v69
	v_mul_f32_e32 v4, v1, v2
	v_mul_f32_e32 v3, v1, v3
	;; [unrolled: 1-line block ×4, first 2 shown]
	global_store_dwordx4 v[5:6], v[1:4], off
.LBB52_150:
	s_or_b64 exec, exec, s[12:13]
	s_and_saveexec_b64 s[12:13], s[10:11]
	s_cbranch_execz .LBB52_152
; %bb.151:
	v_ashrrev_i32_e32 v1, 31, v0
	v_lshlrev_b64 v[0:1], 3, v[0:1]
	v_mov_b32_e32 v2, s63
	v_add_co_u32_e32 v0, vcc, s62, v0
	v_addc_co_u32_e32 v1, vcc, v2, v1, vcc
	v_mov_b32_e32 v10, v73
	global_store_dwordx2 v[0:1], v[10:11], off
.LBB52_152:
	s_or_b64 exec, exec, s[12:13]
	buffer_load_dword v0, off, s[0:3], 0 offset:380 ; 4-byte Folded Reload
	s_waitcnt vmcnt(0)
	v_add_u32_e32 v0, s33, v0
	v_cmp_gt_i32_e32 vcc, s66, v0
	s_and_b64 exec, exec, vcc
	s_cbranch_execz .LBB52_137
; %bb.153:
	s_and_b64 vcc, exec, s[4:5]
	v_mov_b32_e32 v1, 1.0
	s_cbranch_vccnz .LBB52_155
; %bb.154:
	v_div_scale_f32 v0, s[12:13], v20, v20, 1.0
	v_div_scale_f32 v1, vcc, 1.0, v20, 1.0
	v_rcp_f32_e32 v2, v0
	v_fma_f32 v3, -v0, v2, 1.0
	v_fmac_f32_e32 v2, v3, v2
	v_mul_f32_e32 v3, v1, v2
	v_fma_f32 v4, -v0, v3, v1
	v_fmac_f32_e32 v3, v4, v2
	v_fma_f32 v0, -v0, v3, v1
	v_div_fmas_f32 v0, v0, v2, v3
	v_div_fixup_f32 v1, v0, v20, 1.0
.LBB52_155:
	buffer_load_dword v0, off, s[0:3], 0 offset:380 ; 4-byte Folded Reload
	s_waitcnt vmcnt(0)
	v_add_u32_e32 v0, s14, v0
	v_mul_lo_u32 v0, v0, s67
	v_add_u32_e32 v0, s68, v0
	v_mul_lo_u32 v0, s8, v0
	v_add_u32_e32 v0, s9, v0
	s_and_saveexec_b64 s[12:13], s[6:7]
	s_cbranch_execz .LBB52_157
; %bb.156:
	buffer_load_dword v2, off, s[0:3], 0 offset:372 ; 4-byte Folded Reload
	buffer_load_dword v3, off, s[0:3], 0 offset:376 ; 4-byte Folded Reload
	s_movk_i32 s15, 0x70
	v_mov_b32_e32 v4, s61
	v_cvt_f32_f16_sdwa v7, v66 dst_sel:DWORD dst_unused:UNUSED_PAD src0_sel:WORD_1
	v_cvt_f32_f16_e32 v8, v66
	s_waitcnt vmcnt(0)
	v_mad_u64_u32 v[2:3], s[16:17], v0, s15, v[2:3]
	v_mov_b32_e32 v3, 0
	v_lshlrev_b64 v[2:3], 2, v[2:3]
	v_add_co_u32_e32 v5, vcc, s60, v2
	v_addc_co_u32_e32 v6, vcc, v4, v3, vcc
	v_cvt_f32_f16_sdwa v2, v67 dst_sel:DWORD dst_unused:UNUSED_PAD src0_sel:WORD_1
	v_cvt_f32_f16_e32 v3, v67
	v_mul_f32_e32 v4, v1, v2
	v_mul_f32_e32 v3, v1, v3
	v_mul_f32_e32 v2, v1, v7
	v_mul_f32_e32 v1, v1, v8
	global_store_dwordx4 v[5:6], v[1:4], off
.LBB52_157:
	s_or_b64 exec, exec, s[12:13]
	s_and_saveexec_b64 s[12:13], s[10:11]
	s_cbranch_execz .LBB52_159
; %bb.158:
	v_ashrrev_i32_e32 v1, 31, v0
	v_lshlrev_b64 v[0:1], 3, v[0:1]
	v_mov_b32_e32 v2, s63
	v_add_co_u32_e32 v0, vcc, s62, v0
	v_addc_co_u32_e32 v1, vcc, v2, v1, vcc
	v_mov_b32_e32 v11, v74
	global_store_dwordx2 v[0:1], v[11:12], off
.LBB52_159:
	s_or_b64 exec, exec, s[12:13]
	buffer_load_dword v0, off, s[0:3], 0 offset:388 ; 4-byte Folded Reload
	s_waitcnt vmcnt(0)
	v_add_u32_e32 v0, s33, v0
	v_cmp_gt_i32_e32 vcc, s66, v0
	s_and_b64 exec, exec, vcc
	s_cbranch_execz .LBB52_137
; %bb.160:
	s_and_b64 vcc, exec, s[4:5]
	v_mov_b32_e32 v1, 1.0
	s_cbranch_vccnz .LBB52_162
; %bb.161:
	v_div_scale_f32 v0, s[12:13], v21, v21, 1.0
	v_div_scale_f32 v1, vcc, 1.0, v21, 1.0
	v_rcp_f32_e32 v2, v0
	v_fma_f32 v3, -v0, v2, 1.0
	v_fmac_f32_e32 v2, v3, v2
	v_mul_f32_e32 v3, v1, v2
	v_fma_f32 v4, -v0, v3, v1
	v_fmac_f32_e32 v3, v4, v2
	v_fma_f32 v0, -v0, v3, v1
	v_div_fmas_f32 v0, v0, v2, v3
	v_div_fixup_f32 v1, v0, v21, 1.0
.LBB52_162:
	buffer_load_dword v0, off, s[0:3], 0 offset:388 ; 4-byte Folded Reload
	s_waitcnt vmcnt(0)
	v_add_u32_e32 v0, s14, v0
	v_mul_lo_u32 v0, v0, s67
	v_add_u32_e32 v0, s68, v0
	v_mul_lo_u32 v0, s8, v0
	v_add_u32_e32 v0, s9, v0
	s_and_saveexec_b64 s[12:13], s[6:7]
	s_cbranch_execz .LBB52_164
; %bb.163:
	buffer_load_dword v2, off, s[0:3], 0 offset:372 ; 4-byte Folded Reload
	buffer_load_dword v3, off, s[0:3], 0 offset:376 ; 4-byte Folded Reload
	s_movk_i32 s15, 0x70
	v_mov_b32_e32 v4, s61
	v_cvt_f32_f16_sdwa v7, v64 dst_sel:DWORD dst_unused:UNUSED_PAD src0_sel:WORD_1
	v_cvt_f32_f16_e32 v8, v64
	s_waitcnt vmcnt(0)
	v_mad_u64_u32 v[2:3], s[16:17], v0, s15, v[2:3]
	v_mov_b32_e32 v3, 0
	v_lshlrev_b64 v[2:3], 2, v[2:3]
	v_add_co_u32_e32 v5, vcc, s60, v2
	v_addc_co_u32_e32 v6, vcc, v4, v3, vcc
	v_cvt_f32_f16_sdwa v2, v65 dst_sel:DWORD dst_unused:UNUSED_PAD src0_sel:WORD_1
	v_cvt_f32_f16_e32 v3, v65
	v_mul_f32_e32 v4, v1, v2
	v_mul_f32_e32 v3, v1, v3
	;; [unrolled: 1-line block ×4, first 2 shown]
	global_store_dwordx4 v[5:6], v[1:4], off
.LBB52_164:
	s_or_b64 exec, exec, s[12:13]
	s_and_saveexec_b64 s[12:13], s[10:11]
	s_cbranch_execz .LBB52_166
; %bb.165:
	v_ashrrev_i32_e32 v1, 31, v0
	v_lshlrev_b64 v[0:1], 3, v[0:1]
	v_mov_b32_e32 v2, s63
	v_add_co_u32_e32 v0, vcc, s62, v0
	v_addc_co_u32_e32 v1, vcc, v2, v1, vcc
	v_mov_b32_e32 v12, v75
	global_store_dwordx2 v[0:1], v[12:13], off
.LBB52_166:
	s_or_b64 exec, exec, s[12:13]
	buffer_load_dword v0, off, s[0:3], 0 offset:392 ; 4-byte Folded Reload
	s_waitcnt vmcnt(0)
	v_add_u32_e32 v0, s33, v0
	v_cmp_gt_i32_e32 vcc, s66, v0
	s_and_b64 exec, exec, vcc
	s_cbranch_execz .LBB52_137
; %bb.167:
	s_and_b64 vcc, exec, s[4:5]
	v_mov_b32_e32 v1, 1.0
	s_cbranch_vccnz .LBB52_169
; %bb.168:
	v_div_scale_f32 v0, s[12:13], v22, v22, 1.0
	v_div_scale_f32 v1, vcc, 1.0, v22, 1.0
	v_rcp_f32_e32 v2, v0
	v_fma_f32 v3, -v0, v2, 1.0
	v_fmac_f32_e32 v2, v3, v2
	v_mul_f32_e32 v3, v1, v2
	v_fma_f32 v4, -v0, v3, v1
	v_fmac_f32_e32 v3, v4, v2
	v_fma_f32 v0, -v0, v3, v1
	v_div_fmas_f32 v0, v0, v2, v3
	v_div_fixup_f32 v1, v0, v22, 1.0
.LBB52_169:
	buffer_load_dword v0, off, s[0:3], 0 offset:392 ; 4-byte Folded Reload
	s_waitcnt vmcnt(0)
	v_add_u32_e32 v0, s14, v0
	v_mul_lo_u32 v0, v0, s67
	v_add_u32_e32 v0, s68, v0
	v_mul_lo_u32 v0, s8, v0
	v_add_u32_e32 v0, s9, v0
	s_and_saveexec_b64 s[12:13], s[6:7]
	s_cbranch_execz .LBB52_171
; %bb.170:
	buffer_load_dword v2, off, s[0:3], 0 offset:372 ; 4-byte Folded Reload
	buffer_load_dword v3, off, s[0:3], 0 offset:376 ; 4-byte Folded Reload
	s_movk_i32 s15, 0x70
	v_mov_b32_e32 v4, s61
	v_cvt_f32_f16_sdwa v7, v62 dst_sel:DWORD dst_unused:UNUSED_PAD src0_sel:WORD_1
	v_cvt_f32_f16_e32 v8, v62
	s_waitcnt vmcnt(0)
	v_mad_u64_u32 v[2:3], s[16:17], v0, s15, v[2:3]
	v_mov_b32_e32 v3, 0
	v_lshlrev_b64 v[2:3], 2, v[2:3]
	v_add_co_u32_e32 v5, vcc, s60, v2
	v_addc_co_u32_e32 v6, vcc, v4, v3, vcc
	v_cvt_f32_f16_sdwa v2, v63 dst_sel:DWORD dst_unused:UNUSED_PAD src0_sel:WORD_1
	v_cvt_f32_f16_e32 v3, v63
	v_mul_f32_e32 v4, v1, v2
	v_mul_f32_e32 v3, v1, v3
	;; [unrolled: 1-line block ×4, first 2 shown]
	global_store_dwordx4 v[5:6], v[1:4], off
.LBB52_171:
	s_or_b64 exec, exec, s[12:13]
	s_and_saveexec_b64 s[12:13], s[10:11]
	s_cbranch_execz .LBB52_173
; %bb.172:
	v_ashrrev_i32_e32 v1, 31, v0
	v_lshlrev_b64 v[0:1], 3, v[0:1]
	v_mov_b32_e32 v2, s63
	v_add_co_u32_e32 v0, vcc, s62, v0
	v_addc_co_u32_e32 v1, vcc, v2, v1, vcc
	v_mov_b32_e32 v13, v76
	global_store_dwordx2 v[0:1], v[13:14], off
.LBB52_173:
	s_or_b64 exec, exec, s[12:13]
	buffer_load_dword v0, off, s[0:3], 0 offset:396 ; 4-byte Folded Reload
	s_waitcnt vmcnt(0)
	v_add_u32_e32 v0, s33, v0
	v_cmp_gt_i32_e32 vcc, s66, v0
	s_and_b64 exec, exec, vcc
	s_cbranch_execz .LBB52_137
; %bb.174:
	s_and_b64 vcc, exec, s[4:5]
	v_mov_b32_e32 v1, 1.0
	s_cbranch_vccnz .LBB52_176
; %bb.175:
	v_div_scale_f32 v0, s[12:13], v23, v23, 1.0
	v_div_scale_f32 v1, vcc, 1.0, v23, 1.0
	v_rcp_f32_e32 v2, v0
	v_fma_f32 v3, -v0, v2, 1.0
	v_fmac_f32_e32 v2, v3, v2
	v_mul_f32_e32 v3, v1, v2
	v_fma_f32 v4, -v0, v3, v1
	v_fmac_f32_e32 v3, v4, v2
	v_fma_f32 v0, -v0, v3, v1
	v_div_fmas_f32 v0, v0, v2, v3
	v_div_fixup_f32 v1, v0, v23, 1.0
.LBB52_176:
	buffer_load_dword v0, off, s[0:3], 0 offset:396 ; 4-byte Folded Reload
	s_waitcnt vmcnt(0)
	v_add_u32_e32 v0, s14, v0
	v_mul_lo_u32 v0, v0, s67
	v_add_u32_e32 v0, s68, v0
	v_mul_lo_u32 v0, s8, v0
	v_add_u32_e32 v0, s9, v0
	s_and_saveexec_b64 s[12:13], s[6:7]
	s_cbranch_execz .LBB52_178
; %bb.177:
	buffer_load_dword v2, off, s[0:3], 0 offset:372 ; 4-byte Folded Reload
	buffer_load_dword v3, off, s[0:3], 0 offset:376 ; 4-byte Folded Reload
	s_movk_i32 s15, 0x70
	v_mov_b32_e32 v4, s61
	v_cvt_f32_f16_sdwa v7, v60 dst_sel:DWORD dst_unused:UNUSED_PAD src0_sel:WORD_1
	v_cvt_f32_f16_e32 v8, v60
	s_waitcnt vmcnt(0)
	v_mad_u64_u32 v[2:3], s[16:17], v0, s15, v[2:3]
	v_mov_b32_e32 v3, 0
	v_lshlrev_b64 v[2:3], 2, v[2:3]
	v_add_co_u32_e32 v5, vcc, s60, v2
	v_addc_co_u32_e32 v6, vcc, v4, v3, vcc
	v_cvt_f32_f16_sdwa v2, v61 dst_sel:DWORD dst_unused:UNUSED_PAD src0_sel:WORD_1
	v_cvt_f32_f16_e32 v3, v61
	v_mul_f32_e32 v4, v1, v2
	v_mul_f32_e32 v3, v1, v3
	;; [unrolled: 1-line block ×4, first 2 shown]
	global_store_dwordx4 v[5:6], v[1:4], off
.LBB52_178:
	s_or_b64 exec, exec, s[12:13]
	s_and_saveexec_b64 s[12:13], s[10:11]
	s_cbranch_execz .LBB52_180
; %bb.179:
	v_ashrrev_i32_e32 v1, 31, v0
	v_lshlrev_b64 v[0:1], 3, v[0:1]
	v_mov_b32_e32 v2, s63
	v_add_co_u32_e32 v0, vcc, s62, v0
	v_addc_co_u32_e32 v1, vcc, v2, v1, vcc
	v_mov_b32_e32 v14, v77
	global_store_dwordx2 v[0:1], v[14:15], off
.LBB52_180:
	s_or_b64 exec, exec, s[12:13]
	buffer_load_dword v0, off, s[0:3], 0 offset:400 ; 4-byte Folded Reload
	s_waitcnt vmcnt(0)
	v_add_u32_e32 v0, s33, v0
	v_cmp_gt_i32_e32 vcc, s66, v0
	s_and_b64 exec, exec, vcc
	s_cbranch_execz .LBB52_137
; %bb.181:
	s_and_b64 vcc, exec, s[4:5]
	v_mov_b32_e32 v1, 1.0
	s_cbranch_vccnz .LBB52_183
; %bb.182:
	v_div_scale_f32 v0, s[12:13], v24, v24, 1.0
	v_div_scale_f32 v1, vcc, 1.0, v24, 1.0
	v_rcp_f32_e32 v2, v0
	v_fma_f32 v3, -v0, v2, 1.0
	v_fmac_f32_e32 v2, v3, v2
	v_mul_f32_e32 v3, v1, v2
	v_fma_f32 v4, -v0, v3, v1
	v_fmac_f32_e32 v3, v4, v2
	v_fma_f32 v0, -v0, v3, v1
	v_div_fmas_f32 v0, v0, v2, v3
	v_div_fixup_f32 v1, v0, v24, 1.0
.LBB52_183:
	buffer_load_dword v0, off, s[0:3], 0 offset:400 ; 4-byte Folded Reload
	s_waitcnt vmcnt(0)
	v_add_u32_e32 v0, s14, v0
	v_mul_lo_u32 v0, v0, s67
	v_add_u32_e32 v0, s68, v0
	v_mul_lo_u32 v0, s8, v0
	v_add_u32_e32 v0, s9, v0
	s_and_saveexec_b64 s[12:13], s[6:7]
	s_cbranch_execz .LBB52_185
; %bb.184:
	buffer_load_dword v2, off, s[0:3], 0 offset:372 ; 4-byte Folded Reload
	buffer_load_dword v3, off, s[0:3], 0 offset:376 ; 4-byte Folded Reload
	s_movk_i32 s15, 0x70
	v_mov_b32_e32 v4, s61
	v_cvt_f32_f16_sdwa v7, v58 dst_sel:DWORD dst_unused:UNUSED_PAD src0_sel:WORD_1
	v_cvt_f32_f16_e32 v8, v58
	s_waitcnt vmcnt(0)
	v_mad_u64_u32 v[2:3], s[16:17], v0, s15, v[2:3]
	v_mov_b32_e32 v3, 0
	v_lshlrev_b64 v[2:3], 2, v[2:3]
	v_add_co_u32_e32 v5, vcc, s60, v2
	v_addc_co_u32_e32 v6, vcc, v4, v3, vcc
	v_cvt_f32_f16_sdwa v2, v59 dst_sel:DWORD dst_unused:UNUSED_PAD src0_sel:WORD_1
	v_cvt_f32_f16_e32 v3, v59
	v_mul_f32_e32 v4, v1, v2
	v_mul_f32_e32 v3, v1, v3
	v_mul_f32_e32 v2, v1, v7
	v_mul_f32_e32 v1, v1, v8
	global_store_dwordx4 v[5:6], v[1:4], off
.LBB52_185:
	s_or_b64 exec, exec, s[12:13]
	s_and_saveexec_b64 s[12:13], s[10:11]
	s_cbranch_execz .LBB52_187
; %bb.186:
	v_ashrrev_i32_e32 v1, 31, v0
	v_lshlrev_b64 v[0:1], 3, v[0:1]
	v_mov_b32_e32 v2, s63
	v_add_co_u32_e32 v0, vcc, s62, v0
	v_addc_co_u32_e32 v1, vcc, v2, v1, vcc
	v_mov_b32_e32 v15, v78
	global_store_dwordx2 v[0:1], v[15:16], off
.LBB52_187:
	s_or_b64 exec, exec, s[12:13]
	buffer_load_dword v0, off, s[0:3], 0 offset:404 ; 4-byte Folded Reload
	s_waitcnt vmcnt(0)
	v_add_u32_e32 v0, s33, v0
	v_cmp_gt_i32_e32 vcc, s66, v0
	s_and_b64 exec, exec, vcc
	s_cbranch_execz .LBB52_137
; %bb.188:
	s_and_b64 vcc, exec, s[4:5]
	v_mov_b32_e32 v1, 1.0
	s_cbranch_vccnz .LBB52_190
; %bb.189:
	v_div_scale_f32 v0, s[4:5], v25, v25, 1.0
	v_div_scale_f32 v1, vcc, 1.0, v25, 1.0
	v_rcp_f32_e32 v2, v0
	v_fma_f32 v3, -v0, v2, 1.0
	v_fmac_f32_e32 v2, v3, v2
	v_mul_f32_e32 v3, v1, v2
	v_fma_f32 v4, -v0, v3, v1
	v_fmac_f32_e32 v3, v4, v2
	v_fma_f32 v0, -v0, v3, v1
	v_div_fmas_f32 v0, v0, v2, v3
	v_div_fixup_f32 v1, v0, v25, 1.0
.LBB52_190:
	buffer_load_dword v0, off, s[0:3], 0 offset:404 ; 4-byte Folded Reload
	s_waitcnt vmcnt(0)
	v_add_u32_e32 v0, s14, v0
	v_mul_lo_u32 v0, v0, s67
	v_add_u32_e32 v0, s68, v0
	v_mul_lo_u32 v0, s8, v0
	v_add_u32_e32 v0, s9, v0
	s_and_saveexec_b64 s[4:5], s[6:7]
	s_cbranch_execz .LBB52_192
; %bb.191:
	buffer_load_dword v2, off, s[0:3], 0 offset:372 ; 4-byte Folded Reload
	buffer_load_dword v3, off, s[0:3], 0 offset:376 ; 4-byte Folded Reload
	s_movk_i32 s6, 0x70
	v_mov_b32_e32 v4, s61
	v_cvt_f32_f16_sdwa v7, v57 dst_sel:DWORD dst_unused:UNUSED_PAD src0_sel:WORD_1
	v_cvt_f32_f16_e32 v8, v57
	s_waitcnt vmcnt(0)
	v_mad_u64_u32 v[2:3], s[6:7], v0, s6, v[2:3]
	v_mov_b32_e32 v3, 0
	v_lshlrev_b64 v[2:3], 2, v[2:3]
	v_add_co_u32_e32 v5, vcc, s60, v2
	v_addc_co_u32_e32 v6, vcc, v4, v3, vcc
	v_cvt_f32_f16_sdwa v2, v56 dst_sel:DWORD dst_unused:UNUSED_PAD src0_sel:WORD_1
	v_cvt_f32_f16_e32 v3, v56
	v_mul_f32_e32 v4, v1, v2
	v_mul_f32_e32 v3, v1, v3
	;; [unrolled: 1-line block ×4, first 2 shown]
	global_store_dwordx4 v[5:6], v[1:4], off
.LBB52_192:
	s_or_b64 exec, exec, s[4:5]
	s_and_b64 exec, exec, s[10:11]
	s_cbranch_execz .LBB52_137
; %bb.193:
	v_ashrrev_i32_e32 v1, 31, v0
	v_lshlrev_b64 v[0:1], 3, v[0:1]
	v_mov_b32_e32 v2, s63
	v_add_co_u32_e32 v0, vcc, s62, v0
	v_addc_co_u32_e32 v1, vcc, v2, v1, vcc
	v_mov_b32_e32 v16, v79
	global_store_dwordx2 v[0:1], v[16:17], off
	s_endpgm
	.section	.rodata,"a",@progbits
	.p2align	6, 0x0
	.amdhsa_kernel _ZL15flash_attn_tileILi112ELi112ELi64ELi1ELb0EEvPKcS1_S1_S1_S1_PKiPfP15HIP_vector_typeIfLj2EEffffjfiS5_IjLj3EEiiiiiiiiiiiliiliiiiil
		.amdhsa_group_segment_fixed_size 22592
		.amdhsa_private_segment_fixed_size 672
		.amdhsa_kernarg_size 464
		.amdhsa_user_sgpr_count 8
		.amdhsa_user_sgpr_private_segment_buffer 1
		.amdhsa_user_sgpr_dispatch_ptr 0
		.amdhsa_user_sgpr_queue_ptr 0
		.amdhsa_user_sgpr_kernarg_segment_ptr 1
		.amdhsa_user_sgpr_dispatch_id 0
		.amdhsa_user_sgpr_flat_scratch_init 1
		.amdhsa_user_sgpr_private_segment_size 0
		.amdhsa_uses_dynamic_stack 0
		.amdhsa_system_sgpr_private_segment_wavefront_offset 1
		.amdhsa_system_sgpr_workgroup_id_x 1
		.amdhsa_system_sgpr_workgroup_id_y 1
		.amdhsa_system_sgpr_workgroup_id_z 1
		.amdhsa_system_sgpr_workgroup_info 0
		.amdhsa_system_vgpr_workitem_id 1
		.amdhsa_next_free_vgpr 128
		.amdhsa_next_free_sgpr 96
		.amdhsa_reserve_vcc 1
		.amdhsa_reserve_flat_scratch 1
		.amdhsa_float_round_mode_32 0
		.amdhsa_float_round_mode_16_64 0
		.amdhsa_float_denorm_mode_32 3
		.amdhsa_float_denorm_mode_16_64 3
		.amdhsa_dx10_clamp 1
		.amdhsa_ieee_mode 1
		.amdhsa_fp16_overflow 0
		.amdhsa_exception_fp_ieee_invalid_op 0
		.amdhsa_exception_fp_denorm_src 0
		.amdhsa_exception_fp_ieee_div_zero 0
		.amdhsa_exception_fp_ieee_overflow 0
		.amdhsa_exception_fp_ieee_underflow 0
		.amdhsa_exception_fp_ieee_inexact 0
		.amdhsa_exception_int_div_zero 0
	.end_amdhsa_kernel
	.section	.text._ZL15flash_attn_tileILi112ELi112ELi64ELi1ELb0EEvPKcS1_S1_S1_S1_PKiPfP15HIP_vector_typeIfLj2EEffffjfiS5_IjLj3EEiiiiiiiiiiiliiliiiiil,"axG",@progbits,_ZL15flash_attn_tileILi112ELi112ELi64ELi1ELb0EEvPKcS1_S1_S1_S1_PKiPfP15HIP_vector_typeIfLj2EEffffjfiS5_IjLj3EEiiiiiiiiiiiliiliiiiil,comdat
.Lfunc_end52:
	.size	_ZL15flash_attn_tileILi112ELi112ELi64ELi1ELb0EEvPKcS1_S1_S1_S1_PKiPfP15HIP_vector_typeIfLj2EEffffjfiS5_IjLj3EEiiiiiiiiiiiliiliiiiil, .Lfunc_end52-_ZL15flash_attn_tileILi112ELi112ELi64ELi1ELb0EEvPKcS1_S1_S1_S1_PKiPfP15HIP_vector_typeIfLj2EEffffjfiS5_IjLj3EEiiiiiiiiiiiliiliiiiil
                                        ; -- End function
	.set _ZL15flash_attn_tileILi112ELi112ELi64ELi1ELb0EEvPKcS1_S1_S1_S1_PKiPfP15HIP_vector_typeIfLj2EEffffjfiS5_IjLj3EEiiiiiiiiiiiliiliiiiil.num_vgpr, 128
	.set _ZL15flash_attn_tileILi112ELi112ELi64ELi1ELb0EEvPKcS1_S1_S1_S1_PKiPfP15HIP_vector_typeIfLj2EEffffjfiS5_IjLj3EEiiiiiiiiiiiliiliiiiil.num_agpr, 0
	.set _ZL15flash_attn_tileILi112ELi112ELi64ELi1ELb0EEvPKcS1_S1_S1_S1_PKiPfP15HIP_vector_typeIfLj2EEffffjfiS5_IjLj3EEiiiiiiiiiiiliiliiiiil.numbered_sgpr, 92
	.set _ZL15flash_attn_tileILi112ELi112ELi64ELi1ELb0EEvPKcS1_S1_S1_S1_PKiPfP15HIP_vector_typeIfLj2EEffffjfiS5_IjLj3EEiiiiiiiiiiiliiliiiiil.num_named_barrier, 0
	.set _ZL15flash_attn_tileILi112ELi112ELi64ELi1ELb0EEvPKcS1_S1_S1_S1_PKiPfP15HIP_vector_typeIfLj2EEffffjfiS5_IjLj3EEiiiiiiiiiiiliiliiiiil.private_seg_size, 672
	.set _ZL15flash_attn_tileILi112ELi112ELi64ELi1ELb0EEvPKcS1_S1_S1_S1_PKiPfP15HIP_vector_typeIfLj2EEffffjfiS5_IjLj3EEiiiiiiiiiiiliiliiiiil.uses_vcc, 1
	.set _ZL15flash_attn_tileILi112ELi112ELi64ELi1ELb0EEvPKcS1_S1_S1_S1_PKiPfP15HIP_vector_typeIfLj2EEffffjfiS5_IjLj3EEiiiiiiiiiiiliiliiiiil.uses_flat_scratch, 1
	.set _ZL15flash_attn_tileILi112ELi112ELi64ELi1ELb0EEvPKcS1_S1_S1_S1_PKiPfP15HIP_vector_typeIfLj2EEffffjfiS5_IjLj3EEiiiiiiiiiiiliiliiiiil.has_dyn_sized_stack, 0
	.set _ZL15flash_attn_tileILi112ELi112ELi64ELi1ELb0EEvPKcS1_S1_S1_S1_PKiPfP15HIP_vector_typeIfLj2EEffffjfiS5_IjLj3EEiiiiiiiiiiiliiliiiiil.has_recursion, 0
	.set _ZL15flash_attn_tileILi112ELi112ELi64ELi1ELb0EEvPKcS1_S1_S1_S1_PKiPfP15HIP_vector_typeIfLj2EEffffjfiS5_IjLj3EEiiiiiiiiiiiliiliiiiil.has_indirect_call, 0
	.section	.AMDGPU.csdata,"",@progbits
; Kernel info:
; codeLenInByte = 48428
; TotalNumSgprs: 98
; NumVgprs: 128
; ScratchSize: 672
; MemoryBound: 0
; FloatMode: 240
; IeeeMode: 1
; LDSByteSize: 22592 bytes/workgroup (compile time only)
; SGPRBlocks: 12
; VGPRBlocks: 31
; NumSGPRsForWavesPerEU: 102
; NumVGPRsForWavesPerEU: 128
; Occupancy: 2
; WaveLimiterHint : 1
; COMPUTE_PGM_RSRC2:SCRATCH_EN: 1
; COMPUTE_PGM_RSRC2:USER_SGPR: 8
; COMPUTE_PGM_RSRC2:TRAP_HANDLER: 0
; COMPUTE_PGM_RSRC2:TGID_X_EN: 1
; COMPUTE_PGM_RSRC2:TGID_Y_EN: 1
; COMPUTE_PGM_RSRC2:TGID_Z_EN: 1
; COMPUTE_PGM_RSRC2:TIDIG_COMP_CNT: 1
	.section	.text._ZL25flash_attn_mask_to_KV_maxILi64EEvPK7__half2Piiii,"axG",@progbits,_ZL25flash_attn_mask_to_KV_maxILi64EEvPK7__half2Piiii,comdat
	.globl	_ZL25flash_attn_mask_to_KV_maxILi64EEvPK7__half2Piiii ; -- Begin function _ZL25flash_attn_mask_to_KV_maxILi64EEvPK7__half2Piiii
	.p2align	8
	.type	_ZL25flash_attn_mask_to_KV_maxILi64EEvPK7__half2Piiii,@function
_ZL25flash_attn_mask_to_KV_maxILi64EEvPK7__half2Piiii: ; @_ZL25flash_attn_mask_to_KV_maxILi64EEvPK7__half2Piiii
; %bb.0:
	s_load_dwordx4 s[8:11], s[4:5], 0x0
	v_cmp_gt_u32_e32 vcc, 32, v0
	s_and_saveexec_b64 s[0:1], vcc
; %bb.1:
	v_lshlrev_b32_e32 v1, 2, v0
	v_mov_b32_e32 v2, 1
	ds_write_b32 v1, v2
; %bb.2:
	s_or_b64 exec, exec, s[0:1]
	s_load_dwordx4 s[12:15], s[4:5], 0x10
	s_load_dword s33, s[4:5], 0x20
	v_and_b32_e32 v1, 31, v0
	v_lshlrev_b32_e32 v6, 2, v1
	v_lshrrev_b32_e32 v5, 3, v0
	s_waitcnt lgkmcnt(0)
	s_mul_i32 s1, s6, s13
	s_mul_i32 s0, s14, s7
	s_lshl_b32 s1, s1, 6
	s_add_i32 s0, s0, s1
	s_ashr_i32 s1, s0, 31
	s_lshl_b64 s[0:1], s[0:1], 2
	s_add_u32 s94, s8, s0
	s_addc_u32 s95, s9, s1
	v_cmp_eq_u32_e64 s[0:1], 0, v1
	v_mbcnt_lo_u32_b32 v1, -1, 0
	s_lshl_b32 s12, s12, 8
	s_mov_b64 s[4:5], 0
	v_mov_b32_e32 v2, 0
	s_movk_i32 s92, 0x204
	v_mbcnt_hi_u32_b32 v7, -1, v1
	s_barrier
                                        ; implicit-def: $sgpr2_sgpr3
	s_branch .LBB53_5
.LBB53_3:                               ;   in Loop: Header=BB53_5 Depth=1
	s_or_b64 exec, exec, s[8:9]
	s_waitcnt lgkmcnt(0)
	s_barrier
	ds_read_b32 v10, v6
	s_waitcnt lgkmcnt(0)
	s_barrier
	ds_bpermute_b32 v1, v1, v10
	v_cmp_ne_u32_e32 vcc, 0, v10
	s_waitcnt lgkmcnt(0)
	v_cmp_ne_u32_e64 s[2:3], 0, v1
	s_and_b64 s[2:3], vcc, s[2:3]
	v_cndmask_b32_e64 v1, 0, 1, s[2:3]
	ds_bpermute_b32 v1, v3, v1
	s_waitcnt lgkmcnt(0)
	v_cmp_ne_u32_e32 vcc, 0, v1
	s_and_b64 s[2:3], vcc, s[2:3]
	v_cndmask_b32_e64 v1, 0, 1, s[2:3]
	ds_bpermute_b32 v1, v4, v1
	s_waitcnt lgkmcnt(0)
	v_cmp_ne_u32_e32 vcc, 0, v1
	;; [unrolled: 5-line block ×3, first 2 shown]
	s_and_b64 s[2:3], vcc, s[2:3]
	v_cndmask_b32_e64 v1, 0, 1, s[2:3]
	ds_bpermute_b32 v1, v9, v1
	s_xor_b64 s[2:3], s[2:3], -1
	s_waitcnt lgkmcnt(0)
	v_cmp_eq_u32_e32 vcc, 0, v1
	s_or_b64 s[2:3], vcc, s[2:3]
.LBB53_4:                               ;   in Loop: Header=BB53_5 Depth=1
	s_and_b64 s[8:9], exec, s[2:3]
	s_or_b64 s[4:5], s[8:9], s[4:5]
	v_mov_b32_e32 v1, s12
	s_mov_b32 s12, s93
	s_andn2_b64 exec, exec, s[4:5]
	s_cbranch_execz .LBB53_260
.LBB53_5:                               ; =>This Inner Loop Header: Depth=1
	s_add_i32 s93, s12, 0xffffff00
	s_or_b64 s[2:3], s[2:3], exec
	s_cmp_lt_i32 s93, 0
	s_cbranch_scc1 .LBB53_4
; %bb.6:                                ;   in Loop: Header=BB53_5 Depth=1
	s_lshr_b32 s2, s93, 1
	v_add_u32_e32 v1, s2, v0
	v_lshlrev_b64 v[3:4], 2, v[1:2]
	v_mov_b32_e32 v8, s95
	v_add_co_u32_e32 v3, vcc, s94, v3
	v_addc_co_u32_e32 v4, vcc, v8, v4, vcc
	global_load_dword v3, v[3:4], off
	v_mov_b32_e32 v4, 0
	s_waitcnt vmcnt(0)
	v_cmp_class_f16_e64 s[2:3], v3, s92
	v_cmp_class_f16_sdwa s[8:9], v3, s92 src0_sel:WORD_1 src1_sel:DWORD
	s_and_b64 s[8:9], s[2:3], s[8:9]
	s_and_saveexec_b64 s[2:3], s[8:9]
	s_cbranch_execz .LBB53_258
; %bb.7:                                ;   in Loop: Header=BB53_5 Depth=1
	v_add_u32_e32 v3, s13, v1
	v_ashrrev_i32_e32 v4, 31, v3
	v_lshlrev_b64 v[8:9], 2, v[3:4]
	v_mov_b32_e32 v1, s95
	v_add_co_u32_e32 v8, vcc, s94, v8
	v_addc_co_u32_e32 v9, vcc, v1, v9, vcc
	global_load_dword v1, v[8:9], off
	v_mov_b32_e32 v4, 0
	s_waitcnt vmcnt(0)
	v_cmp_class_f16_e64 s[14:15], v1, s92
	s_and_saveexec_b64 s[8:9], s[14:15]
	s_cbranch_execz .LBB53_257
; %bb.8:                                ;   in Loop: Header=BB53_5 Depth=1
	v_cmp_class_f16_sdwa s[16:17], v1, s92 src0_sel:WORD_1 src1_sel:DWORD
	v_mov_b32_e32 v4, 0
	s_and_saveexec_b64 s[14:15], s[16:17]
	s_cbranch_execz .LBB53_256
; %bb.9:                                ;   in Loop: Header=BB53_5 Depth=1
	v_add_u32_e32 v3, s13, v3
	v_ashrrev_i32_e32 v4, 31, v3
	v_lshlrev_b64 v[8:9], 2, v[3:4]
	v_mov_b32_e32 v1, s95
	v_add_co_u32_e32 v8, vcc, s94, v8
	v_addc_co_u32_e32 v9, vcc, v1, v9, vcc
	global_load_dword v1, v[8:9], off
	v_mov_b32_e32 v4, 0
	s_waitcnt vmcnt(0)
	v_cmp_class_f16_e64 s[18:19], v1, s92
	s_and_saveexec_b64 s[16:17], s[18:19]
	s_cbranch_execz .LBB53_255
; %bb.10:                               ;   in Loop: Header=BB53_5 Depth=1
	v_cmp_class_f16_sdwa s[20:21], v1, s92 src0_sel:WORD_1 src1_sel:DWORD
	v_mov_b32_e32 v4, 0
	s_and_saveexec_b64 s[18:19], s[20:21]
	s_cbranch_execz .LBB53_254
; %bb.11:                               ;   in Loop: Header=BB53_5 Depth=1
	v_add_u32_e32 v3, s13, v3
	v_ashrrev_i32_e32 v4, 31, v3
	v_lshlrev_b64 v[8:9], 2, v[3:4]
	v_mov_b32_e32 v1, s95
	v_add_co_u32_e32 v8, vcc, s94, v8
	v_addc_co_u32_e32 v9, vcc, v1, v9, vcc
	global_load_dword v1, v[8:9], off
	v_mov_b32_e32 v4, 0
	s_waitcnt vmcnt(0)
	v_cmp_class_f16_e64 s[22:23], v1, s92
	s_and_saveexec_b64 s[20:21], s[22:23]
	s_cbranch_execz .LBB53_253
; %bb.12:                               ;   in Loop: Header=BB53_5 Depth=1
	v_cmp_class_f16_sdwa s[24:25], v1, s92 src0_sel:WORD_1 src1_sel:DWORD
	v_mov_b32_e32 v4, 0
	s_and_saveexec_b64 s[22:23], s[24:25]
	s_cbranch_execz .LBB53_252
; %bb.13:                               ;   in Loop: Header=BB53_5 Depth=1
	;; [unrolled: 18-line block ×18, first 2 shown]
	v_add_u32_e32 v3, s13, v3
	v_ashrrev_i32_e32 v4, 31, v3
	v_lshlrev_b64 v[8:9], 2, v[3:4]
	v_mov_b32_e32 v1, s95
	v_add_co_u32_e32 v8, vcc, s94, v8
	v_addc_co_u32_e32 v9, vcc, v1, v9, vcc
	global_load_dword v1, v[8:9], off
	v_mov_b32_e32 v4, 0
	s_waitcnt vmcnt(0)
	v_cmp_class_f16_e64 vcc, v1, s92
	s_mov_b64 s[90:91], exec
                                        ; implicit-def: $vgpr14 : SGPR spill to VGPR lane
	v_writelane_b32 v14, s90, 0
	s_and_b64 vcc, s[90:91], vcc
	v_writelane_b32 v14, s91, 1
	s_mov_b64 exec, vcc
	s_cbranch_execz .LBB53_219
; %bb.46:                               ;   in Loop: Header=BB53_5 Depth=1
	v_mov_b32_e32 v4, 0
	v_cmp_class_f16_sdwa s[90:91], v1, s92 src0_sel:WORD_1 src1_sel:DWORD
	s_mov_b64 vcc, exec
	v_writelane_b32 v14, vcc_lo, 2
	s_and_b64 s[90:91], vcc, s[90:91]
	v_writelane_b32 v14, vcc_hi, 3
	s_mov_b64 exec, s[90:91]
	s_cbranch_execz .LBB53_218
; %bb.47:                               ;   in Loop: Header=BB53_5 Depth=1
	v_add_u32_e32 v3, s13, v3
	v_ashrrev_i32_e32 v4, 31, v3
	v_lshlrev_b64 v[8:9], 2, v[3:4]
	v_mov_b32_e32 v1, s95
	v_add_co_u32_e32 v8, vcc, s94, v8
	v_addc_co_u32_e32 v9, vcc, v1, v9, vcc
	global_load_dword v1, v[8:9], off
	v_mov_b32_e32 v4, 0
	s_waitcnt vmcnt(0)
	v_cmp_class_f16_e64 s[90:91], v1, s92
	s_mov_b64 vcc, exec
	v_writelane_b32 v14, vcc_lo, 4
	s_and_b64 s[90:91], vcc, s[90:91]
	v_writelane_b32 v14, vcc_hi, 5
	s_mov_b64 exec, s[90:91]
	s_cbranch_execz .LBB53_217
; %bb.48:                               ;   in Loop: Header=BB53_5 Depth=1
	v_mov_b32_e32 v4, 0
	v_cmp_class_f16_sdwa s[90:91], v1, s92 src0_sel:WORD_1 src1_sel:DWORD
	s_mov_b64 vcc, exec
	v_writelane_b32 v14, vcc_lo, 6
	s_and_b64 s[90:91], vcc, s[90:91]
	v_writelane_b32 v14, vcc_hi, 7
	s_mov_b64 exec, s[90:91]
	s_cbranch_execz .LBB53_216
; %bb.49:                               ;   in Loop: Header=BB53_5 Depth=1
	v_add_u32_e32 v3, s13, v3
	v_ashrrev_i32_e32 v4, 31, v3
	v_lshlrev_b64 v[8:9], 2, v[3:4]
	v_mov_b32_e32 v1, s95
	v_add_co_u32_e32 v8, vcc, s94, v8
	v_addc_co_u32_e32 v9, vcc, v1, v9, vcc
	global_load_dword v1, v[8:9], off
	v_mov_b32_e32 v4, 0
	s_waitcnt vmcnt(0)
	v_cmp_class_f16_e64 s[90:91], v1, s92
	s_mov_b64 vcc, exec
	v_writelane_b32 v14, vcc_lo, 8
	s_and_b64 s[90:91], vcc, s[90:91]
	v_writelane_b32 v14, vcc_hi, 9
	s_mov_b64 exec, s[90:91]
	;; [unrolled: 26-line block ×15, first 2 shown]
	s_cbranch_execz .LBB53_189
; %bb.76:                               ;   in Loop: Header=BB53_5 Depth=1
	v_mov_b32_e32 v4, 0
	v_cmp_class_f16_sdwa s[90:91], v1, s92 src0_sel:WORD_1 src1_sel:DWORD
	s_mov_b64 vcc, exec
	v_writelane_b32 v14, vcc_lo, 62
	s_and_b64 s[90:91], vcc, s[90:91]
	v_writelane_b32 v14, vcc_hi, 63
	s_mov_b64 exec, s[90:91]
	s_cbranch_execz .LBB53_188
; %bb.77:                               ;   in Loop: Header=BB53_5 Depth=1
	v_add_u32_e32 v3, s13, v3
	v_ashrrev_i32_e32 v4, 31, v3
	v_lshlrev_b64 v[8:9], 2, v[3:4]
	v_mov_b32_e32 v1, s95
	v_add_co_u32_e32 v8, vcc, s94, v8
	v_addc_co_u32_e32 v9, vcc, v1, v9, vcc
	global_load_dword v1, v[8:9], off
	v_mov_b32_e32 v4, 0
	s_waitcnt vmcnt(0)
	v_cmp_class_f16_e64 s[90:91], v1, s92
	s_mov_b64 vcc, exec
                                        ; implicit-def: $vgpr13 : SGPR spill to VGPR lane
	v_writelane_b32 v13, vcc_lo, 0
	s_and_b64 s[90:91], vcc, s[90:91]
	v_writelane_b32 v13, vcc_hi, 1
	s_mov_b64 exec, s[90:91]
	s_cbranch_execz .LBB53_187
; %bb.78:                               ;   in Loop: Header=BB53_5 Depth=1
	v_mov_b32_e32 v4, 0
	v_cmp_class_f16_sdwa s[90:91], v1, s92 src0_sel:WORD_1 src1_sel:DWORD
	s_mov_b64 vcc, exec
	v_writelane_b32 v13, vcc_lo, 2
	s_and_b64 s[90:91], vcc, s[90:91]
	v_writelane_b32 v13, vcc_hi, 3
	s_mov_b64 exec, s[90:91]
	s_cbranch_execz .LBB53_186
; %bb.79:                               ;   in Loop: Header=BB53_5 Depth=1
	v_add_u32_e32 v3, s13, v3
	v_ashrrev_i32_e32 v4, 31, v3
	v_lshlrev_b64 v[8:9], 2, v[3:4]
	v_mov_b32_e32 v1, s95
	v_add_co_u32_e32 v8, vcc, s94, v8
	v_addc_co_u32_e32 v9, vcc, v1, v9, vcc
	global_load_dword v1, v[8:9], off
	v_mov_b32_e32 v4, 0
	s_waitcnt vmcnt(0)
	v_cmp_class_f16_e64 s[90:91], v1, s92
	s_mov_b64 vcc, exec
	v_writelane_b32 v13, vcc_lo, 4
	s_and_b64 s[90:91], vcc, s[90:91]
	v_writelane_b32 v13, vcc_hi, 5
	s_mov_b64 exec, s[90:91]
	s_cbranch_execz .LBB53_185
; %bb.80:                               ;   in Loop: Header=BB53_5 Depth=1
	v_mov_b32_e32 v4, 0
	v_cmp_class_f16_sdwa s[90:91], v1, s92 src0_sel:WORD_1 src1_sel:DWORD
	s_mov_b64 vcc, exec
	v_writelane_b32 v13, vcc_lo, 6
	s_and_b64 s[90:91], vcc, s[90:91]
	v_writelane_b32 v13, vcc_hi, 7
	s_mov_b64 exec, s[90:91]
	s_cbranch_execz .LBB53_184
; %bb.81:                               ;   in Loop: Header=BB53_5 Depth=1
	v_add_u32_e32 v3, s13, v3
	v_ashrrev_i32_e32 v4, 31, v3
	v_lshlrev_b64 v[8:9], 2, v[3:4]
	v_mov_b32_e32 v1, s95
	v_add_co_u32_e32 v8, vcc, s94, v8
	v_addc_co_u32_e32 v9, vcc, v1, v9, vcc
	global_load_dword v1, v[8:9], off
	v_mov_b32_e32 v4, 0
	s_waitcnt vmcnt(0)
	v_cmp_class_f16_e64 s[90:91], v1, s92
	s_mov_b64 vcc, exec
	;; [unrolled: 26-line block ×11, first 2 shown]
	v_writelane_b32 v13, vcc_lo, 44
	s_and_b64 s[90:91], vcc, s[90:91]
	v_writelane_b32 v13, vcc_hi, 45
	s_mov_b64 exec, s[90:91]
	s_cbranch_execz .LBB53_165
; %bb.100:                              ;   in Loop: Header=BB53_5 Depth=1
	v_mov_b32_e32 v4, 0
	v_cmp_class_f16_sdwa s[90:91], v1, s92 src0_sel:WORD_1 src1_sel:DWORD
	s_mov_b64 vcc, exec
	v_writelane_b32 v13, vcc_lo, 46
	s_and_b64 s[90:91], vcc, s[90:91]
	v_writelane_b32 v13, vcc_hi, 47
	s_mov_b64 exec, s[90:91]
	s_cbranch_execz .LBB53_164
; %bb.101:                              ;   in Loop: Header=BB53_5 Depth=1
	v_add_u32_e32 v3, s13, v3
	v_ashrrev_i32_e32 v4, 31, v3
	v_lshlrev_b64 v[8:9], 2, v[3:4]
	v_mov_b32_e32 v1, s95
	v_add_co_u32_e32 v8, vcc, s94, v8
	v_addc_co_u32_e32 v9, vcc, v1, v9, vcc
	global_load_dword v1, v[8:9], off
	v_mov_b32_e32 v4, 0
	s_waitcnt vmcnt(0)
	v_cmp_class_f16_e64 s[90:91], v1, s92
	s_mov_b64 vcc, exec
	v_writelane_b32 v13, vcc_lo, 48
	s_and_b64 s[90:91], vcc, s[90:91]
	v_writelane_b32 v13, vcc_hi, 49
	s_mov_b64 exec, s[90:91]
	s_cbranch_execz .LBB53_163
; %bb.102:                              ;   in Loop: Header=BB53_5 Depth=1
	v_mov_b32_e32 v4, 0
	v_cmp_class_f16_sdwa s[90:91], v1, s92 src0_sel:WORD_1 src1_sel:DWORD
	s_mov_b64 vcc, exec
	v_writelane_b32 v13, vcc_lo, 50
	s_and_b64 s[90:91], vcc, s[90:91]
	v_writelane_b32 v13, vcc_hi, 51
	s_mov_b64 exec, s[90:91]
	s_cbranch_execz .LBB53_162
; %bb.103:                              ;   in Loop: Header=BB53_5 Depth=1
	v_add_u32_e32 v3, s13, v3
	v_ashrrev_i32_e32 v4, 31, v3
	v_lshlrev_b64 v[8:9], 2, v[3:4]
	v_mov_b32_e32 v1, s95
	v_add_co_u32_e32 v8, vcc, s94, v8
	v_addc_co_u32_e32 v9, vcc, v1, v9, vcc
	global_load_dword v1, v[8:9], off
	v_mov_b32_e32 v4, 0
	s_waitcnt vmcnt(0)
	v_cmp_class_f16_e64 s[90:91], v1, s92
	s_mov_b64 vcc, exec
	v_writelane_b32 v13, vcc_lo, 52
	s_and_b64 s[90:91], vcc, s[90:91]
	v_writelane_b32 v13, vcc_hi, 53
	s_mov_b64 exec, s[90:91]
	s_cbranch_execz .LBB53_161
; %bb.104:                              ;   in Loop: Header=BB53_5 Depth=1
	v_mov_b32_e32 v4, 0
	v_cmp_class_f16_sdwa s[90:91], v1, s92 src0_sel:WORD_1 src1_sel:DWORD
	s_mov_b64 vcc, exec
	v_writelane_b32 v13, vcc_lo, 54
	s_and_b64 s[90:91], vcc, s[90:91]
	v_writelane_b32 v13, vcc_hi, 55
	s_mov_b64 exec, s[90:91]
	s_cbranch_execz .LBB53_160
; %bb.105:                              ;   in Loop: Header=BB53_5 Depth=1
	v_add_u32_e32 v3, s13, v3
	v_ashrrev_i32_e32 v4, 31, v3
	v_lshlrev_b64 v[8:9], 2, v[3:4]
	v_mov_b32_e32 v1, s95
	v_add_co_u32_e32 v8, vcc, s94, v8
	v_addc_co_u32_e32 v9, vcc, v1, v9, vcc
	global_load_dword v1, v[8:9], off
	v_mov_b32_e32 v4, 0
	s_waitcnt vmcnt(0)
	v_cmp_class_f16_e64 s[90:91], v1, s92
	s_mov_b64 vcc, exec
	v_writelane_b32 v13, vcc_lo, 56
	s_and_b64 s[90:91], vcc, s[90:91]
	v_writelane_b32 v13, vcc_hi, 57
	s_mov_b64 exec, s[90:91]
	s_cbranch_execz .LBB53_159
; %bb.106:                              ;   in Loop: Header=BB53_5 Depth=1
	v_mov_b32_e32 v4, 0
	v_cmp_class_f16_sdwa s[90:91], v1, s92 src0_sel:WORD_1 src1_sel:DWORD
	s_mov_b64 vcc, exec
	v_writelane_b32 v13, vcc_lo, 58
	s_and_b64 s[90:91], vcc, s[90:91]
	v_writelane_b32 v13, vcc_hi, 59
	s_mov_b64 exec, s[90:91]
	s_cbranch_execz .LBB53_158
; %bb.107:                              ;   in Loop: Header=BB53_5 Depth=1
	v_add_u32_e32 v3, s13, v3
	v_ashrrev_i32_e32 v4, 31, v3
	v_lshlrev_b64 v[8:9], 2, v[3:4]
	v_mov_b32_e32 v1, s95
	v_add_co_u32_e32 v8, vcc, s94, v8
	v_addc_co_u32_e32 v9, vcc, v1, v9, vcc
	global_load_dword v1, v[8:9], off
	v_mov_b32_e32 v4, 0
	s_waitcnt vmcnt(0)
	v_cmp_class_f16_e64 s[90:91], v1, s92
	s_mov_b64 vcc, exec
	v_writelane_b32 v13, vcc_lo, 60
	s_and_b64 s[90:91], vcc, s[90:91]
	v_writelane_b32 v13, vcc_hi, 61
	s_mov_b64 exec, s[90:91]
	s_cbranch_execz .LBB53_157
; %bb.108:                              ;   in Loop: Header=BB53_5 Depth=1
	v_mov_b32_e32 v4, 0
	v_cmp_class_f16_sdwa s[90:91], v1, s92 src0_sel:WORD_1 src1_sel:DWORD
	s_mov_b64 vcc, exec
	v_writelane_b32 v13, vcc_lo, 62
	s_and_b64 s[90:91], vcc, s[90:91]
	v_writelane_b32 v13, vcc_hi, 63
	s_mov_b64 exec, s[90:91]
	s_cbranch_execz .LBB53_156
; %bb.109:                              ;   in Loop: Header=BB53_5 Depth=1
	v_add_u32_e32 v3, s13, v3
	v_ashrrev_i32_e32 v4, 31, v3
	v_lshlrev_b64 v[8:9], 2, v[3:4]
	v_mov_b32_e32 v1, s95
	v_add_co_u32_e32 v8, vcc, s94, v8
	v_addc_co_u32_e32 v9, vcc, v1, v9, vcc
	global_load_dword v1, v[8:9], off
	v_mov_b32_e32 v4, 0
	s_waitcnt vmcnt(0)
	v_cmp_class_f16_e64 s[90:91], v1, s92
	s_mov_b64 vcc, exec
                                        ; implicit-def: $vgpr12 : SGPR spill to VGPR lane
	v_writelane_b32 v12, vcc_lo, 0
	s_and_b64 s[90:91], vcc, s[90:91]
	v_writelane_b32 v12, vcc_hi, 1
	s_mov_b64 exec, s[90:91]
	s_cbranch_execz .LBB53_155
; %bb.110:                              ;   in Loop: Header=BB53_5 Depth=1
	v_mov_b32_e32 v4, 0
	v_cmp_class_f16_sdwa s[90:91], v1, s92 src0_sel:WORD_1 src1_sel:DWORD
	s_mov_b64 vcc, exec
	v_writelane_b32 v12, vcc_lo, 2
	s_and_b64 s[90:91], vcc, s[90:91]
	v_writelane_b32 v12, vcc_hi, 3
	s_mov_b64 exec, s[90:91]
	s_cbranch_execz .LBB53_154
; %bb.111:                              ;   in Loop: Header=BB53_5 Depth=1
	v_add_u32_e32 v3, s13, v3
	v_ashrrev_i32_e32 v4, 31, v3
	v_lshlrev_b64 v[8:9], 2, v[3:4]
	v_mov_b32_e32 v1, s95
	v_add_co_u32_e32 v8, vcc, s94, v8
	v_addc_co_u32_e32 v9, vcc, v1, v9, vcc
	global_load_dword v1, v[8:9], off
	v_mov_b32_e32 v4, 0
	s_waitcnt vmcnt(0)
	v_cmp_class_f16_e64 s[90:91], v1, s92
	s_mov_b64 vcc, exec
	v_writelane_b32 v12, vcc_lo, 4
	s_and_b64 s[90:91], vcc, s[90:91]
	v_writelane_b32 v12, vcc_hi, 5
	s_mov_b64 exec, s[90:91]
	s_cbranch_execz .LBB53_153
; %bb.112:                              ;   in Loop: Header=BB53_5 Depth=1
	v_mov_b32_e32 v4, 0
	v_cmp_class_f16_sdwa s[90:91], v1, s92 src0_sel:WORD_1 src1_sel:DWORD
	s_mov_b64 vcc, exec
	v_writelane_b32 v12, vcc_lo, 6
	s_and_b64 s[90:91], vcc, s[90:91]
	v_writelane_b32 v12, vcc_hi, 7
	s_mov_b64 exec, s[90:91]
	s_cbranch_execz .LBB53_152
; %bb.113:                              ;   in Loop: Header=BB53_5 Depth=1
	v_add_u32_e32 v3, s13, v3
	v_ashrrev_i32_e32 v4, 31, v3
	v_lshlrev_b64 v[8:9], 2, v[3:4]
	v_mov_b32_e32 v1, s95
	v_add_co_u32_e32 v8, vcc, s94, v8
	v_addc_co_u32_e32 v9, vcc, v1, v9, vcc
	global_load_dword v1, v[8:9], off
	v_mov_b32_e32 v4, 0
	s_waitcnt vmcnt(0)
	v_cmp_class_f16_e64 s[90:91], v1, s92
	s_mov_b64 vcc, exec
	;; [unrolled: 26-line block ×11, first 2 shown]
	v_writelane_b32 v12, vcc_lo, 44
	s_and_b64 s[90:91], vcc, s[90:91]
	v_writelane_b32 v12, vcc_hi, 45
	s_mov_b64 exec, s[90:91]
; %bb.132:                              ;   in Loop: Header=BB53_5 Depth=1
	v_cmp_class_f16_sdwa s[90:91], v1, s92 src0_sel:WORD_1 src1_sel:DWORD
	v_cndmask_b32_e64 v4, 0, 1, s[90:91]
; %bb.133:                              ;   in Loop: Header=BB53_5 Depth=1
	v_readlane_b32 s90, v12, 44
	v_readlane_b32 s91, v12, 45
	s_or_b64 exec, exec, s[90:91]
.LBB53_134:                             ;   in Loop: Header=BB53_5 Depth=1
	v_readlane_b32 s90, v12, 42
	v_readlane_b32 s91, v12, 43
	s_or_b64 exec, exec, s[90:91]
.LBB53_135:                             ;   in Loop: Header=BB53_5 Depth=1
	v_readlane_b32 s90, v12, 40
	v_readlane_b32 s91, v12, 41
	s_or_b64 exec, exec, s[90:91]
.LBB53_136:                             ;   in Loop: Header=BB53_5 Depth=1
	v_readlane_b32 s90, v12, 38
	v_readlane_b32 s91, v12, 39
	s_or_b64 exec, exec, s[90:91]
.LBB53_137:                             ;   in Loop: Header=BB53_5 Depth=1
	v_readlane_b32 s90, v12, 36
	v_readlane_b32 s91, v12, 37
	s_or_b64 exec, exec, s[90:91]
.LBB53_138:                             ;   in Loop: Header=BB53_5 Depth=1
	v_readlane_b32 s90, v12, 34
	v_readlane_b32 s91, v12, 35
	s_or_b64 exec, exec, s[90:91]
.LBB53_139:                             ;   in Loop: Header=BB53_5 Depth=1
	v_readlane_b32 s90, v12, 32
	v_readlane_b32 s91, v12, 33
	s_or_b64 exec, exec, s[90:91]
.LBB53_140:                             ;   in Loop: Header=BB53_5 Depth=1
	v_readlane_b32 s90, v12, 30
	v_readlane_b32 s91, v12, 31
	s_or_b64 exec, exec, s[90:91]
.LBB53_141:                             ;   in Loop: Header=BB53_5 Depth=1
	v_readlane_b32 s90, v12, 28
	v_readlane_b32 s91, v12, 29
	s_or_b64 exec, exec, s[90:91]
.LBB53_142:                             ;   in Loop: Header=BB53_5 Depth=1
	v_readlane_b32 s90, v12, 26
	v_readlane_b32 s91, v12, 27
	s_or_b64 exec, exec, s[90:91]
.LBB53_143:                             ;   in Loop: Header=BB53_5 Depth=1
	v_readlane_b32 s90, v12, 24
	v_readlane_b32 s91, v12, 25
	s_or_b64 exec, exec, s[90:91]
.LBB53_144:                             ;   in Loop: Header=BB53_5 Depth=1
	v_readlane_b32 s90, v12, 22
	v_readlane_b32 s91, v12, 23
	s_or_b64 exec, exec, s[90:91]
.LBB53_145:                             ;   in Loop: Header=BB53_5 Depth=1
	v_readlane_b32 s90, v12, 20
	v_readlane_b32 s91, v12, 21
	s_or_b64 exec, exec, s[90:91]
.LBB53_146:                             ;   in Loop: Header=BB53_5 Depth=1
	v_readlane_b32 s90, v12, 18
	v_readlane_b32 s91, v12, 19
	s_or_b64 exec, exec, s[90:91]
.LBB53_147:                             ;   in Loop: Header=BB53_5 Depth=1
	v_readlane_b32 s90, v12, 16
	v_readlane_b32 s91, v12, 17
	s_or_b64 exec, exec, s[90:91]
.LBB53_148:                             ;   in Loop: Header=BB53_5 Depth=1
	v_readlane_b32 s90, v12, 14
	v_readlane_b32 s91, v12, 15
	s_or_b64 exec, exec, s[90:91]
.LBB53_149:                             ;   in Loop: Header=BB53_5 Depth=1
	v_readlane_b32 s90, v12, 12
	v_readlane_b32 s91, v12, 13
	s_or_b64 exec, exec, s[90:91]
.LBB53_150:                             ;   in Loop: Header=BB53_5 Depth=1
	v_readlane_b32 s90, v12, 10
	v_readlane_b32 s91, v12, 11
	s_or_b64 exec, exec, s[90:91]
.LBB53_151:                             ;   in Loop: Header=BB53_5 Depth=1
	v_readlane_b32 s90, v12, 8
	v_readlane_b32 s91, v12, 9
	s_or_b64 exec, exec, s[90:91]
.LBB53_152:                             ;   in Loop: Header=BB53_5 Depth=1
	v_readlane_b32 s90, v12, 6
	v_readlane_b32 s91, v12, 7
	s_or_b64 exec, exec, s[90:91]
.LBB53_153:                             ;   in Loop: Header=BB53_5 Depth=1
	v_readlane_b32 s90, v12, 4
	v_readlane_b32 s91, v12, 5
	s_or_b64 exec, exec, s[90:91]
.LBB53_154:                             ;   in Loop: Header=BB53_5 Depth=1
	v_readlane_b32 s90, v12, 2
	v_readlane_b32 s91, v12, 3
	s_or_b64 exec, exec, s[90:91]
.LBB53_155:                             ;   in Loop: Header=BB53_5 Depth=1
	v_readlane_b32 s90, v12, 0
	v_readlane_b32 s91, v12, 1
	s_or_b64 exec, exec, s[90:91]
.LBB53_156:                             ;   in Loop: Header=BB53_5 Depth=1
	v_readlane_b32 s90, v13, 62
	v_readlane_b32 s91, v13, 63
	s_or_b64 exec, exec, s[90:91]
.LBB53_157:                             ;   in Loop: Header=BB53_5 Depth=1
	v_readlane_b32 s90, v13, 60
	v_readlane_b32 s91, v13, 61
	s_or_b64 exec, exec, s[90:91]
.LBB53_158:                             ;   in Loop: Header=BB53_5 Depth=1
	v_readlane_b32 s90, v13, 58
	v_readlane_b32 s91, v13, 59
	s_or_b64 exec, exec, s[90:91]
.LBB53_159:                             ;   in Loop: Header=BB53_5 Depth=1
	v_readlane_b32 s90, v13, 56
	v_readlane_b32 s91, v13, 57
	s_or_b64 exec, exec, s[90:91]
.LBB53_160:                             ;   in Loop: Header=BB53_5 Depth=1
	v_readlane_b32 s90, v13, 54
	v_readlane_b32 s91, v13, 55
	s_or_b64 exec, exec, s[90:91]
.LBB53_161:                             ;   in Loop: Header=BB53_5 Depth=1
	v_readlane_b32 s90, v13, 52
	v_readlane_b32 s91, v13, 53
	s_or_b64 exec, exec, s[90:91]
.LBB53_162:                             ;   in Loop: Header=BB53_5 Depth=1
	v_readlane_b32 s90, v13, 50
	v_readlane_b32 s91, v13, 51
	s_or_b64 exec, exec, s[90:91]
.LBB53_163:                             ;   in Loop: Header=BB53_5 Depth=1
	v_readlane_b32 s90, v13, 48
	v_readlane_b32 s91, v13, 49
	s_or_b64 exec, exec, s[90:91]
.LBB53_164:                             ;   in Loop: Header=BB53_5 Depth=1
	v_readlane_b32 s90, v13, 46
	v_readlane_b32 s91, v13, 47
	s_or_b64 exec, exec, s[90:91]
.LBB53_165:                             ;   in Loop: Header=BB53_5 Depth=1
	v_readlane_b32 s90, v13, 44
	v_readlane_b32 s91, v13, 45
	s_or_b64 exec, exec, s[90:91]
.LBB53_166:                             ;   in Loop: Header=BB53_5 Depth=1
	v_readlane_b32 s90, v13, 42
	v_readlane_b32 s91, v13, 43
	s_or_b64 exec, exec, s[90:91]
.LBB53_167:                             ;   in Loop: Header=BB53_5 Depth=1
	v_readlane_b32 s90, v13, 40
	v_readlane_b32 s91, v13, 41
	s_or_b64 exec, exec, s[90:91]
.LBB53_168:                             ;   in Loop: Header=BB53_5 Depth=1
	v_readlane_b32 s90, v13, 38
	v_readlane_b32 s91, v13, 39
	s_or_b64 exec, exec, s[90:91]
.LBB53_169:                             ;   in Loop: Header=BB53_5 Depth=1
	v_readlane_b32 s90, v13, 36
	v_readlane_b32 s91, v13, 37
	s_or_b64 exec, exec, s[90:91]
.LBB53_170:                             ;   in Loop: Header=BB53_5 Depth=1
	v_readlane_b32 s90, v13, 34
	v_readlane_b32 s91, v13, 35
	s_or_b64 exec, exec, s[90:91]
.LBB53_171:                             ;   in Loop: Header=BB53_5 Depth=1
	v_readlane_b32 s90, v13, 32
	v_readlane_b32 s91, v13, 33
	s_or_b64 exec, exec, s[90:91]
.LBB53_172:                             ;   in Loop: Header=BB53_5 Depth=1
	v_readlane_b32 s90, v13, 30
	v_readlane_b32 s91, v13, 31
	s_or_b64 exec, exec, s[90:91]
.LBB53_173:                             ;   in Loop: Header=BB53_5 Depth=1
	v_readlane_b32 s90, v13, 28
	v_readlane_b32 s91, v13, 29
	s_or_b64 exec, exec, s[90:91]
.LBB53_174:                             ;   in Loop: Header=BB53_5 Depth=1
	v_readlane_b32 s90, v13, 26
	v_readlane_b32 s91, v13, 27
	s_or_b64 exec, exec, s[90:91]
.LBB53_175:                             ;   in Loop: Header=BB53_5 Depth=1
	v_readlane_b32 s90, v13, 24
	v_readlane_b32 s91, v13, 25
	s_or_b64 exec, exec, s[90:91]
.LBB53_176:                             ;   in Loop: Header=BB53_5 Depth=1
	v_readlane_b32 s90, v13, 22
	v_readlane_b32 s91, v13, 23
	s_or_b64 exec, exec, s[90:91]
.LBB53_177:                             ;   in Loop: Header=BB53_5 Depth=1
	v_readlane_b32 s90, v13, 20
	v_readlane_b32 s91, v13, 21
	s_or_b64 exec, exec, s[90:91]
.LBB53_178:                             ;   in Loop: Header=BB53_5 Depth=1
	v_readlane_b32 s90, v13, 18
	v_readlane_b32 s91, v13, 19
	s_or_b64 exec, exec, s[90:91]
.LBB53_179:                             ;   in Loop: Header=BB53_5 Depth=1
	v_readlane_b32 s90, v13, 16
	v_readlane_b32 s91, v13, 17
	s_or_b64 exec, exec, s[90:91]
.LBB53_180:                             ;   in Loop: Header=BB53_5 Depth=1
	v_readlane_b32 s90, v13, 14
	v_readlane_b32 s91, v13, 15
	s_or_b64 exec, exec, s[90:91]
.LBB53_181:                             ;   in Loop: Header=BB53_5 Depth=1
	v_readlane_b32 s90, v13, 12
	v_readlane_b32 s91, v13, 13
	s_or_b64 exec, exec, s[90:91]
.LBB53_182:                             ;   in Loop: Header=BB53_5 Depth=1
	v_readlane_b32 s90, v13, 10
	v_readlane_b32 s91, v13, 11
	s_or_b64 exec, exec, s[90:91]
.LBB53_183:                             ;   in Loop: Header=BB53_5 Depth=1
	v_readlane_b32 s90, v13, 8
	v_readlane_b32 s91, v13, 9
	s_or_b64 exec, exec, s[90:91]
.LBB53_184:                             ;   in Loop: Header=BB53_5 Depth=1
	v_readlane_b32 s90, v13, 6
	v_readlane_b32 s91, v13, 7
	s_or_b64 exec, exec, s[90:91]
.LBB53_185:                             ;   in Loop: Header=BB53_5 Depth=1
	v_readlane_b32 s90, v13, 4
	v_readlane_b32 s91, v13, 5
	s_or_b64 exec, exec, s[90:91]
.LBB53_186:                             ;   in Loop: Header=BB53_5 Depth=1
	v_readlane_b32 s90, v13, 2
	v_readlane_b32 s91, v13, 3
	s_or_b64 exec, exec, s[90:91]
.LBB53_187:                             ;   in Loop: Header=BB53_5 Depth=1
	v_readlane_b32 s90, v13, 0
	v_readlane_b32 s91, v13, 1
	s_or_b64 exec, exec, s[90:91]
.LBB53_188:                             ;   in Loop: Header=BB53_5 Depth=1
	v_readlane_b32 s90, v14, 62
	v_readlane_b32 s91, v14, 63
	s_or_b64 exec, exec, s[90:91]
.LBB53_189:                             ;   in Loop: Header=BB53_5 Depth=1
	v_readlane_b32 s90, v14, 60
	v_readlane_b32 s91, v14, 61
	s_or_b64 exec, exec, s[90:91]
.LBB53_190:                             ;   in Loop: Header=BB53_5 Depth=1
	v_readlane_b32 s90, v14, 58
	v_readlane_b32 s91, v14, 59
	s_or_b64 exec, exec, s[90:91]
.LBB53_191:                             ;   in Loop: Header=BB53_5 Depth=1
	v_readlane_b32 s90, v14, 56
	v_readlane_b32 s91, v14, 57
	s_or_b64 exec, exec, s[90:91]
.LBB53_192:                             ;   in Loop: Header=BB53_5 Depth=1
	v_readlane_b32 s90, v14, 54
	v_readlane_b32 s91, v14, 55
	s_or_b64 exec, exec, s[90:91]
.LBB53_193:                             ;   in Loop: Header=BB53_5 Depth=1
	v_readlane_b32 s90, v14, 52
	v_readlane_b32 s91, v14, 53
	s_or_b64 exec, exec, s[90:91]
.LBB53_194:                             ;   in Loop: Header=BB53_5 Depth=1
	v_readlane_b32 s90, v14, 50
	v_readlane_b32 s91, v14, 51
	s_or_b64 exec, exec, s[90:91]
.LBB53_195:                             ;   in Loop: Header=BB53_5 Depth=1
	v_readlane_b32 s90, v14, 48
	v_readlane_b32 s91, v14, 49
	s_or_b64 exec, exec, s[90:91]
.LBB53_196:                             ;   in Loop: Header=BB53_5 Depth=1
	v_readlane_b32 s90, v14, 46
	v_readlane_b32 s91, v14, 47
	s_or_b64 exec, exec, s[90:91]
.LBB53_197:                             ;   in Loop: Header=BB53_5 Depth=1
	v_readlane_b32 s90, v14, 44
	v_readlane_b32 s91, v14, 45
	s_or_b64 exec, exec, s[90:91]
.LBB53_198:                             ;   in Loop: Header=BB53_5 Depth=1
	v_readlane_b32 s90, v14, 42
	v_readlane_b32 s91, v14, 43
	s_or_b64 exec, exec, s[90:91]
.LBB53_199:                             ;   in Loop: Header=BB53_5 Depth=1
	v_readlane_b32 s90, v14, 40
	v_readlane_b32 s91, v14, 41
	s_or_b64 exec, exec, s[90:91]
.LBB53_200:                             ;   in Loop: Header=BB53_5 Depth=1
	v_readlane_b32 s90, v14, 38
	v_readlane_b32 s91, v14, 39
	s_or_b64 exec, exec, s[90:91]
.LBB53_201:                             ;   in Loop: Header=BB53_5 Depth=1
	v_readlane_b32 s90, v14, 36
	v_readlane_b32 s91, v14, 37
	s_or_b64 exec, exec, s[90:91]
.LBB53_202:                             ;   in Loop: Header=BB53_5 Depth=1
	v_readlane_b32 s90, v14, 34
	v_readlane_b32 s91, v14, 35
	s_or_b64 exec, exec, s[90:91]
.LBB53_203:                             ;   in Loop: Header=BB53_5 Depth=1
	v_readlane_b32 s90, v14, 32
	v_readlane_b32 s91, v14, 33
	s_or_b64 exec, exec, s[90:91]
.LBB53_204:                             ;   in Loop: Header=BB53_5 Depth=1
	v_readlane_b32 s90, v14, 30
	v_readlane_b32 s91, v14, 31
	s_or_b64 exec, exec, s[90:91]
.LBB53_205:                             ;   in Loop: Header=BB53_5 Depth=1
	v_readlane_b32 s90, v14, 28
	v_readlane_b32 s91, v14, 29
	s_or_b64 exec, exec, s[90:91]
.LBB53_206:                             ;   in Loop: Header=BB53_5 Depth=1
	v_readlane_b32 s90, v14, 26
	v_readlane_b32 s91, v14, 27
	s_or_b64 exec, exec, s[90:91]
.LBB53_207:                             ;   in Loop: Header=BB53_5 Depth=1
	v_readlane_b32 s90, v14, 24
	v_readlane_b32 s91, v14, 25
	s_or_b64 exec, exec, s[90:91]
.LBB53_208:                             ;   in Loop: Header=BB53_5 Depth=1
	v_readlane_b32 s90, v14, 22
	v_readlane_b32 s91, v14, 23
	s_or_b64 exec, exec, s[90:91]
.LBB53_209:                             ;   in Loop: Header=BB53_5 Depth=1
	v_readlane_b32 s90, v14, 20
	v_readlane_b32 s91, v14, 21
	s_or_b64 exec, exec, s[90:91]
.LBB53_210:                             ;   in Loop: Header=BB53_5 Depth=1
	v_readlane_b32 s90, v14, 18
	v_readlane_b32 s91, v14, 19
	s_or_b64 exec, exec, s[90:91]
.LBB53_211:                             ;   in Loop: Header=BB53_5 Depth=1
	v_readlane_b32 s90, v14, 16
	v_readlane_b32 s91, v14, 17
	s_or_b64 exec, exec, s[90:91]
.LBB53_212:                             ;   in Loop: Header=BB53_5 Depth=1
	v_readlane_b32 s90, v14, 14
	v_readlane_b32 s91, v14, 15
	s_or_b64 exec, exec, s[90:91]
.LBB53_213:                             ;   in Loop: Header=BB53_5 Depth=1
	v_readlane_b32 s90, v14, 12
	v_readlane_b32 s91, v14, 13
	s_or_b64 exec, exec, s[90:91]
.LBB53_214:                             ;   in Loop: Header=BB53_5 Depth=1
	v_readlane_b32 s90, v14, 10
	v_readlane_b32 s91, v14, 11
	s_or_b64 exec, exec, s[90:91]
.LBB53_215:                             ;   in Loop: Header=BB53_5 Depth=1
	v_readlane_b32 s90, v14, 8
	v_readlane_b32 s91, v14, 9
	s_or_b64 exec, exec, s[90:91]
.LBB53_216:                             ;   in Loop: Header=BB53_5 Depth=1
	v_readlane_b32 s90, v14, 6
	v_readlane_b32 s91, v14, 7
	s_or_b64 exec, exec, s[90:91]
.LBB53_217:                             ;   in Loop: Header=BB53_5 Depth=1
	v_readlane_b32 s90, v14, 4
	v_readlane_b32 s91, v14, 5
	s_or_b64 exec, exec, s[90:91]
.LBB53_218:                             ;   in Loop: Header=BB53_5 Depth=1
	v_readlane_b32 s90, v14, 2
	v_readlane_b32 s91, v14, 3
	s_or_b64 exec, exec, s[90:91]
.LBB53_219:                             ;   in Loop: Header=BB53_5 Depth=1
	v_readlane_b32 s90, v14, 0
	v_readlane_b32 s91, v14, 1
	s_or_b64 exec, exec, s[90:91]
.LBB53_220:                             ;   in Loop: Header=BB53_5 Depth=1
	s_or_b64 exec, exec, s[88:89]
.LBB53_221:                             ;   in Loop: Header=BB53_5 Depth=1
	s_or_b64 exec, exec, s[86:87]
.LBB53_222:                             ;   in Loop: Header=BB53_5 Depth=1
	s_or_b64 exec, exec, s[84:85]
.LBB53_223:                             ;   in Loop: Header=BB53_5 Depth=1
	s_or_b64 exec, exec, s[82:83]
.LBB53_224:                             ;   in Loop: Header=BB53_5 Depth=1
	s_or_b64 exec, exec, s[80:81]
.LBB53_225:                             ;   in Loop: Header=BB53_5 Depth=1
	s_or_b64 exec, exec, s[78:79]
.LBB53_226:                             ;   in Loop: Header=BB53_5 Depth=1
	s_or_b64 exec, exec, s[76:77]
.LBB53_227:                             ;   in Loop: Header=BB53_5 Depth=1
	s_or_b64 exec, exec, s[74:75]
.LBB53_228:                             ;   in Loop: Header=BB53_5 Depth=1
	s_or_b64 exec, exec, s[72:73]
.LBB53_229:                             ;   in Loop: Header=BB53_5 Depth=1
	s_or_b64 exec, exec, s[70:71]
.LBB53_230:                             ;   in Loop: Header=BB53_5 Depth=1
	s_or_b64 exec, exec, s[68:69]
.LBB53_231:                             ;   in Loop: Header=BB53_5 Depth=1
	s_or_b64 exec, exec, s[66:67]
.LBB53_232:                             ;   in Loop: Header=BB53_5 Depth=1
	s_or_b64 exec, exec, s[64:65]
.LBB53_233:                             ;   in Loop: Header=BB53_5 Depth=1
	s_or_b64 exec, exec, s[62:63]
.LBB53_234:                             ;   in Loop: Header=BB53_5 Depth=1
	s_or_b64 exec, exec, s[60:61]
.LBB53_235:                             ;   in Loop: Header=BB53_5 Depth=1
	s_or_b64 exec, exec, s[58:59]
.LBB53_236:                             ;   in Loop: Header=BB53_5 Depth=1
	s_or_b64 exec, exec, s[56:57]
.LBB53_237:                             ;   in Loop: Header=BB53_5 Depth=1
	s_or_b64 exec, exec, s[54:55]
.LBB53_238:                             ;   in Loop: Header=BB53_5 Depth=1
	s_or_b64 exec, exec, s[52:53]
.LBB53_239:                             ;   in Loop: Header=BB53_5 Depth=1
	s_or_b64 exec, exec, s[50:51]
.LBB53_240:                             ;   in Loop: Header=BB53_5 Depth=1
	s_or_b64 exec, exec, s[48:49]
.LBB53_241:                             ;   in Loop: Header=BB53_5 Depth=1
	s_or_b64 exec, exec, s[46:47]
.LBB53_242:                             ;   in Loop: Header=BB53_5 Depth=1
	s_or_b64 exec, exec, s[44:45]
.LBB53_243:                             ;   in Loop: Header=BB53_5 Depth=1
	s_or_b64 exec, exec, s[42:43]
.LBB53_244:                             ;   in Loop: Header=BB53_5 Depth=1
	s_or_b64 exec, exec, s[40:41]
.LBB53_245:                             ;   in Loop: Header=BB53_5 Depth=1
	s_or_b64 exec, exec, s[38:39]
.LBB53_246:                             ;   in Loop: Header=BB53_5 Depth=1
	s_or_b64 exec, exec, s[36:37]
.LBB53_247:                             ;   in Loop: Header=BB53_5 Depth=1
	s_or_b64 exec, exec, s[34:35]
.LBB53_248:                             ;   in Loop: Header=BB53_5 Depth=1
	s_or_b64 exec, exec, s[30:31]
.LBB53_249:                             ;   in Loop: Header=BB53_5 Depth=1
	s_or_b64 exec, exec, s[28:29]
.LBB53_250:                             ;   in Loop: Header=BB53_5 Depth=1
	s_or_b64 exec, exec, s[26:27]
.LBB53_251:                             ;   in Loop: Header=BB53_5 Depth=1
	s_or_b64 exec, exec, s[24:25]
.LBB53_252:                             ;   in Loop: Header=BB53_5 Depth=1
	s_or_b64 exec, exec, s[22:23]
.LBB53_253:                             ;   in Loop: Header=BB53_5 Depth=1
	s_or_b64 exec, exec, s[20:21]
.LBB53_254:                             ;   in Loop: Header=BB53_5 Depth=1
	s_or_b64 exec, exec, s[18:19]
.LBB53_255:                             ;   in Loop: Header=BB53_5 Depth=1
	s_or_b64 exec, exec, s[16:17]
.LBB53_256:                             ;   in Loop: Header=BB53_5 Depth=1
	s_or_b64 exec, exec, s[14:15]
.LBB53_257:                             ;   in Loop: Header=BB53_5 Depth=1
	s_or_b64 exec, exec, s[8:9]
.LBB53_258:                             ;   in Loop: Header=BB53_5 Depth=1
	s_or_b64 exec, exec, s[2:3]
	v_and_b32_e32 v1, 0x60, v7
	v_add_u32_e32 v9, 32, v1
	v_xor_b32_e32 v1, 16, v7
	v_cmp_lt_i32_e32 vcc, v1, v9
	v_cndmask_b32_e32 v1, v7, v1, vcc
	v_lshlrev_b32_e32 v1, 2, v1
	ds_bpermute_b32 v3, v1, v4
	v_cmp_ne_u32_e32 vcc, 0, v4
	v_xor_b32_e32 v11, 1, v7
	s_waitcnt lgkmcnt(0)
	v_cmp_ne_u32_e64 s[2:3], 0, v3
	v_xor_b32_e32 v3, 8, v7
	s_and_b64 s[2:3], vcc, s[2:3]
	v_cmp_lt_i32_e32 vcc, v3, v9
	v_cndmask_b32_e32 v3, v7, v3, vcc
	v_cndmask_b32_e64 v4, 0, 1, s[2:3]
	v_lshlrev_b32_e32 v3, 2, v3
	ds_bpermute_b32 v4, v3, v4
	s_waitcnt lgkmcnt(0)
	v_cmp_ne_u32_e32 vcc, 0, v4
	v_xor_b32_e32 v4, 4, v7
	s_and_b64 s[2:3], vcc, s[2:3]
	v_cmp_lt_i32_e32 vcc, v4, v9
	v_cndmask_b32_e32 v4, v7, v4, vcc
	v_cndmask_b32_e64 v8, 0, 1, s[2:3]
	v_lshlrev_b32_e32 v4, 2, v4
	ds_bpermute_b32 v8, v4, v8
	s_waitcnt lgkmcnt(0)
	v_cmp_ne_u32_e32 vcc, 0, v8
	;; [unrolled: 9-line block ×3, first 2 shown]
	s_and_b64 s[2:3], vcc, s[2:3]
	v_cmp_lt_i32_e32 vcc, v11, v9
	v_cndmask_b32_e32 v9, v7, v11, vcc
	v_cndmask_b32_e64 v10, 0, 1, s[2:3]
	v_lshlrev_b32_e32 v9, 2, v9
	ds_bpermute_b32 v10, v9, v10
	s_and_saveexec_b64 s[8:9], s[0:1]
	s_cbranch_execz .LBB53_3
; %bb.259:                              ;   in Loop: Header=BB53_5 Depth=1
	s_waitcnt lgkmcnt(0)
	v_cmp_ne_u32_e32 vcc, 0, v10
	s_and_b64 s[2:3], vcc, s[2:3]
	v_cndmask_b32_e64 v10, 0, 1, s[2:3]
	ds_write_b32 v5, v10
	s_branch .LBB53_3
.LBB53_260:
	s_or_b64 exec, exec, s[4:5]
	v_cmp_eq_u32_e32 vcc, 0, v0
	s_and_saveexec_b64 s[0:1], vcc
	s_cbranch_execz .LBB53_262
; %bb.261:
	s_mul_i32 s0, s33, s7
	s_add_i32 s0, s0, s6
	s_ashr_i32 s1, s0, 31
	s_lshl_b64 s[0:1], s[0:1], 2
	s_add_u32 s0, s10, s0
	s_addc_u32 s1, s11, s1
	v_mov_b32_e32 v0, 0
	global_store_dword v0, v1, s[0:1]
.LBB53_262:
	s_endpgm
	.section	.rodata,"a",@progbits
	.p2align	6, 0x0
	.amdhsa_kernel _ZL25flash_attn_mask_to_KV_maxILi64EEvPK7__half2Piiii
		.amdhsa_group_segment_fixed_size 128
		.amdhsa_private_segment_fixed_size 0
		.amdhsa_kernarg_size 288
		.amdhsa_user_sgpr_count 6
		.amdhsa_user_sgpr_private_segment_buffer 1
		.amdhsa_user_sgpr_dispatch_ptr 0
		.amdhsa_user_sgpr_queue_ptr 0
		.amdhsa_user_sgpr_kernarg_segment_ptr 1
		.amdhsa_user_sgpr_dispatch_id 0
		.amdhsa_user_sgpr_flat_scratch_init 0
		.amdhsa_user_sgpr_private_segment_size 0
		.amdhsa_uses_dynamic_stack 0
		.amdhsa_system_sgpr_private_segment_wavefront_offset 0
		.amdhsa_system_sgpr_workgroup_id_x 1
		.amdhsa_system_sgpr_workgroup_id_y 1
		.amdhsa_system_sgpr_workgroup_id_z 0
		.amdhsa_system_sgpr_workgroup_info 0
		.amdhsa_system_vgpr_workitem_id 0
		.amdhsa_next_free_vgpr 15
		.amdhsa_next_free_sgpr 96
		.amdhsa_reserve_vcc 1
		.amdhsa_reserve_flat_scratch 0
		.amdhsa_float_round_mode_32 0
		.amdhsa_float_round_mode_16_64 0
		.amdhsa_float_denorm_mode_32 3
		.amdhsa_float_denorm_mode_16_64 3
		.amdhsa_dx10_clamp 1
		.amdhsa_ieee_mode 1
		.amdhsa_fp16_overflow 0
		.amdhsa_exception_fp_ieee_invalid_op 0
		.amdhsa_exception_fp_denorm_src 0
		.amdhsa_exception_fp_ieee_div_zero 0
		.amdhsa_exception_fp_ieee_overflow 0
		.amdhsa_exception_fp_ieee_underflow 0
		.amdhsa_exception_fp_ieee_inexact 0
		.amdhsa_exception_int_div_zero 0
	.end_amdhsa_kernel
	.section	.text._ZL25flash_attn_mask_to_KV_maxILi64EEvPK7__half2Piiii,"axG",@progbits,_ZL25flash_attn_mask_to_KV_maxILi64EEvPK7__half2Piiii,comdat
.Lfunc_end53:
	.size	_ZL25flash_attn_mask_to_KV_maxILi64EEvPK7__half2Piiii, .Lfunc_end53-_ZL25flash_attn_mask_to_KV_maxILi64EEvPK7__half2Piiii
                                        ; -- End function
	.set _ZL25flash_attn_mask_to_KV_maxILi64EEvPK7__half2Piiii.num_vgpr, 15
	.set _ZL25flash_attn_mask_to_KV_maxILi64EEvPK7__half2Piiii.num_agpr, 0
	.set _ZL25flash_attn_mask_to_KV_maxILi64EEvPK7__half2Piiii.numbered_sgpr, 96
	.set _ZL25flash_attn_mask_to_KV_maxILi64EEvPK7__half2Piiii.num_named_barrier, 0
	.set _ZL25flash_attn_mask_to_KV_maxILi64EEvPK7__half2Piiii.private_seg_size, 0
	.set _ZL25flash_attn_mask_to_KV_maxILi64EEvPK7__half2Piiii.uses_vcc, 1
	.set _ZL25flash_attn_mask_to_KV_maxILi64EEvPK7__half2Piiii.uses_flat_scratch, 0
	.set _ZL25flash_attn_mask_to_KV_maxILi64EEvPK7__half2Piiii.has_dyn_sized_stack, 0
	.set _ZL25flash_attn_mask_to_KV_maxILi64EEvPK7__half2Piiii.has_recursion, 0
	.set _ZL25flash_attn_mask_to_KV_maxILi64EEvPK7__half2Piiii.has_indirect_call, 0
	.section	.AMDGPU.csdata,"",@progbits
; Kernel info:
; codeLenInByte = 9768
; TotalNumSgprs: 100
; NumVgprs: 15
; ScratchSize: 0
; MemoryBound: 0
; FloatMode: 240
; IeeeMode: 1
; LDSByteSize: 128 bytes/workgroup (compile time only)
; SGPRBlocks: 12
; VGPRBlocks: 3
; NumSGPRsForWavesPerEU: 100
; NumVGPRsForWavesPerEU: 15
; Occupancy: 8
; WaveLimiterHint : 0
; COMPUTE_PGM_RSRC2:SCRATCH_EN: 0
; COMPUTE_PGM_RSRC2:USER_SGPR: 6
; COMPUTE_PGM_RSRC2:TRAP_HANDLER: 0
; COMPUTE_PGM_RSRC2:TGID_X_EN: 1
; COMPUTE_PGM_RSRC2:TGID_Y_EN: 1
; COMPUTE_PGM_RSRC2:TGID_Z_EN: 0
; COMPUTE_PGM_RSRC2:TIDIG_COMP_CNT: 0
	.section	.text._ZL33flash_attn_stream_k_fixup_uniformILi112ELi64ELi1EEvPfPK15HIP_vector_typeIfLj2EEiiiiiiS1_IjLj3EES5_S5_,"axG",@progbits,_ZL33flash_attn_stream_k_fixup_uniformILi112ELi64ELi1EEvPfPK15HIP_vector_typeIfLj2EEiiiiiiS1_IjLj3EES5_S5_,comdat
	.globl	_ZL33flash_attn_stream_k_fixup_uniformILi112ELi64ELi1EEvPfPK15HIP_vector_typeIfLj2EEiiiiiiS1_IjLj3EES5_S5_ ; -- Begin function _ZL33flash_attn_stream_k_fixup_uniformILi112ELi64ELi1EEvPfPK15HIP_vector_typeIfLj2EEiiiiiiS1_IjLj3EES5_S5_
	.p2align	8
	.type	_ZL33flash_attn_stream_k_fixup_uniformILi112ELi64ELi1EEvPfPK15HIP_vector_typeIfLj2EEiiiiiiS1_IjLj3EES5_S5_,@function
_ZL33flash_attn_stream_k_fixup_uniformILi112ELi64ELi1EEvPfPK15HIP_vector_typeIfLj2EEiiiiiiS1_IjLj3EES5_S5_: ; @_ZL33flash_attn_stream_k_fixup_uniformILi112ELi64ELi1EEvPfPK15HIP_vector_typeIfLj2EEiiiiiiS1_IjLj3EES5_S5_
; %bb.0:
	s_load_dwordx8 s[12:19], s[4:5], 0x1c
	s_load_dwordx2 s[10:11], s[4:5], 0x10
	s_load_dwordx4 s[0:3], s[4:5], 0x3c
	s_waitcnt lgkmcnt(0)
	s_mul_hi_u32 s9, s15, s6
	s_add_i32 s9, s6, s9
	s_lshr_b32 s9, s9, s16
	s_mul_i32 s15, s9, s17
	s_sub_i32 s16, s6, s15
	s_mul_hi_u32 s15, s16, s18
	s_add_i32 s15, s16, s15
	s_lshr_b32 s15, s15, s19
	s_mul_i32 s0, s15, s0
	s_sub_i32 s0, s16, s0
	;; [unrolled: 5-line block ×3, first 2 shown]
	s_lshl_b32 s0, s16, 6
	s_add_i32 s0, s0, s7
	s_cmp_lt_i32 s0, s10
	s_cselect_b64 s[0:1], -1, 0
	s_add_i32 s17, s17, s8
	s_cmp_lt_i32 s17, s13
	s_cselect_b64 s[2:3], -1, 0
	s_and_b64 s[0:1], s[0:1], s[2:3]
	s_andn2_b64 vcc, exec, s[0:1]
	s_cbranch_vccnz .LBB54_6
; %bb.1:
	s_load_dwordx4 s[0:3], s[4:5], 0x0
	s_mul_i32 s4, s9, s10
	s_mul_i32 s15, s15, s13
	s_add_i32 s4, s4, s7
	s_mul_i32 s5, s11, s16
	s_mul_i32 s4, s4, s11
	s_add_i32 s9, s17, s15
	s_mulk_i32 s5, 0x1c00
	s_add_i32 s4, s9, s4
	s_mulk_i32 s4, 0x70
	v_or_b32_e32 v1, s5, v0
	v_add_u32_e32 v1, s4, v1
	v_ashrrev_i32_e32 v2, 31, v1
	v_lshlrev_b64 v[1:2], 2, v[1:2]
	s_waitcnt lgkmcnt(0)
	v_mov_b32_e32 v3, s1
	v_add_co_u32_e32 v1, vcc, s0, v1
	v_addc_co_u32_e32 v2, vcc, v3, v2, vcc
	global_load_dword v8, v[1:2], off
	s_add_i32 s4, s7, s8
	s_mul_i32 s7, s14, s6
	s_add_i32 s5, s7, s14
	s_lshl_b32 s0, s5, 6
	s_add_i32 s0, s4, s0
	s_sub_i32 s0, s0, 64
	s_ashr_i32 s1, s0, 31
	s_lshl_b64 s[0:1], s[0:1], 3
	s_add_u32 s0, s2, s0
	s_addc_u32 s1, s3, s1
	s_load_dword s10, s[0:1], 0x4
	s_add_i32 s8, s5, -2
	s_cmp_lt_i32 s8, s7
	s_cbranch_scc1 .LBB54_4
; %bb.2:
	s_lshl_b32 s8, s12, 8
	s_ashr_i32 s9, s8, 31
	s_lshl_b64 s[8:9], s[8:9], 2
	s_add_u32 s8, s2, s8
	s_addc_u32 s11, s3, s9
	s_load_dword s0, s[0:1], 0x0
	s_add_i32 s6, s6, 1
	s_add_i32 s9, s5, -1
	s_mul_i32 s5, s14, s6
	s_mul_i32 s1, s4, 0x70
	s_lshl_b32 s6, s5, 6
	s_mulk_i32 s5, 0x1c00
	s_add_i32 s4, s4, s6
	s_lshl_b32 s6, s12, 6
	s_add_i32 s1, s1, s5
	s_add_i32 s4, s4, s6
	v_add_u32_e32 v0, s1, v0
	s_addk_i32 s4, 0xff80
	v_add_u32_e32 v3, 0xffffc800, v0
	s_waitcnt lgkmcnt(0)
	v_mov_b32_e32 v7, s10
	v_mov_b32_e32 v6, s0
	;; [unrolled: 1-line block ×3, first 2 shown]
	s_mov_b32 s6, 0x3fb8aa3b
	s_mov_b32 s10, 0xc2ce8ed0
	s_mov_b32 s11, 0x42b17218
	v_mov_b32_e32 v5, 0x7f800000
	s_mov_b32 s12, 0xc1a00000
.LBB54_3:                               ; =>This Inner Loop Header: Depth=1
	v_ashrrev_i32_e32 v4, 31, v3
	v_lshlrev_b64 v[9:10], 2, v[3:4]
	s_ashr_i32 s5, s4, 31
	v_add_co_u32_e32 v9, vcc, s8, v9
	v_addc_co_u32_e32 v10, vcc, v0, v10, vcc
	global_load_dword v4, v[9:10], off
	s_lshl_b64 s[0:1], s[4:5], 3
	s_add_u32 s0, s2, s0
	s_addc_u32 s1, s3, s1
	s_load_dwordx2 s[14:15], s[0:1], 0x0
	s_waitcnt vmcnt(1)
	v_mov_b32_e32 v9, v8
	v_max_f32_e32 v8, v6, v6
	v_mov_b32_e32 v10, v7
	s_add_i32 s9, s9, -1
	s_waitcnt lgkmcnt(0)
	v_max_f32_e64 v7, s14, s14
	v_max_f32_e32 v7, v8, v7
	v_sub_f32_e32 v11, s14, v7
	v_sub_f32_e32 v8, v6, v7
	v_mul_f32_e32 v12, 0x3fb8aa3b, v11
	v_mov_b32_e32 v6, v7
	v_mul_f32_e32 v7, 0x3fb8aa3b, v8
	v_fma_f32 v15, v11, s6, -v12
	v_rndne_f32_e32 v16, v12
	v_fma_f32 v13, v8, s6, -v7
	v_rndne_f32_e32 v14, v7
	v_fmac_f32_e32 v15, 0x32a5705f, v11
	v_sub_f32_e32 v12, v12, v16
	v_fmac_f32_e32 v13, 0x32a5705f, v8
	v_sub_f32_e32 v7, v7, v14
	v_add_f32_e32 v12, v12, v15
	v_cvt_i32_f32_e32 v16, v16
	v_add_f32_e32 v7, v7, v13
	v_exp_f32_e32 v12, v12
	v_cvt_i32_f32_e32 v14, v14
	v_exp_f32_e32 v7, v7
	v_cmp_ngt_f32_e32 vcc, s10, v11
	v_ldexp_f32 v12, v12, v16
	v_cmp_ngt_f32_e64 s[0:1], s10, v8
	v_ldexp_f32 v7, v7, v14
	v_cndmask_b32_e32 v12, 0, v12, vcc
	v_cmp_nlt_f32_e32 vcc, s11, v11
	v_cndmask_b32_e64 v7, 0, v7, s[0:1]
	v_cmp_nlt_f32_e64 s[0:1], s11, v8
	v_cndmask_b32_e32 v12, v5, v12, vcc
	v_cmp_le_f32_e32 vcc, s12, v11
	v_cndmask_b32_e64 v7, v5, v7, s[0:1]
	v_cmp_le_f32_e64 s[0:1], s12, v8
	v_cndmask_b32_e32 v8, 0, v12, vcc
	s_sub_i32 s4, s4, 64
	v_cndmask_b32_e64 v11, 0, v7, s[0:1]
	v_mul_f32_e32 v7, s15, v8
	v_add_u32_e32 v3, 0xffffe400, v3
	s_cmp_le_i32 s9, s7
	v_fmac_f32_e32 v7, v10, v11
	s_waitcnt vmcnt(0)
	v_mul_f32_e32 v8, v4, v8
	v_fmac_f32_e32 v8, v9, v11
	s_cbranch_scc0 .LBB54_3
	s_branch .LBB54_5
.LBB54_4:
	s_waitcnt lgkmcnt(0)
	v_mov_b32_e32 v7, s10
.LBB54_5:
	s_waitcnt vmcnt(0)
	v_div_scale_f32 v0, s[0:1], v7, v7, v8
	v_div_scale_f32 v3, vcc, v8, v7, v8
	v_rcp_f32_e32 v4, v0
	v_fma_f32 v5, -v0, v4, 1.0
	v_fmac_f32_e32 v4, v5, v4
	v_mul_f32_e32 v5, v3, v4
	v_fma_f32 v6, -v0, v5, v3
	v_fmac_f32_e32 v5, v6, v4
	v_fma_f32 v0, -v0, v5, v3
	v_div_fmas_f32 v0, v0, v4, v5
	v_div_fixup_f32 v0, v0, v7, v8
	global_store_dword v[1:2], v0, off
.LBB54_6:
	s_endpgm
	.section	.rodata,"a",@progbits
	.p2align	6, 0x0
	.amdhsa_kernel _ZL33flash_attn_stream_k_fixup_uniformILi112ELi64ELi1EEvPfPK15HIP_vector_typeIfLj2EEiiiiiiS1_IjLj3EES5_S5_
		.amdhsa_group_segment_fixed_size 0
		.amdhsa_private_segment_fixed_size 0
		.amdhsa_kernarg_size 76
		.amdhsa_user_sgpr_count 6
		.amdhsa_user_sgpr_private_segment_buffer 1
		.amdhsa_user_sgpr_dispatch_ptr 0
		.amdhsa_user_sgpr_queue_ptr 0
		.amdhsa_user_sgpr_kernarg_segment_ptr 1
		.amdhsa_user_sgpr_dispatch_id 0
		.amdhsa_user_sgpr_flat_scratch_init 0
		.amdhsa_user_sgpr_private_segment_size 0
		.amdhsa_uses_dynamic_stack 0
		.amdhsa_system_sgpr_private_segment_wavefront_offset 0
		.amdhsa_system_sgpr_workgroup_id_x 1
		.amdhsa_system_sgpr_workgroup_id_y 1
		.amdhsa_system_sgpr_workgroup_id_z 1
		.amdhsa_system_sgpr_workgroup_info 0
		.amdhsa_system_vgpr_workitem_id 0
		.amdhsa_next_free_vgpr 17
		.amdhsa_next_free_sgpr 20
		.amdhsa_reserve_vcc 1
		.amdhsa_reserve_flat_scratch 0
		.amdhsa_float_round_mode_32 0
		.amdhsa_float_round_mode_16_64 0
		.amdhsa_float_denorm_mode_32 3
		.amdhsa_float_denorm_mode_16_64 3
		.amdhsa_dx10_clamp 1
		.amdhsa_ieee_mode 1
		.amdhsa_fp16_overflow 0
		.amdhsa_exception_fp_ieee_invalid_op 0
		.amdhsa_exception_fp_denorm_src 0
		.amdhsa_exception_fp_ieee_div_zero 0
		.amdhsa_exception_fp_ieee_overflow 0
		.amdhsa_exception_fp_ieee_underflow 0
		.amdhsa_exception_fp_ieee_inexact 0
		.amdhsa_exception_int_div_zero 0
	.end_amdhsa_kernel
	.section	.text._ZL33flash_attn_stream_k_fixup_uniformILi112ELi64ELi1EEvPfPK15HIP_vector_typeIfLj2EEiiiiiiS1_IjLj3EES5_S5_,"axG",@progbits,_ZL33flash_attn_stream_k_fixup_uniformILi112ELi64ELi1EEvPfPK15HIP_vector_typeIfLj2EEiiiiiiS1_IjLj3EES5_S5_,comdat
.Lfunc_end54:
	.size	_ZL33flash_attn_stream_k_fixup_uniformILi112ELi64ELi1EEvPfPK15HIP_vector_typeIfLj2EEiiiiiiS1_IjLj3EES5_S5_, .Lfunc_end54-_ZL33flash_attn_stream_k_fixup_uniformILi112ELi64ELi1EEvPfPK15HIP_vector_typeIfLj2EEiiiiiiS1_IjLj3EES5_S5_
                                        ; -- End function
	.set _ZL33flash_attn_stream_k_fixup_uniformILi112ELi64ELi1EEvPfPK15HIP_vector_typeIfLj2EEiiiiiiS1_IjLj3EES5_S5_.num_vgpr, 17
	.set _ZL33flash_attn_stream_k_fixup_uniformILi112ELi64ELi1EEvPfPK15HIP_vector_typeIfLj2EEiiiiiiS1_IjLj3EES5_S5_.num_agpr, 0
	.set _ZL33flash_attn_stream_k_fixup_uniformILi112ELi64ELi1EEvPfPK15HIP_vector_typeIfLj2EEiiiiiiS1_IjLj3EES5_S5_.numbered_sgpr, 20
	.set _ZL33flash_attn_stream_k_fixup_uniformILi112ELi64ELi1EEvPfPK15HIP_vector_typeIfLj2EEiiiiiiS1_IjLj3EES5_S5_.num_named_barrier, 0
	.set _ZL33flash_attn_stream_k_fixup_uniformILi112ELi64ELi1EEvPfPK15HIP_vector_typeIfLj2EEiiiiiiS1_IjLj3EES5_S5_.private_seg_size, 0
	.set _ZL33flash_attn_stream_k_fixup_uniformILi112ELi64ELi1EEvPfPK15HIP_vector_typeIfLj2EEiiiiiiS1_IjLj3EES5_S5_.uses_vcc, 1
	.set _ZL33flash_attn_stream_k_fixup_uniformILi112ELi64ELi1EEvPfPK15HIP_vector_typeIfLj2EEiiiiiiS1_IjLj3EES5_S5_.uses_flat_scratch, 0
	.set _ZL33flash_attn_stream_k_fixup_uniformILi112ELi64ELi1EEvPfPK15HIP_vector_typeIfLj2EEiiiiiiS1_IjLj3EES5_S5_.has_dyn_sized_stack, 0
	.set _ZL33flash_attn_stream_k_fixup_uniformILi112ELi64ELi1EEvPfPK15HIP_vector_typeIfLj2EEiiiiiiS1_IjLj3EES5_S5_.has_recursion, 0
	.set _ZL33flash_attn_stream_k_fixup_uniformILi112ELi64ELi1EEvPfPK15HIP_vector_typeIfLj2EEiiiiiiS1_IjLj3EES5_S5_.has_indirect_call, 0
	.section	.AMDGPU.csdata,"",@progbits
; Kernel info:
; codeLenInByte = 836
; TotalNumSgprs: 24
; NumVgprs: 17
; ScratchSize: 0
; MemoryBound: 0
; FloatMode: 240
; IeeeMode: 1
; LDSByteSize: 0 bytes/workgroup (compile time only)
; SGPRBlocks: 2
; VGPRBlocks: 4
; NumSGPRsForWavesPerEU: 24
; NumVGPRsForWavesPerEU: 17
; Occupancy: 10
; WaveLimiterHint : 0
; COMPUTE_PGM_RSRC2:SCRATCH_EN: 0
; COMPUTE_PGM_RSRC2:USER_SGPR: 6
; COMPUTE_PGM_RSRC2:TRAP_HANDLER: 0
; COMPUTE_PGM_RSRC2:TGID_X_EN: 1
; COMPUTE_PGM_RSRC2:TGID_Y_EN: 1
; COMPUTE_PGM_RSRC2:TGID_Z_EN: 1
; COMPUTE_PGM_RSRC2:TIDIG_COMP_CNT: 0
	.section	.text._ZL33flash_attn_stream_k_fixup_generalILi112ELi64ELi1EEvPfPK15HIP_vector_typeIfLj2EEiiiiS1_IjLj3EES5_S5_S5_,"axG",@progbits,_ZL33flash_attn_stream_k_fixup_generalILi112ELi64ELi1EEvPfPK15HIP_vector_typeIfLj2EEiiiiS1_IjLj3EES5_S5_S5_,comdat
	.globl	_ZL33flash_attn_stream_k_fixup_generalILi112ELi64ELi1EEvPfPK15HIP_vector_typeIfLj2EEiiiiS1_IjLj3EES5_S5_S5_ ; -- Begin function _ZL33flash_attn_stream_k_fixup_generalILi112ELi64ELi1EEvPfPK15HIP_vector_typeIfLj2EEiiiiS1_IjLj3EES5_S5_S5_
	.p2align	8
	.type	_ZL33flash_attn_stream_k_fixup_generalILi112ELi64ELi1EEvPfPK15HIP_vector_typeIfLj2EEiiiiS1_IjLj3EES5_S5_S5_,@function
_ZL33flash_attn_stream_k_fixup_generalILi112ELi64ELi1EEvPfPK15HIP_vector_typeIfLj2EEiiiiS1_IjLj3EES5_S5_S5_: ; @_ZL33flash_attn_stream_k_fixup_generalILi112ELi64ELi1EEvPfPK15HIP_vector_typeIfLj2EEiiiiS1_IjLj3EES5_S5_S5_
; %bb.0:
	s_load_dwordx4 s[0:3], s[4:5], 0x10
	s_load_dword s22, s[4:5], 0x50
	s_mov_b32 s12, 0
	s_waitcnt lgkmcnt(0)
	s_mul_hi_i32 s13, s3, s6
	s_cmp_lg_u64 s[12:13], 0
	s_mul_i32 s9, s3, s6
	s_cbranch_scc0 .LBB55_20
; %bb.1:
	s_add_u32 s10, s22, 0
	s_addc_u32 s11, 0, 0
	s_xor_b64 s[10:11], s[10:11], 0
	v_cvt_f32_u32_e32 v1, s10
	v_cvt_f32_u32_e32 v2, s11
	s_sub_u32 s12, 0, s10
	s_subb_u32 s18, 0, s11
	v_madmk_f32 v1, v2, 0x4f800000, v1
	v_rcp_f32_e32 v1, v1
	v_mul_f32_e32 v1, 0x5f7ffffc, v1
	v_mul_f32_e32 v2, 0x2f800000, v1
	v_trunc_f32_e32 v2, v2
	v_madmk_f32 v1, v2, 0xcf800000, v1
	v_cvt_u32_f32_e32 v2, v2
	v_cvt_u32_f32_e32 v1, v1
	v_readfirstlane_b32 s19, v2
	v_readfirstlane_b32 s14, v1
	s_mul_i32 s15, s12, s19
	s_mul_hi_u32 s21, s12, s14
	s_mul_i32 s20, s18, s14
	s_add_i32 s15, s21, s15
	s_add_i32 s15, s15, s20
	s_mul_i32 s23, s12, s14
	s_mul_i32 s21, s14, s15
	s_mul_hi_u32 s24, s14, s23
	s_mul_hi_u32 s20, s14, s15
	s_add_u32 s21, s24, s21
	s_addc_u32 s20, 0, s20
	s_mul_hi_u32 s25, s19, s23
	s_mul_i32 s23, s19, s23
	s_add_u32 s21, s21, s23
	s_mul_hi_u32 s24, s19, s15
	s_addc_u32 s20, s20, s25
	s_addc_u32 s21, s24, 0
	s_mul_i32 s15, s19, s15
	s_add_u32 s15, s20, s15
	s_addc_u32 s20, 0, s21
	s_add_u32 s21, s14, s15
	s_cselect_b64 s[14:15], -1, 0
	s_cmp_lg_u64 s[14:15], 0
	s_addc_u32 s19, s19, s20
	s_mul_i32 s14, s12, s19
	s_mul_hi_u32 s15, s12, s21
	s_add_i32 s14, s15, s14
	s_mul_i32 s18, s18, s21
	s_add_i32 s14, s14, s18
	s_mul_i32 s12, s12, s21
	s_mul_hi_u32 s18, s19, s12
	s_mul_i32 s20, s19, s12
	s_mul_i32 s24, s21, s14
	s_mul_hi_u32 s12, s21, s12
	s_mul_hi_u32 s23, s21, s14
	s_add_u32 s12, s12, s24
	s_addc_u32 s23, 0, s23
	s_add_u32 s12, s12, s20
	s_mul_hi_u32 s15, s19, s14
	s_addc_u32 s12, s23, s18
	s_addc_u32 s15, s15, 0
	s_mul_i32 s14, s19, s14
	s_add_u32 s12, s12, s14
	s_addc_u32 s18, 0, s15
	s_add_u32 s20, s21, s12
	s_cselect_b64 s[14:15], -1, 0
	s_cmp_lg_u64 s[14:15], 0
	s_addc_u32 s18, s19, s18
	s_ashr_i32 s14, s13, 31
	s_add_u32 s12, s9, s14
	s_mov_b32 s15, s14
	s_addc_u32 s13, s13, s14
	s_xor_b64 s[12:13], s[12:13], s[14:15]
	s_mul_i32 s21, s12, s18
	s_mul_hi_u32 s23, s12, s20
	s_mul_hi_u32 s19, s12, s18
	s_add_u32 s21, s23, s21
	s_addc_u32 s19, 0, s19
	s_mul_hi_u32 s24, s13, s20
	s_mul_i32 s20, s13, s20
	s_add_u32 s20, s21, s20
	s_mul_hi_u32 s23, s13, s18
	s_addc_u32 s19, s19, s24
	s_addc_u32 s20, s23, 0
	s_mul_i32 s18, s13, s18
	s_add_u32 s23, s19, s18
	s_addc_u32 s24, 0, s20
	s_mul_i32 s18, s10, s24
	s_mul_hi_u32 s19, s10, s23
	s_add_i32 s18, s19, s18
	s_mul_i32 s19, s11, s23
	s_add_i32 s25, s18, s19
	s_sub_i32 s20, s13, s25
	s_mul_i32 s18, s10, s23
	s_sub_u32 s12, s12, s18
	s_cselect_b64 s[18:19], -1, 0
	s_cmp_lg_u64 s[18:19], 0
	s_subb_u32 s26, s20, s11
	s_sub_u32 s27, s12, s10
	s_cselect_b64 s[20:21], -1, 0
	s_cmp_lg_u64 s[20:21], 0
	s_subb_u32 s20, s26, 0
	s_cmp_ge_u32 s20, s11
	s_cselect_b32 s21, -1, 0
	s_cmp_ge_u32 s27, s10
	s_cselect_b32 s26, -1, 0
	s_cmp_eq_u32 s20, s11
	s_cselect_b32 s20, s26, s21
	s_add_u32 s21, s23, 1
	s_addc_u32 s26, s24, 0
	s_add_u32 s27, s23, 2
	s_addc_u32 s28, s24, 0
	s_cmp_lg_u32 s20, 0
	s_cselect_b32 s20, s27, s21
	s_cselect_b32 s21, s28, s26
	s_cmp_lg_u64 s[18:19], 0
	s_subb_u32 s13, s13, s25
	s_cmp_ge_u32 s13, s11
	s_cselect_b32 s18, -1, 0
	s_cmp_ge_u32 s12, s10
	s_cselect_b32 s10, -1, 0
	s_cmp_eq_u32 s13, s11
	s_cselect_b32 s10, s10, s18
	s_cmp_lg_u32 s10, 0
	s_cselect_b32 s11, s21, s24
	s_cselect_b32 s10, s20, s23
	s_xor_b64 s[12:13], s[14:15], 0
	s_xor_b64 s[10:11], s[10:11], s[12:13]
	s_sub_u32 s10, s10, s12
	s_load_dwordx4 s[12:15], s[4:5], 0x44
	s_cbranch_execnz .LBB55_3
.LBB55_2:
	v_cvt_f32_u32_e32 v1, s22
	s_sub_i32 s10, 0, s22
	v_rcp_iflag_f32_e32 v1, v1
	v_mul_f32_e32 v1, 0x4f7ffffe, v1
	v_cvt_u32_f32_e32 v1, v1
	v_readfirstlane_b32 s11, v1
	s_mul_i32 s10, s10, s11
	s_mul_hi_u32 s10, s11, s10
	s_add_i32 s11, s11, s10
	s_mul_hi_u32 s10, s9, s11
	s_waitcnt lgkmcnt(0)
	s_mul_i32 s15, s10, s22
	s_sub_i32 s9, s9, s15
	s_add_i32 s11, s10, 1
	s_sub_i32 s15, s9, s22
	s_cmp_ge_u32 s9, s22
	s_cselect_b32 s10, s11, s10
	s_cselect_b32 s9, s15, s9
	s_add_i32 s11, s10, 1
	s_cmp_ge_u32 s9, s22
	s_cselect_b32 s10, s11, s10
.LBB55_3:
	s_add_i32 s9, s6, 1
	s_mul_hi_i32 s21, s3, s9
	s_mov_b32 s20, 0
	s_cmp_lg_u64 s[20:21], 0
	s_mul_i32 s9, s3, s9
	s_cbranch_scc0 .LBB55_21
; %bb.4:
	s_add_u32 s16, s22, 0
	s_addc_u32 s17, 0, 0
	s_xor_b64 s[18:19], s[16:17], 0
	v_cvt_f32_u32_e32 v1, s18
	v_cvt_f32_u32_e32 v2, s19
	s_sub_u32 s11, 0, s18
	s_waitcnt lgkmcnt(0)
	s_subb_u32 s15, 0, s19
	v_madmk_f32 v1, v2, 0x4f800000, v1
	v_rcp_f32_e32 v1, v1
	v_mul_f32_e32 v1, 0x5f7ffffc, v1
	v_mul_f32_e32 v2, 0x2f800000, v1
	v_trunc_f32_e32 v2, v2
	v_madmk_f32 v1, v2, 0xcf800000, v1
	v_cvt_u32_f32_e32 v2, v2
	v_cvt_u32_f32_e32 v1, v1
	v_readfirstlane_b32 s20, v2
	v_readfirstlane_b32 s23, v1
	s_mul_i32 s24, s11, s20
	s_mul_hi_u32 s26, s11, s23
	s_mul_i32 s25, s15, s23
	s_add_i32 s24, s26, s24
	s_add_i32 s24, s24, s25
	s_mul_i32 s27, s11, s23
	s_mul_i32 s26, s23, s24
	s_mul_hi_u32 s28, s23, s27
	s_mul_hi_u32 s25, s23, s24
	s_add_u32 s26, s28, s26
	s_addc_u32 s25, 0, s25
	s_mul_hi_u32 s29, s20, s27
	s_mul_i32 s27, s20, s27
	s_add_u32 s26, s26, s27
	s_mul_hi_u32 s28, s20, s24
	s_addc_u32 s25, s25, s29
	s_addc_u32 s26, s28, 0
	s_mul_i32 s24, s20, s24
	s_add_u32 s24, s25, s24
	s_addc_u32 s26, 0, s26
	s_add_u32 s23, s23, s24
	s_cselect_b64 s[24:25], -1, 0
	s_cmp_lg_u64 s[24:25], 0
	s_addc_u32 s20, s20, s26
	s_mul_i32 s24, s11, s20
	s_mul_hi_u32 s25, s11, s23
	s_add_i32 s24, s25, s24
	s_mul_i32 s15, s15, s23
	s_add_i32 s24, s24, s15
	s_mul_i32 s11, s11, s23
	s_mul_hi_u32 s25, s20, s11
	s_mul_i32 s26, s20, s11
	s_mul_i32 s28, s23, s24
	s_mul_hi_u32 s11, s23, s11
	s_mul_hi_u32 s27, s23, s24
	s_add_u32 s11, s11, s28
	s_addc_u32 s27, 0, s27
	s_add_u32 s11, s11, s26
	s_mul_hi_u32 s15, s20, s24
	s_addc_u32 s11, s27, s25
	s_addc_u32 s15, s15, 0
	s_mul_i32 s24, s20, s24
	s_add_u32 s11, s11, s24
	s_addc_u32 s15, 0, s15
	s_add_u32 s11, s23, s11
	s_cselect_b64 s[24:25], -1, 0
	s_cmp_lg_u64 s[24:25], 0
	s_addc_u32 s15, s20, s15
	s_ashr_i32 s24, s21, 31
	s_add_u32 s20, s9, s24
	s_mov_b32 s25, s24
	s_addc_u32 s21, s21, s24
	s_xor_b64 s[20:21], s[20:21], s[24:25]
	s_mul_i32 s26, s20, s15
	s_mul_hi_u32 s27, s20, s11
	s_mul_hi_u32 s23, s20, s15
	s_add_u32 s26, s27, s26
	s_addc_u32 s23, 0, s23
	s_mul_hi_u32 s28, s21, s11
	s_mul_i32 s11, s21, s11
	s_add_u32 s11, s26, s11
	s_mul_hi_u32 s27, s21, s15
	s_addc_u32 s11, s23, s28
	s_addc_u32 s23, s27, 0
	s_mul_i32 s15, s21, s15
	s_add_u32 s11, s11, s15
	s_addc_u32 s15, 0, s23
	s_mul_i32 s23, s18, s15
	s_mul_hi_u32 s26, s18, s11
	s_add_i32 s23, s26, s23
	s_mul_i32 s26, s19, s11
	s_add_i32 s23, s23, s26
	s_sub_i32 s28, s21, s23
	s_mul_i32 s26, s18, s11
	s_sub_u32 s20, s20, s26
	s_cselect_b64 s[26:27], -1, 0
	s_cmp_lg_u64 s[26:27], 0
	s_subb_u32 s30, s28, s19
	s_sub_u32 s31, s20, s18
	s_cselect_b64 s[28:29], -1, 0
	s_cmp_lg_u64 s[28:29], 0
	s_subb_u32 s28, s30, 0
	s_cmp_ge_u32 s28, s19
	s_cselect_b32 s29, -1, 0
	s_cmp_ge_u32 s31, s18
	s_cselect_b32 s30, -1, 0
	s_cmp_eq_u32 s28, s19
	s_cselect_b32 s28, s30, s29
	s_add_u32 s29, s11, 1
	s_addc_u32 s30, s15, 0
	s_add_u32 s31, s11, 2
	s_addc_u32 s33, s15, 0
	s_cmp_lg_u32 s28, 0
	s_cselect_b32 s28, s31, s29
	s_cselect_b32 s29, s33, s30
	s_cmp_lg_u64 s[26:27], 0
	s_subb_u32 s21, s21, s23
	s_cmp_ge_u32 s21, s19
	s_cselect_b32 s23, -1, 0
	s_cmp_ge_u32 s20, s18
	s_cselect_b32 s18, -1, 0
	s_cmp_eq_u32 s21, s19
	s_cselect_b32 s18, s18, s23
	s_cmp_lg_u32 s18, 0
	s_cselect_b32 s19, s29, s15
	s_cselect_b32 s18, s28, s11
	s_xor_b64 s[20:21], s[24:25], 0
	s_xor_b64 s[18:19], s[18:19], s[20:21]
	s_sub_u32 s18, s18, s20
	s_cbranch_execnz .LBB55_6
.LBB55_5:
	v_cvt_f32_u32_e32 v1, s22
	s_sub_i32 s11, 0, s22
	v_rcp_iflag_f32_e32 v1, v1
	v_mul_f32_e32 v1, 0x4f7ffffe, v1
	v_cvt_u32_f32_e32 v1, v1
	s_waitcnt lgkmcnt(0)
	v_readfirstlane_b32 s15, v1
	s_mul_i32 s11, s11, s15
	s_mul_hi_u32 s11, s15, s11
	s_add_i32 s15, s15, s11
	s_mul_hi_u32 s11, s9, s15
	s_mul_i32 s16, s11, s22
	s_sub_i32 s9, s9, s16
	s_add_i32 s15, s11, 1
	s_sub_i32 s16, s9, s22
	s_cmp_ge_u32 s9, s22
	s_cselect_b32 s11, s15, s11
	s_cselect_b32 s9, s16, s9
	s_add_i32 s15, s11, 1
	s_cmp_ge_u32 s9, s22
	s_cselect_b32 s18, s15, s11
.LBB55_6:
	s_cmp_eq_u32 s10, s18
	s_waitcnt lgkmcnt(0)
	s_mul_hi_u32 s9, s10, s12
	s_cselect_b64 s[16:17], -1, 0
	s_add_i32 s9, s9, s10
	s_lshr_b32 s11, s9, s13
	s_mul_i32 s9, s11, s14
	s_cmp_eq_u32 s9, s10
	s_mul_hi_u32 s9, s18, s12
	s_cselect_b64 s[20:21], -1, 0
	s_add_i32 s9, s9, s18
	s_lshr_b32 s9, s9, s13
	s_cmp_eq_u32 s11, s9
	s_mul_i32 s9, s9, s14
	s_cselect_b64 s[24:25], -1, 0
	s_cmp_lg_u32 s9, s18
	s_cselect_b64 s[18:19], -1, 0
	s_and_b64 s[18:19], s[24:25], s[18:19]
	s_or_b64 s[16:17], s[16:17], s[20:21]
	s_or_b64 s[16:17], s[16:17], s[18:19]
	s_and_b64 vcc, exec, s[16:17]
	s_cbranch_vccnz .LBB55_23
; %bb.7:
	s_load_dwordx8 s[24:31], s[4:5], 0x20
	s_load_dword s15, s[4:5], 0x40
	s_waitcnt lgkmcnt(0)
	s_mul_hi_u32 s9, s10, s24
	s_add_i32 s9, s9, s10
	s_lshr_b32 s9, s9, s25
	s_mul_i32 s16, s9, s26
	s_sub_i32 s16, s10, s16
	s_mul_hi_u32 s17, s16, s27
	s_add_i32 s17, s16, s17
	s_lshr_b32 s23, s17, s28
	s_mul_i32 s17, s23, s29
	s_sub_i32 s16, s16, s17
	;; [unrolled: 5-line block ×3, first 2 shown]
	s_mul_hi_u32 s16, s15, s12
	s_add_i32 s15, s15, s16
	s_lshr_b32 s24, s15, s13
	s_lshl_b32 s15, s24, 6
	s_add_i32 s15, s15, s7
	s_cmp_lt_i32 s15, s0
	s_cselect_b64 s[16:17], -1, 0
	s_add_i32 s25, s25, s8
	s_cmp_lt_i32 s25, s2
	s_cselect_b64 s[18:19], -1, 0
	s_and_b64 s[16:17], s[16:17], s[18:19]
	s_andn2_b64 vcc, exec, s[16:17]
	s_cbranch_vccnz .LBB55_23
; %bb.8:
	s_load_dwordx4 s[16:19], s[4:5], 0x0
	s_mov_b32 s4, 0
	s_lshl_b32 s20, s22, 8
	s_mov_b32 s21, s4
	s_add_i32 s15, s7, s8
	s_lshl_b64 s[20:21], s[20:21], 2
	s_waitcnt lgkmcnt(0)
	s_add_u32 s20, s18, s20
	s_mul_i32 s0, s9, s0
	s_addc_u32 s21, s19, s21
	s_mul_i32 s23, s23, s2
	s_add_i32 s0, s0, s7
	s_mul_i32 s2, s1, s24
	s_mul_i32 s0, s0, s1
	s_add_i32 s1, s25, s23
	s_add_i32 s0, s1, s0
	s_mulk_i32 s2, 0x1c00
	s_mulk_i32 s0, 0x70
	s_add_i32 s2, s2, s0
	v_add_u32_e32 v1, s2, v0
	v_ashrrev_i32_e32 v2, 31, v1
	v_lshlrev_b64 v[1:2], 2, v[1:2]
	v_mov_b32_e32 v3, s17
	v_add_co_u32_e32 v1, vcc, s16, v1
	v_addc_co_u32_e32 v2, vcc, v3, v2, vcc
	global_load_dword v3, v[1:2], off
	v_cvt_f32_u32_e32 v4, s22
	s_lshl_b32 s0, s6, 6
	s_add_i32 s0, s0, s15
	s_ashr_i32 s1, s0, 31
	s_lshl_b64 s[0:1], s[0:1], 3
	v_rcp_iflag_f32_e32 v4, v4
	s_add_u32 s0, s18, s0
	s_addc_u32 s1, s19, s1
	s_load_dwordx2 s[0:1], s[0:1], 0x0
	v_mul_f32_e32 v4, 0x4f7ffffe, v4
	v_cvt_u32_f32_e32 v4, v4
	s_mul_i32 s2, s15, 0x70
	s_add_i32 s24, s6, -1
	v_add_u32_e32 v0, s2, v0
	s_waitcnt lgkmcnt(0)
	v_mov_b32_e32 v6, s1
	v_mov_b32_e32 v7, s0
	s_mov_b32 s2, 0x3fb8aa3b
	s_mov_b32 s16, 0xc2ce8ed0
	;; [unrolled: 1-line block ×4, first 2 shown]
	v_mov_b32_e32 v5, 0x7f800000
	s_mul_hi_i32 s5, s24, s3
	s_cmp_lg_u64 s[4:5], 0
	s_mul_i32 s8, s24, s3
	s_cbranch_scc0 .LBB55_19
.LBB55_9:
	s_add_u32 s0, s22, 0
	s_addc_u32 s1, 0, 0
	s_xor_b64 s[0:1], s[0:1], 0
	v_cvt_f32_u32_e32 v8, s0
	v_cvt_f32_u32_e32 v9, s1
	s_sub_u32 s9, 0, s0
	s_subb_u32 s25, 0, s1
	v_mac_f32_e32 v8, 0x4f800000, v9
	v_rcp_f32_e32 v8, v8
	v_mul_f32_e32 v8, 0x5f7ffffc, v8
	v_mul_f32_e32 v9, 0x2f800000, v8
	v_trunc_f32_e32 v9, v9
	v_mac_f32_e32 v8, 0xcf800000, v9
	v_cvt_u32_f32_e32 v9, v9
	v_cvt_u32_f32_e32 v8, v8
	v_readfirstlane_b32 s26, v9
	v_readfirstlane_b32 s6, v8
	s_mul_i32 s7, s9, s26
	s_mul_hi_u32 s28, s9, s6
	s_mul_i32 s27, s25, s6
	s_add_i32 s7, s28, s7
	s_mul_i32 s29, s9, s6
	s_add_i32 s7, s7, s27
	s_mul_i32 s28, s6, s7
	s_mul_hi_u32 s30, s6, s29
	s_mul_hi_u32 s27, s6, s7
	s_add_u32 s28, s30, s28
	s_addc_u32 s27, 0, s27
	s_mul_hi_u32 s31, s26, s29
	s_mul_i32 s29, s26, s29
	s_add_u32 s28, s28, s29
	s_mul_hi_u32 s30, s26, s7
	s_addc_u32 s27, s27, s31
	s_addc_u32 s28, s30, 0
	s_mul_i32 s7, s26, s7
	s_add_u32 s7, s27, s7
	s_addc_u32 s27, 0, s28
	s_add_u32 s28, s6, s7
	s_cselect_b64 s[6:7], -1, 0
	s_cmp_lg_u64 s[6:7], 0
	s_addc_u32 s26, s26, s27
	s_mul_i32 s6, s9, s26
	s_mul_hi_u32 s7, s9, s28
	s_add_i32 s6, s7, s6
	s_mul_i32 s25, s25, s28
	s_add_i32 s6, s6, s25
	s_mul_i32 s9, s9, s28
	s_mul_hi_u32 s25, s26, s9
	s_mul_i32 s27, s26, s9
	s_mul_i32 s30, s28, s6
	s_mul_hi_u32 s9, s28, s9
	s_mul_hi_u32 s29, s28, s6
	s_add_u32 s9, s9, s30
	s_addc_u32 s29, 0, s29
	s_add_u32 s9, s9, s27
	s_mul_hi_u32 s7, s26, s6
	s_addc_u32 s9, s29, s25
	s_addc_u32 s7, s7, 0
	s_mul_i32 s6, s26, s6
	s_add_u32 s6, s9, s6
	s_addc_u32 s9, 0, s7
	s_add_u32 s25, s28, s6
	s_cselect_b64 s[6:7], -1, 0
	s_cmp_lg_u64 s[6:7], 0
	s_addc_u32 s9, s26, s9
	s_ashr_i32 s6, s5, 31
	s_add_u32 s26, s8, s6
	s_mov_b32 s7, s6
	s_addc_u32 s27, s5, s6
	s_xor_b64 s[26:27], s[26:27], s[6:7]
	s_mul_i32 s28, s26, s9
	s_mul_hi_u32 s29, s26, s25
	s_mul_hi_u32 s5, s26, s9
	s_add_u32 s28, s29, s28
	s_addc_u32 s5, 0, s5
	s_mul_hi_u32 s30, s27, s25
	s_mul_i32 s25, s27, s25
	s_add_u32 s25, s28, s25
	s_mul_hi_u32 s29, s27, s9
	s_addc_u32 s5, s5, s30
	s_addc_u32 s25, s29, 0
	s_mul_i32 s9, s27, s9
	s_add_u32 s5, s5, s9
	s_addc_u32 s9, 0, s25
	s_mul_i32 s25, s0, s9
	s_mul_hi_u32 s28, s0, s5
	s_add_i32 s25, s28, s25
	s_mul_i32 s28, s1, s5
	s_add_i32 s25, s25, s28
	s_sub_i32 s30, s27, s25
	s_mul_i32 s28, s0, s5
	s_sub_u32 s26, s26, s28
	s_cselect_b64 s[28:29], -1, 0
	s_cmp_lg_u64 s[28:29], 0
	s_subb_u32 s33, s30, s1
	s_sub_u32 s34, s26, s0
	s_cselect_b64 s[30:31], -1, 0
	s_cmp_lg_u64 s[30:31], 0
	s_subb_u32 s30, s33, 0
	s_cmp_ge_u32 s30, s1
	s_cselect_b32 s31, -1, 0
	s_cmp_ge_u32 s34, s0
	s_cselect_b32 s33, -1, 0
	s_cmp_eq_u32 s30, s1
	s_cselect_b32 s30, s33, s31
	s_add_u32 s31, s5, 1
	s_addc_u32 s33, s9, 0
	s_add_u32 s34, s5, 2
	s_addc_u32 s35, s9, 0
	s_cmp_lg_u32 s30, 0
	s_cselect_b32 s30, s34, s31
	s_cselect_b32 s31, s35, s33
	s_cmp_lg_u64 s[28:29], 0
	s_subb_u32 s25, s27, s25
	s_cmp_ge_u32 s25, s1
	s_cselect_b32 s27, -1, 0
	s_cmp_ge_u32 s26, s0
	s_cselect_b32 s0, -1, 0
	s_cmp_eq_u32 s25, s1
	s_cselect_b32 s0, s0, s27
	s_cmp_lg_u32 s0, 0
	s_cselect_b32 s1, s31, s9
	s_cselect_b32 s0, s30, s5
	s_xor_b64 s[6:7], s[6:7], 0
	s_xor_b64 s[0:1], s[0:1], s[6:7]
	s_sub_u32 s6, s0, s6
	s_cbranch_execnz .LBB55_11
.LBB55_10:
	s_sub_i32 s0, 0, s22
	v_readfirstlane_b32 s1, v4
	s_mul_i32 s0, s0, s1
	s_mul_hi_u32 s0, s1, s0
	s_add_i32 s1, s1, s0
	s_mul_hi_u32 s0, s8, s1
	s_mul_i32 s5, s0, s22
	s_sub_i32 s5, s8, s5
	s_add_i32 s1, s0, 1
	s_sub_i32 s6, s5, s22
	s_cmp_ge_u32 s5, s22
	s_cselect_b32 s0, s1, s0
	s_cselect_b32 s5, s6, s5
	s_add_i32 s1, s0, 1
	s_cmp_ge_u32 s5, s22
	s_cselect_b32 s6, s1, s0
.LBB55_11:
	s_cmp_lg_u32 s10, s6
	s_mov_b64 s[8:9], -1
                                        ; implicit-def: $sgpr0_sgpr1
                                        ; implicit-def: $vgpr10
                                        ; implicit-def: $vgpr8
                                        ; implicit-def: $vgpr9
                                        ; implicit-def: $sgpr5
                                        ; implicit-def: $sgpr7
	s_cbranch_scc1 .LBB55_14
; %bb.12:
	s_andn2_b64 vcc, exec, s[8:9]
	s_cbranch_vccz .LBB55_17
.LBB55_13:
	s_andn2_b64 vcc, exec, s[0:1]
	s_cbranch_vccnz .LBB55_18
	s_branch .LBB55_22
.LBB55_14:
	s_add_i32 s0, s24, s22
	s_lshl_b32 s0, s0, 6
	s_add_i32 s0, s0, s15
	s_mov_b32 s1, s4
	s_lshl_b64 s[0:1], s[0:1], 3
	s_add_u32 s8, s18, s0
	s_mul_hi_u32 s0, s6, s12
	s_addc_u32 s9, s19, s1
	s_add_i32 s0, s0, s6
	s_lshr_b32 s5, s0, s13
	s_mul_i32 s0, s5, s14
	s_cmp_eq_u32 s0, s6
	s_cselect_b64 s[0:1], -1, 0
	s_cmp_lt_u32 s5, s11
	s_cselect_b64 s[26:27], -1, 0
	s_or_b64 s[26:27], s[26:27], s[0:1]
	s_mov_b64 s[0:1], -1
	s_and_b64 vcc, exec, s[26:27]
	s_mov_b32 s5, s24
	s_mov_b32 s7, s10
	s_cbranch_vccnz .LBB55_16
; %bb.15:
	s_add_i32 s5, s24, -1
	s_mov_b64 s[0:1], 0
	s_mov_b32 s7, s6
.LBB55_16:
	s_mul_i32 s6, s24, 0x1c00
	v_add_u32_e32 v8, s6, v0
	v_ashrrev_i32_e32 v9, 31, v8
	v_lshlrev_b64 v[8:9], 2, v[8:9]
	v_mov_b32_e32 v10, s21
	v_add_co_u32_e32 v8, vcc, s20, v8
	v_addc_co_u32_e32 v9, vcc, v10, v9, vcc
	global_load_dword v10, v[8:9], off
	s_load_dwordx2 s[8:9], s[8:9], 0x0
	v_max_f32_e32 v8, v7, v7
	s_waitcnt lgkmcnt(0)
	v_max_f32_e64 v9, s8, s8
	v_max_f32_e32 v8, v8, v9
	v_sub_f32_e32 v9, v7, v8
	v_sub_f32_e32 v11, s8, v8
	v_mul_f32_e32 v12, 0x3fb8aa3b, v9
	v_mul_f32_e32 v13, 0x3fb8aa3b, v11
	v_fma_f32 v14, v9, s2, -v12
	v_rndne_f32_e32 v15, v12
	v_fma_f32 v16, v11, s2, -v13
	v_rndne_f32_e32 v17, v13
	v_fmac_f32_e32 v14, 0x32a5705f, v9
	v_sub_f32_e32 v12, v12, v15
	v_fmac_f32_e32 v16, 0x32a5705f, v11
	v_sub_f32_e32 v13, v13, v17
	v_add_f32_e32 v12, v12, v14
	v_cvt_i32_f32_e32 v15, v15
	v_add_f32_e32 v13, v13, v16
	v_exp_f32_e32 v12, v12
	v_cvt_i32_f32_e32 v17, v17
	v_exp_f32_e32 v13, v13
	v_cmp_ngt_f32_e32 vcc, s16, v9
	v_ldexp_f32 v12, v12, v15
	v_cndmask_b32_e32 v12, 0, v12, vcc
	v_ldexp_f32 v13, v13, v17
	v_cmp_ngt_f32_e32 vcc, s16, v11
	v_cndmask_b32_e32 v13, 0, v13, vcc
	v_cmp_nlt_f32_e32 vcc, s17, v9
	v_cndmask_b32_e32 v12, v5, v12, vcc
	v_cmp_nlt_f32_e32 vcc, s17, v11
	v_cndmask_b32_e32 v13, v5, v13, vcc
	v_cmp_le_f32_e32 vcc, s23, v9
	v_cndmask_b32_e32 v12, 0, v12, vcc
	v_cmp_le_f32_e32 vcc, s23, v11
	v_cndmask_b32_e32 v11, 0, v13, vcc
	v_mul_f32_e32 v9, s9, v11
	v_fmac_f32_e32 v9, v6, v12
	s_waitcnt vmcnt(0)
	v_mul_f32_e32 v10, v10, v11
	v_fmac_f32_e32 v10, v3, v12
	s_cbranch_execnz .LBB55_13
.LBB55_17:
	s_add_i32 s5, s24, -1
	s_mov_b32 s7, s10
	v_mov_b32_e32 v9, v6
	v_mov_b32_e32 v8, v7
	s_waitcnt vmcnt(0)
	v_mov_b32_e32 v10, v3
	s_cbranch_execz .LBB55_22
.LBB55_18:
	s_mov_b32 s10, s7
	s_mov_b32 s24, s5
	v_mov_b32_e32 v6, v9
	v_mov_b32_e32 v7, v8
	s_waitcnt vmcnt(0)
	v_mov_b32_e32 v3, v10
	s_mul_hi_i32 s5, s24, s3
	s_cmp_lg_u64 s[4:5], 0
	s_mul_i32 s8, s24, s3
	s_cbranch_scc1 .LBB55_9
.LBB55_19:
                                        ; implicit-def: $sgpr6_sgpr7
	s_branch .LBB55_10
.LBB55_20:
                                        ; implicit-def: $sgpr10_sgpr11
	s_load_dwordx4 s[12:15], s[4:5], 0x44
	s_branch .LBB55_2
.LBB55_21:
                                        ; implicit-def: $sgpr18_sgpr19
	s_branch .LBB55_5
.LBB55_22:
	v_div_scale_f32 v0, s[0:1], v9, v9, v10
	s_waitcnt vmcnt(0)
	v_div_scale_f32 v3, vcc, v10, v9, v10
	v_rcp_f32_e32 v4, v0
	v_fma_f32 v5, -v0, v4, 1.0
	v_fmac_f32_e32 v4, v5, v4
	v_mul_f32_e32 v5, v3, v4
	v_fma_f32 v6, -v0, v5, v3
	v_fmac_f32_e32 v5, v6, v4
	v_fma_f32 v0, -v0, v5, v3
	v_div_fmas_f32 v0, v0, v4, v5
	v_div_fixup_f32 v0, v0, v9, v10
	global_store_dword v[1:2], v0, off
.LBB55_23:
	s_endpgm
	.section	.rodata,"a",@progbits
	.p2align	6, 0x0
	.amdhsa_kernel _ZL33flash_attn_stream_k_fixup_generalILi112ELi64ELi1EEvPfPK15HIP_vector_typeIfLj2EEiiiiS1_IjLj3EES5_S5_S5_
		.amdhsa_group_segment_fixed_size 0
		.amdhsa_private_segment_fixed_size 0
		.amdhsa_kernarg_size 336
		.amdhsa_user_sgpr_count 6
		.amdhsa_user_sgpr_private_segment_buffer 1
		.amdhsa_user_sgpr_dispatch_ptr 0
		.amdhsa_user_sgpr_queue_ptr 0
		.amdhsa_user_sgpr_kernarg_segment_ptr 1
		.amdhsa_user_sgpr_dispatch_id 0
		.amdhsa_user_sgpr_flat_scratch_init 0
		.amdhsa_user_sgpr_private_segment_size 0
		.amdhsa_uses_dynamic_stack 0
		.amdhsa_system_sgpr_private_segment_wavefront_offset 0
		.amdhsa_system_sgpr_workgroup_id_x 1
		.amdhsa_system_sgpr_workgroup_id_y 1
		.amdhsa_system_sgpr_workgroup_id_z 1
		.amdhsa_system_sgpr_workgroup_info 0
		.amdhsa_system_vgpr_workitem_id 0
		.amdhsa_next_free_vgpr 18
		.amdhsa_next_free_sgpr 36
		.amdhsa_reserve_vcc 1
		.amdhsa_reserve_flat_scratch 0
		.amdhsa_float_round_mode_32 0
		.amdhsa_float_round_mode_16_64 0
		.amdhsa_float_denorm_mode_32 3
		.amdhsa_float_denorm_mode_16_64 3
		.amdhsa_dx10_clamp 1
		.amdhsa_ieee_mode 1
		.amdhsa_fp16_overflow 0
		.amdhsa_exception_fp_ieee_invalid_op 0
		.amdhsa_exception_fp_denorm_src 0
		.amdhsa_exception_fp_ieee_div_zero 0
		.amdhsa_exception_fp_ieee_overflow 0
		.amdhsa_exception_fp_ieee_underflow 0
		.amdhsa_exception_fp_ieee_inexact 0
		.amdhsa_exception_int_div_zero 0
	.end_amdhsa_kernel
	.section	.text._ZL33flash_attn_stream_k_fixup_generalILi112ELi64ELi1EEvPfPK15HIP_vector_typeIfLj2EEiiiiS1_IjLj3EES5_S5_S5_,"axG",@progbits,_ZL33flash_attn_stream_k_fixup_generalILi112ELi64ELi1EEvPfPK15HIP_vector_typeIfLj2EEiiiiS1_IjLj3EES5_S5_S5_,comdat
.Lfunc_end55:
	.size	_ZL33flash_attn_stream_k_fixup_generalILi112ELi64ELi1EEvPfPK15HIP_vector_typeIfLj2EEiiiiS1_IjLj3EES5_S5_S5_, .Lfunc_end55-_ZL33flash_attn_stream_k_fixup_generalILi112ELi64ELi1EEvPfPK15HIP_vector_typeIfLj2EEiiiiS1_IjLj3EES5_S5_S5_
                                        ; -- End function
	.set _ZL33flash_attn_stream_k_fixup_generalILi112ELi64ELi1EEvPfPK15HIP_vector_typeIfLj2EEiiiiS1_IjLj3EES5_S5_S5_.num_vgpr, 18
	.set _ZL33flash_attn_stream_k_fixup_generalILi112ELi64ELi1EEvPfPK15HIP_vector_typeIfLj2EEiiiiS1_IjLj3EES5_S5_S5_.num_agpr, 0
	.set _ZL33flash_attn_stream_k_fixup_generalILi112ELi64ELi1EEvPfPK15HIP_vector_typeIfLj2EEiiiiS1_IjLj3EES5_S5_S5_.numbered_sgpr, 36
	.set _ZL33flash_attn_stream_k_fixup_generalILi112ELi64ELi1EEvPfPK15HIP_vector_typeIfLj2EEiiiiS1_IjLj3EES5_S5_S5_.num_named_barrier, 0
	.set _ZL33flash_attn_stream_k_fixup_generalILi112ELi64ELi1EEvPfPK15HIP_vector_typeIfLj2EEiiiiS1_IjLj3EES5_S5_S5_.private_seg_size, 0
	.set _ZL33flash_attn_stream_k_fixup_generalILi112ELi64ELi1EEvPfPK15HIP_vector_typeIfLj2EEiiiiS1_IjLj3EES5_S5_S5_.uses_vcc, 1
	.set _ZL33flash_attn_stream_k_fixup_generalILi112ELi64ELi1EEvPfPK15HIP_vector_typeIfLj2EEiiiiS1_IjLj3EES5_S5_S5_.uses_flat_scratch, 0
	.set _ZL33flash_attn_stream_k_fixup_generalILi112ELi64ELi1EEvPfPK15HIP_vector_typeIfLj2EEiiiiS1_IjLj3EES5_S5_S5_.has_dyn_sized_stack, 0
	.set _ZL33flash_attn_stream_k_fixup_generalILi112ELi64ELi1EEvPfPK15HIP_vector_typeIfLj2EEiiiiS1_IjLj3EES5_S5_S5_.has_recursion, 0
	.set _ZL33flash_attn_stream_k_fixup_generalILi112ELi64ELi1EEvPfPK15HIP_vector_typeIfLj2EEiiiiS1_IjLj3EES5_S5_S5_.has_indirect_call, 0
	.section	.AMDGPU.csdata,"",@progbits
; Kernel info:
; codeLenInByte = 2936
; TotalNumSgprs: 40
; NumVgprs: 18
; ScratchSize: 0
; MemoryBound: 0
; FloatMode: 240
; IeeeMode: 1
; LDSByteSize: 0 bytes/workgroup (compile time only)
; SGPRBlocks: 4
; VGPRBlocks: 4
; NumSGPRsForWavesPerEU: 40
; NumVGPRsForWavesPerEU: 18
; Occupancy: 10
; WaveLimiterHint : 0
; COMPUTE_PGM_RSRC2:SCRATCH_EN: 0
; COMPUTE_PGM_RSRC2:USER_SGPR: 6
; COMPUTE_PGM_RSRC2:TRAP_HANDLER: 0
; COMPUTE_PGM_RSRC2:TGID_X_EN: 1
; COMPUTE_PGM_RSRC2:TGID_Y_EN: 1
; COMPUTE_PGM_RSRC2:TGID_Z_EN: 1
; COMPUTE_PGM_RSRC2:TIDIG_COMP_CNT: 0
	.section	.text._ZL15flash_attn_tileILi112ELi112ELi32ELi1ELb0EEvPKcS1_S1_S1_S1_PKiPfP15HIP_vector_typeIfLj2EEffffjfiS5_IjLj3EEiiiiiiiiiiiliiliiiiil,"axG",@progbits,_ZL15flash_attn_tileILi112ELi112ELi32ELi1ELb0EEvPKcS1_S1_S1_S1_PKiPfP15HIP_vector_typeIfLj2EEffffjfiS5_IjLj3EEiiiiiiiiiiiliiliiiiil,comdat
	.globl	_ZL15flash_attn_tileILi112ELi112ELi32ELi1ELb0EEvPKcS1_S1_S1_S1_PKiPfP15HIP_vector_typeIfLj2EEffffjfiS5_IjLj3EEiiiiiiiiiiiliiliiiiil ; -- Begin function _ZL15flash_attn_tileILi112ELi112ELi32ELi1ELb0EEvPKcS1_S1_S1_S1_PKiPfP15HIP_vector_typeIfLj2EEffffjfiS5_IjLj3EEiiiiiiiiiiiliiliiiiil
	.p2align	8
	.type	_ZL15flash_attn_tileILi112ELi112ELi32ELi1ELb0EEvPKcS1_S1_S1_S1_PKiPfP15HIP_vector_typeIfLj2EEffffjfiS5_IjLj3EEiiiiiiiiiiiliiliiiiil,@function
_ZL15flash_attn_tileILi112ELi112ELi32ELi1ELb0EEvPKcS1_S1_S1_S1_PKiPfP15HIP_vector_typeIfLj2EEffffjfiS5_IjLj3EEiiiiiiiiiiiliiliiiiil: ; @_ZL15flash_attn_tileILi112ELi112ELi32ELi1ELb0EEvPKcS1_S1_S1_S1_PKiPfP15HIP_vector_typeIfLj2EEffffjfiS5_IjLj3EEiiiiiiiiiiiliiliiiiil
; %bb.0:
	s_add_u32 flat_scratch_lo, s6, s11
	s_addc_u32 flat_scratch_hi, s7, 0
	s_add_u32 s0, s0, s11
	s_addc_u32 s1, s1, 0
	buffer_store_dword v0, off, s[0:3], 0 offset:28 ; 4-byte Folded Spill
	s_load_dwordx4 s[52:55], s[4:5], 0x5c
	s_load_dwordx2 s[58:59], s[4:5], 0x80
	s_load_dwordx16 s[36:51], s[4:5], 0x0
	s_load_dwordx2 s[16:17], s[4:5], 0xb8
	v_mov_b32_e32 v20, v1
	s_waitcnt lgkmcnt(0)
	v_cvt_f32_u32_e32 v0, s55
	s_sub_i32 s6, 0, s55
	s_mov_b64 s[56:57], 0
	v_rcp_iflag_f32_e32 v0, v0
	v_mul_f32_e32 v0, 0x4f7ffffe, v0
	v_cvt_u32_f32_e32 v0, v0
	v_readfirstlane_b32 s7, v0
	s_mul_i32 s6, s6, s7
	s_mul_hi_u32 s6, s7, s6
	s_add_i32 s7, s7, s6
	s_mul_hi_u32 s6, s10, s7
	s_mul_i32 s7, s6, s55
	s_sub_i32 s7, s10, s7
	s_add_i32 s11, s6, 1
	s_sub_i32 s12, s7, s55
	s_cmp_ge_u32 s7, s55
	s_cselect_b32 s6, s11, s6
	s_cselect_b32 s7, s12, s7
	s_add_i32 s11, s6, 1
	s_cmp_ge_u32 s7, s55
	s_cselect_b32 s33, s11, s6
	s_abs_i32 s6, s59
	v_cvt_f32_u32_e32 v0, s6
	s_sub_i32 s12, 0, s6
	s_abs_i32 s11, s55
	s_xor_b32 s7, s55, s59
	v_rcp_iflag_f32_e32 v0, v0
	s_ashr_i32 s7, s7, 31
	v_mul_f32_e32 v0, 0x4f7ffffe, v0
	v_cvt_u32_f32_e32 v0, v0
	v_readfirstlane_b32 s13, v0
	s_mul_i32 s12, s12, s13
	s_mul_hi_u32 s12, s13, s12
	s_add_i32 s13, s13, s12
	s_mul_hi_u32 s12, s11, s13
	s_mul_i32 s13, s12, s6
	s_sub_i32 s11, s11, s13
	s_add_i32 s14, s12, 1
	s_sub_i32 s13, s11, s6
	s_cmp_ge_u32 s11, s6
	s_cselect_b32 s12, s14, s12
	s_cselect_b32 s11, s13, s11
	s_add_i32 s13, s12, 1
	s_cmp_ge_u32 s11, s6
	s_cselect_b32 s6, s13, s12
	s_xor_b32 s6, s6, s7
	s_sub_i32 s19, s6, s7
	s_abs_i32 s18, s19
	v_cvt_f32_u32_e32 v0, s18
	s_mul_i32 s6, s33, s55
	s_cmp_eq_u64 s[42:43], 0
	v_rcp_iflag_f32_e32 v0, v0
	v_mul_f32_e32 v0, 0x4f7ffffe, v0
	v_cvt_u32_f32_e32 v0, v0
	v_readfirstlane_b32 s20, v0
	s_cbranch_scc1 .LBB56_2
; %bb.1:
	s_abs_i32 s7, s16
	v_cvt_f32_u32_e32 v0, s7
	s_sub_i32 s15, 0, s7
	s_abs_i32 s14, s33
	s_ashr_i32 s11, s33, 31
	v_rcp_iflag_f32_e32 v0, v0
	s_load_dwordx2 s[12:13], s[4:5], 0xc8
	v_mul_f32_e32 v0, 0x4f7ffffe, v0
	v_cvt_u32_f32_e32 v0, v0
	v_readfirstlane_b32 s16, v0
	s_mul_i32 s15, s15, s16
	s_mul_hi_u32 s15, s16, s15
	s_add_i32 s16, s16, s15
	s_mul_hi_u32 s15, s14, s16
	s_mul_i32 s15, s15, s7
	s_sub_i32 s14, s14, s15
	s_sub_i32 s15, s14, s7
	s_cmp_ge_u32 s14, s7
	s_cselect_b32 s14, s15, s14
	s_sub_i32 s15, s14, s7
	s_cmp_ge_u32 s14, s7
	s_cselect_b32 s7, s15, s14
	s_xor_b32 s7, s7, s11
	s_sub_i32 s7, s7, s11
	s_ashr_i32 s11, s7, 31
	s_waitcnt lgkmcnt(0)
	s_mul_hi_u32 s14, s12, s7
	s_mul_i32 s11, s12, s11
	s_mul_i32 s13, s13, s7
	s_add_i32 s11, s14, s11
	s_add_i32 s11, s11, s13
	s_mul_i32 s7, s12, s7
	s_add_u32 s56, s42, s7
	s_addc_u32 s57, s43, s11
.LBB56_2:
	s_load_dwordx4 s[12:15], s[4:5], 0x40
	s_sub_i32 s42, s10, s6
	s_load_dword s6, s[4:5], 0x50
	s_sub_i32 s16, 0, s18
	v_mov_b32_e32 v80, 1.0
	s_waitcnt lgkmcnt(0)
	v_cmp_le_f32_e64 s[10:11], s13, 0
	s_and_b64 vcc, exec, s[10:11]
	s_cbranch_vccnz .LBB56_4
; %bb.3:
	v_mov_b32_e32 v0, s6
	v_sub_co_u32_e32 v0, vcc, s42, v0
	v_mov_b32_e32 v1, s15
	v_mov_b32_e32 v2, s14
	s_add_i32 s6, s42, 1
	v_lshlrev_b32_e32 v0, 1, v0
	v_cndmask_b32_e32 v1, v1, v2, vcc
	v_or_b32_e32 v0, 1, v0
	v_mov_b32_e32 v2, s6
	v_cndmask_b32_e32 v0, v0, v2, vcc
	v_cvt_f32_i32_e32 v0, v0
	v_cmp_neq_f32_e32 vcc, 1.0, v1
	s_mov_b32 s6, 0x3f2aaaab
	s_movk_i32 s10, 0x204
	v_cndmask_b32_e32 v2, 1.0, v0, vcc
	v_cmp_neq_f32_e32 vcc, 0, v2
	v_cndmask_b32_e32 v3, 1.0, v1, vcc
	v_frexp_mant_f32_e64 v0, |v3|
	v_cmp_gt_f32_e32 vcc, s6, v0
	v_cndmask_b32_e64 v1, 1.0, 2.0, vcc
	v_mul_f32_e32 v0, v0, v1
	v_add_f32_e32 v1, 1.0, v0
	v_rcp_f32_e32 v4, v1
	v_add_f32_e32 v5, -1.0, v0
	v_add_f32_e32 v6, -1.0, v1
	v_sub_f32_e32 v0, v0, v6
	v_mul_f32_e32 v6, v5, v4
	v_mul_f32_e32 v7, v1, v6
	v_fma_f32 v1, v6, v1, -v7
	v_fmac_f32_e32 v1, v6, v0
	v_add_f32_e32 v0, v7, v1
	v_sub_f32_e32 v8, v5, v0
	v_sub_f32_e32 v7, v0, v7
	;; [unrolled: 1-line block ×5, first 2 shown]
	v_add_f32_e32 v0, v1, v0
	v_add_f32_e32 v0, v8, v0
	v_mul_f32_e32 v0, v4, v0
	v_add_f32_e32 v4, v6, v0
	v_sub_f32_e32 v1, v4, v6
	v_sub_f32_e32 v5, v0, v1
	v_mul_f32_e32 v0, v4, v4
	v_fma_f32 v1, v4, v4, -v0
	v_add_f32_e32 v6, v5, v5
	v_fmac_f32_e32 v1, v4, v6
	v_add_f32_e32 v6, v0, v1
	v_mov_b32_e32 v7, 0x3e91f4c4
	v_sub_f32_e32 v0, v6, v0
	v_fmac_f32_e32 v7, 0x3e76c4e1, v6
	v_mov_b32_e32 v8, 0x3ecccdef
	v_sub_f32_e32 v0, v1, v0
	v_mul_f32_e32 v1, v4, v6
	v_fmac_f32_e32 v8, v6, v7
	v_fma_f32 v7, v6, v4, -v1
	v_fmac_f32_e32 v7, v6, v5
	v_fmac_f32_e32 v7, v0, v4
	v_add_f32_e32 v9, v1, v7
	v_sub_f32_e32 v1, v9, v1
	v_sub_f32_e32 v7, v7, v1
	v_mul_f32_e32 v1, v6, v8
	v_fma_f32 v6, v6, v8, -v1
	v_fmac_f32_e32 v6, v0, v8
	v_add_f32_e32 v8, v1, v6
	v_sub_f32_e32 v0, v8, v1
	v_sub_f32_e32 v6, v6, v0
	v_cvt_f64_f32_e64 v[0:1], |v3|
	v_add_f32_e32 v10, 0x3f2aaaaa, v8
	v_add_f32_e32 v11, 0xbf2aaaaa, v10
	v_add_f32_e32 v6, 0x31739010, v6
	v_frexp_exp_i32_f64_e32 v0, v[0:1]
	v_sub_f32_e32 v8, v8, v11
	v_add_f32_e32 v1, v6, v8
	v_add_f32_e32 v6, v10, v1
	v_sub_f32_e32 v8, v10, v6
	v_add_f32_e32 v1, v1, v8
	v_mul_f32_e32 v8, v9, v6
	v_fma_f32 v10, v9, v6, -v8
	v_subbrev_co_u32_e32 v0, vcc, 0, v0, vcc
	v_cvt_f32_i32_e32 v0, v0
	v_fmac_f32_e32 v10, v9, v1
	s_mov_b32 s6, 0x3f317218
	v_fmac_f32_e32 v10, v7, v6
	v_mul_f32_e32 v1, 0x3f317218, v0
	v_fma_f32 v6, v0, s6, -v1
	v_fmac_f32_e32 v6, 0xb102e308, v0
	v_ldexp_f32 v0, v5, 1
	v_add_f32_e32 v5, v1, v6
	v_sub_f32_e32 v1, v5, v1
	v_ldexp_f32 v4, v4, 1
	v_sub_f32_e32 v1, v6, v1
	v_add_f32_e32 v6, v8, v10
	v_sub_f32_e32 v7, v6, v8
	v_add_f32_e32 v8, v4, v6
	v_sub_f32_e32 v7, v10, v7
	v_sub_f32_e32 v4, v8, v4
	;; [unrolled: 1-line block ×3, first 2 shown]
	v_add_f32_e32 v0, v0, v7
	v_add_f32_e32 v0, v0, v4
	;; [unrolled: 1-line block ×3, first 2 shown]
	v_sub_f32_e32 v6, v4, v8
	v_sub_f32_e32 v0, v0, v6
	v_add_f32_e32 v6, v5, v4
	v_sub_f32_e32 v7, v6, v5
	v_sub_f32_e32 v8, v6, v7
	;; [unrolled: 1-line block ×4, first 2 shown]
	v_add_f32_e32 v4, v4, v5
	v_add_f32_e32 v5, v1, v0
	v_sub_f32_e32 v7, v5, v1
	v_sub_f32_e32 v8, v5, v7
	;; [unrolled: 1-line block ×4, first 2 shown]
	v_add_f32_e32 v0, v0, v1
	v_add_f32_e32 v1, v5, v4
	;; [unrolled: 1-line block ×3, first 2 shown]
	v_sub_f32_e32 v5, v4, v6
	v_sub_f32_e32 v1, v1, v5
	v_add_f32_e32 v0, v0, v1
	v_add_f32_e32 v1, v4, v0
	v_sub_f32_e32 v4, v1, v4
	v_sub_f32_e32 v0, v0, v4
	v_mul_f32_e32 v4, v2, v1
	v_fma_f32 v1, v2, v1, -v4
	v_fmac_f32_e32 v1, v2, v0
	v_add_f32_e32 v0, v4, v1
	v_cmp_class_f32_e64 vcc, v4, s10
	v_sub_f32_e32 v5, v0, v4
	v_cndmask_b32_e32 v0, v0, v4, vcc
	s_mov_b32 s7, 0x42b17218
	v_mov_b32_e32 v4, 0x37000000
	v_cmp_eq_f32_e32 vcc, s7, v0
	v_cndmask_b32_e32 v4, 0, v4, vcc
	v_sub_f32_e32 v1, v1, v5
	v_sub_f32_e32 v5, v0, v4
	s_mov_b32 s11, 0x3fb8aa3b
	v_mul_f32_e32 v6, 0x3fb8aa3b, v5
	v_fma_f32 v7, v5, s11, -v6
	v_rndne_f32_e32 v8, v6
	v_fmac_f32_e32 v7, 0x32a5705f, v5
	v_sub_f32_e32 v6, v6, v8
	v_add_f32_e32 v6, v6, v7
	v_exp_f32_e32 v6, v6
	v_cvt_i32_f32_e32 v7, v8
	s_mov_b32 s6, 0x7f800000
	v_cmp_neq_f32_e64 vcc, |v0|, s6
	s_mov_b32 s6, 0xc2ce8ed0
	v_cndmask_b32_e32 v0, 0, v1, vcc
	v_ldexp_f32 v1, v6, v7
	v_cmp_ngt_f32_e32 vcc, s6, v5
	v_add_f32_e32 v0, v4, v0
	v_cndmask_b32_e32 v1, 0, v1, vcc
	v_mov_b32_e32 v4, 0x7f800000
	v_cmp_nlt_f32_e32 vcc, s7, v5
	v_cndmask_b32_e32 v1, v4, v1, vcc
	v_fma_f32 v0, v1, v0, v1
	v_cmp_class_f32_e64 vcc, v1, s10
	v_cndmask_b32_e32 v0, v0, v1, vcc
	v_trunc_f32_e32 v1, v2
	v_cmp_eq_f32_e32 vcc, v1, v2
	v_mul_f32_e32 v1, 0.5, v2
	v_trunc_f32_e32 v6, v1
	v_cmp_neq_f32_e64 s[6:7], v6, v1
	s_and_b64 s[6:7], vcc, s[6:7]
	v_cndmask_b32_e64 v1, 1.0, v3, s[6:7]
	s_brev_b32 s13, -2
	v_mov_b32_e32 v5, 0x7fc00000
	v_bfi_b32 v0, s13, v0, v1
	v_cndmask_b32_e32 v1, v5, v0, vcc
	v_cmp_gt_f32_e32 vcc, 0, v3
	v_cndmask_b32_e32 v0, v0, v1, vcc
	v_cmp_class_f32_e64 s[14:15], v3, s10
	v_cmp_eq_f32_e32 vcc, 0, v3
	v_cmp_gt_f32_e64 s[10:11], 0, v2
	s_xor_b64 s[10:11], s[10:11], vcc
	v_cndmask_b32_e64 v1, v4, 0, s[10:11]
	v_cndmask_b32_e64 v2, 0, v3, s[6:7]
	v_bfi_b32 v1, s13, v1, v2
	s_or_b64 vcc, vcc, s[14:15]
	v_cndmask_b32_e32 v0, v0, v1, vcc
	v_cmp_o_f32_e32 vcc, v3, v3
	v_cndmask_b32_e32 v80, v5, v0, vcc
.LBB56_4:
	buffer_load_dword v4, off, s[0:3], 0 offset:28 ; 4-byte Folded Reload
	s_load_dwordx4 s[24:27], s[4:5], 0x70
	s_lshl_b32 s59, s8, 5
	v_lshlrev_b32_e32 v16, 2, v20
	s_mul_i32 s16, s16, s20
	v_add_u32_e32 v15, s59, v16
	s_waitcnt lgkmcnt(0)
	s_mul_i32 s6, s33, s26
	s_ashr_i32 s10, s6, 31
	s_mul_i32 s7, s42, s25
	s_add_u32 s6, s36, s6
	s_addc_u32 s10, s37, s10
	s_ashr_i32 s11, s7, 31
	s_add_u32 s13, s6, s7
	s_addc_u32 s14, s10, s11
	s_ashr_i32 s25, s24, 31
	v_mov_b32_e32 v1, s14
	s_lshr_b64 s[10:11], s[24:25], 2
	s_waitcnt vmcnt(0)
	v_lshlrev_b32_e32 v0, 4, v4
	v_add_co_u32_e32 v2, vcc, s13, v0
	v_cmp_gt_u32_e64 s[6:7], 28, v4
	v_addc_co_u32_e32 v3, vcc, 0, v1, vcc
	v_lshlrev_b32_e32 v0, 3, v4
	buffer_store_dword v0, off, s[0:3], 0 offset:16 ; 4-byte Folded Spill
	s_and_saveexec_b64 s[14:15], s[6:7]
	s_cbranch_execz .LBB56_6
; %bb.5:
	v_mul_hi_u32 v0, v15, s52
	s_movk_i32 s13, 0x380
	v_add_u32_e32 v0, v15, v0
	v_lshrrev_b32_e32 v0, s53, v0
	v_mul_lo_u32 v0, v0, s54
	v_sub_u32_e32 v4, v15, v0
	v_mad_u64_u32 v[0:1], s[22:23], s10, v4, 0
	v_mad_u64_u32 v[4:5], s[22:23], s11, v4, v[1:2]
	v_mov_b32_e32 v1, v4
	v_lshlrev_b64 v[0:1], 2, v[0:1]
	v_add_co_u32_e32 v0, vcc, v2, v0
	v_addc_co_u32_e32 v1, vcc, v3, v1, vcc
	global_load_dwordx4 v[4:7], v[0:1], off
	s_waitcnt vmcnt(0)
	v_fma_mixlo_f16 v1, s12, v5, 0
	buffer_load_dword v0, off, s[0:3], 0 offset:16 ; 4-byte Folded Reload
	v_fma_mixlo_f16 v5, s12, v7, 0
	v_lshlrev_b32_e32 v1, 16, v1
	v_lshlrev_b32_e32 v5, 16, v5
	s_waitcnt vmcnt(0)
	v_mad_u32_u24 v8, v20, s13, v0
	v_fma_mixlo_f16 v0, s12, v4, 0
	v_fma_mixlo_f16 v4, s12, v6, 0
	v_and_b32_e32 v0, 0xffff, v0
	v_and_b32_e32 v4, 0xffff, v4
	v_or_b32_e32 v0, v1, v0
	v_or3_b32 v1, v5, v4, 0
	v_or3_b32 v0, 0, 0, v0
	ds_write_b64 v8, v[0:1]
.LBB56_6:
	s_or_b64 exec, exec, s[14:15]
	v_or_b32_e32 v10, 1, v16
	s_mul_hi_u32 s16, s20, s16
	v_add_u32_e32 v11, s59, v10
	s_and_saveexec_b64 s[14:15], s[6:7]
	s_cbranch_execz .LBB56_8
; %bb.7:
	v_mul_hi_u32 v0, v11, s52
	s_movk_i32 s13, 0xe0
	v_add_u32_e32 v0, v11, v0
	v_lshrrev_b32_e32 v0, s53, v0
	v_mul_lo_u32 v0, v0, s54
	v_sub_u32_e32 v4, v11, v0
	v_mad_u64_u32 v[0:1], s[22:23], s10, v4, 0
	v_mad_u64_u32 v[4:5], s[22:23], s11, v4, v[1:2]
	v_mov_b32_e32 v1, v4
	v_lshlrev_b64 v[0:1], 2, v[0:1]
	v_add_co_u32_e32 v0, vcc, v2, v0
	v_addc_co_u32_e32 v1, vcc, v3, v1, vcc
	global_load_dwordx4 v[4:7], v[0:1], off
	s_waitcnt vmcnt(0)
	v_fma_mixlo_f16 v1, s12, v5, 0
	buffer_load_dword v0, off, s[0:3], 0 offset:16 ; 4-byte Folded Reload
	v_fma_mixlo_f16 v5, s12, v7, 0
	v_lshlrev_b32_e32 v1, 16, v1
	v_lshlrev_b32_e32 v5, 16, v5
	s_waitcnt vmcnt(0)
	v_mad_u32_u24 v8, v10, s13, v0
	v_fma_mixlo_f16 v0, s12, v4, 0
	v_fma_mixlo_f16 v4, s12, v6, 0
	v_and_b32_e32 v0, 0xffff, v0
	v_and_b32_e32 v4, 0xffff, v4
	v_or_b32_e32 v0, v1, v0
	v_or3_b32 v1, v5, v4, 0
	v_or3_b32 v0, 0, 0, v0
	ds_write_b64 v8, v[0:1]
.LBB56_8:
	s_or_b64 exec, exec, s[14:15]
	s_abs_i32 s13, s42
	s_add_i32 s20, s20, s16
	v_or_b32_e32 v9, 2, v16
	s_and_saveexec_b64 s[14:15], s[6:7]
	s_cbranch_execz .LBB56_10
; %bb.9:
	v_add_u32_e32 v0, s59, v9
	v_mul_hi_u32 v1, v0, s52
	s_movk_i32 s16, 0xe0
	v_add_u32_e32 v1, v0, v1
	v_lshrrev_b32_e32 v1, s53, v1
	v_mul_lo_u32 v1, v1, s54
	v_sub_u32_e32 v4, v0, v1
	v_mad_u64_u32 v[0:1], s[22:23], s10, v4, 0
	v_mad_u64_u32 v[4:5], s[22:23], s11, v4, v[1:2]
	v_mov_b32_e32 v1, v4
	v_lshlrev_b64 v[0:1], 2, v[0:1]
	v_add_co_u32_e32 v0, vcc, v2, v0
	v_addc_co_u32_e32 v1, vcc, v3, v1, vcc
	global_load_dwordx4 v[4:7], v[0:1], off
	s_waitcnt vmcnt(0)
	v_fma_mixlo_f16 v1, s12, v5, 0
	buffer_load_dword v0, off, s[0:3], 0 offset:16 ; 4-byte Folded Reload
	v_fma_mixlo_f16 v5, s12, v7, 0
	v_lshlrev_b32_e32 v1, 16, v1
	v_lshlrev_b32_e32 v5, 16, v5
	s_waitcnt vmcnt(0)
	v_mad_u32_u24 v8, v9, s16, v0
	v_fma_mixlo_f16 v0, s12, v4, 0
	v_fma_mixlo_f16 v4, s12, v6, 0
	v_and_b32_e32 v0, 0xffff, v0
	v_and_b32_e32 v4, 0xffff, v4
	v_or_b32_e32 v0, v1, v0
	v_or3_b32 v1, v5, v4, 0
	v_or3_b32 v0, 0, 0, v0
	ds_write_b64 v8, v[0:1]
.LBB56_10:
	s_or_b64 exec, exec, s[14:15]
	s_mul_hi_u32 s16, s13, s20
	v_or_b32_e32 v7, 3, v16
	s_and_saveexec_b64 s[14:15], s[6:7]
	s_cbranch_execz .LBB56_12
; %bb.11:
	v_add_u32_e32 v0, s59, v7
	v_mul_hi_u32 v1, v0, s52
	v_add_u32_e32 v1, v0, v1
	v_lshrrev_b32_e32 v1, s53, v1
	v_mul_lo_u32 v1, v1, s54
	v_sub_u32_e32 v4, v0, v1
	v_mad_u64_u32 v[0:1], s[20:21], s10, v4, 0
	v_mad_u64_u32 v[4:5], s[10:11], s11, v4, v[1:2]
	s_movk_i32 s10, 0xe0
	v_mov_b32_e32 v1, v4
	v_lshlrev_b64 v[0:1], 2, v[0:1]
	v_add_co_u32_e32 v0, vcc, v2, v0
	v_addc_co_u32_e32 v1, vcc, v3, v1, vcc
	global_load_dwordx4 v[2:5], v[0:1], off
	s_waitcnt vmcnt(0)
	v_fma_mixlo_f16 v1, s12, v3, 0
	buffer_load_dword v0, off, s[0:3], 0 offset:16 ; 4-byte Folded Reload
	v_fma_mixlo_f16 v3, s12, v5, 0
	v_lshlrev_b32_e32 v1, 16, v1
	v_lshlrev_b32_e32 v3, 16, v3
	s_waitcnt vmcnt(0)
	v_mad_u32_u24 v6, v7, s10, v0
	v_fma_mixlo_f16 v0, s12, v2, 0
	v_fma_mixlo_f16 v2, s12, v4, 0
	v_and_b32_e32 v0, 0xffff, v0
	v_and_b32_e32 v2, 0xffff, v2
	v_or_b32_e32 v0, v1, v0
	v_or3_b32 v1, v3, v2, 0
	v_or3_b32 v0, 0, 0, v0
	ds_write_b64 v6, v[0:1]
.LBB56_12:
	s_or_b64 exec, exec, s[14:15]
	s_ashr_i32 s43, s42, 31
	s_ashr_i32 s10, s19, 31
	s_cmp_eq_u64 s[46:47], 0
	s_waitcnt vmcnt(0) lgkmcnt(0)
	s_barrier
	s_cbranch_scc1 .LBB56_14
; %bb.13:
	s_load_dword s11, s[4:5], 0xd0
	s_mov_b32 s15, 0
	s_waitcnt lgkmcnt(0)
	s_mul_i32 s11, s11, s33
	s_add_i32 s14, s11, s8
	s_lshl_b64 s[14:15], s[14:15], 2
	s_add_u32 s14, s46, s14
	s_addc_u32 s15, s47, s15
	s_load_dword s58, s[14:15], 0x0
.LBB56_14:
	buffer_store_dword v11, off, s[0:3], 0 offset:148 ; 4-byte Folded Spill
	buffer_store_dword v10, off, s[0:3], 0 offset:184 ; 4-byte Folded Spill
	;; [unrolled: 1-line block ×4, first 2 shown]
	s_load_dwordx2 s[14:15], s[4:5], 0x8c
	s_load_dwordx4 s[20:23], s[4:5], 0x98
	buffer_load_dword v0, off, s[0:3], 0 offset:28 ; 4-byte Folded Reload
	s_ashr_i32 s11, s33, 31
	s_ashr_i32 s65, s17, 1
	s_waitcnt lgkmcnt(0)
	s_ashr_i32 s66, s14, 2
	s_mul_hi_u32 s12, s20, s33
	s_mul_i32 s14, s20, s11
	s_add_i32 s12, s12, s14
	s_mul_i32 s14, s21, s33
	s_ashr_i32 s8, s22, 2
	s_add_i32 s12, s12, s14
	s_mul_i32 s14, s20, s33
	s_add_u32 s14, s38, s14
	s_mul_i32 s17, s16, s18
	s_addc_u32 s12, s39, s12
	s_sub_i32 s13, s13, s17
	s_xor_b32 s10, s43, s10
	s_add_i32 s17, s16, 1
	s_sub_i32 s19, s13, s18
	s_cmp_ge_u32 s13, s18
	s_cselect_b32 s16, s17, s16
	s_cselect_b32 s13, s19, s13
	s_add_i32 s17, s16, 1
	s_cmp_ge_u32 s13, s18
	s_cselect_b32 s13, s17, s16
	s_load_dwordx2 s[24:25], s[4:5], 0xa8
	s_xor_b32 s13, s13, s10
	s_sub_i32 s10, s13, s10
	s_mul_i32 s13, s10, s15
	s_ashr_i32 s15, s13, 31
	s_add_u32 s68, s14, s13
	s_addc_u32 s67, s12, s15
	s_waitcnt lgkmcnt(0)
	s_mul_hi_u32 s12, s24, s33
	s_mul_i32 s11, s24, s11
	s_add_i32 s11, s12, s11
	s_mul_i32 s12, s25, s33
	s_add_i32 s11, s11, s12
	s_mul_i32 s12, s24, s33
	s_add_u32 s12, s40, s12
	s_mul_i32 s10, s10, s23
	s_addc_u32 s11, s41, s11
	s_ashr_i32 s13, s10, 31
	s_add_u32 s62, s12, s10
	s_addc_u32 s63, s11, s13
	s_lshl_b32 s64, s9, 5
	s_sub_i32 s69, s58, 32
	s_cmp_ge_i32 s64, s69
	v_mbcnt_lo_u32_b32 v19, -1, 0
	s_waitcnt vmcnt(0)
	v_lshlrev_b32_e32 v1, 2, v0
	v_lshl_add_u32 v5, v20, 5, v0
	v_lshrrev_b32_e32 v4, 1, v0
	v_lshrrev_b32_e32 v2, 2, v0
	v_lshlrev_b32_e32 v3, 7, v0
	v_lshrrev_b32_e32 v17, 3, v0
	v_mov_b32_e32 v0, v1
	v_and_b32_e32 v18, 4, v1
	v_and_b32_e32 v21, 12, v1
	buffer_store_dword v0, off, s[0:3], 0 offset:172 ; 4-byte Folded Spill
	s_nop 0
	buffer_store_dword v1, off, s[0:3], 0 offset:176 ; 4-byte Folded Spill
	v_and_b32_e32 v1, 28, v1
	buffer_store_dword v16, off, s[0:3], 0 offset:132 ; 4-byte Folded Spill
	buffer_store_dword v15, off, s[0:3], 0 offset:128 ; 4-byte Folded Spill
	;; [unrolled: 1-line block ×11, first 2 shown]
	s_cbranch_scc1 .LBB56_50
; %bb.15:
	v_lshl_add_u32 v8, v20, 4, v4
	v_add_u32_e32 v0, 0x1c60, v3
	v_lshlrev_b32_e32 v10, 2, v18
	buffer_store_dword v0, off, s[0:3], 0 offset:48 ; 4-byte Folded Spill
	v_lshl_or_b32 v0, v8, 7, v10
	v_add_u32_e32 v0, 0x1c40, v0
	buffer_store_dword v0, off, s[0:3], 0 offset:52 ; 4-byte Folded Spill
	v_mul_hi_u32 v0, s52, v15
	v_or_b32_e32 v9, 1, v15
	v_mul_hi_u32 v11, s52, v9
	v_cmp_gt_u32_e64 s[10:11], 32, v8
	v_add_u32_e32 v0, v15, v0
	v_lshrrev_b32_e32 v0, s53, v0
	v_mul_lo_u32 v0, v0, s54
	v_add_u32_e32 v11, v9, v11
	v_lshrrev_b32_e32 v11, s53, v11
	v_mul_lo_u32 v11, v11, s54
	v_sub_u32_e32 v0, v15, v0
	v_mul_lo_u32 v0, v0, s65
	v_lshl_add_u32 v12, v20, 3, v2
	v_sub_u32_e32 v9, v9, v11
	v_or_b32_e32 v11, 3, v15
	buffer_store_dword v0, off, s[0:3], 0 offset:112 ; 4-byte Folded Spill
	v_or_b32_e32 v0, 2, v15
	v_mul_hi_u32 v14, s52, v0
	v_mul_hi_u32 v15, s52, v11
	v_mul_lo_u32 v9, v9, s65
	v_mul_lo_u32 v2, s66, v5
	v_add_u32_e32 v14, v0, v14
	v_lshrrev_b32_e32 v14, s53, v14
	v_mul_lo_u32 v14, v14, s54
	v_add_u32_e32 v15, v11, v15
	v_lshrrev_b32_e32 v15, s53, v15
	v_mul_lo_u32 v15, v15, s54
	v_sub_u32_e32 v0, v0, v14
	v_mul_lo_u32 v0, v0, s65
	buffer_store_dword v9, off, s[0:3], 0 offset:116 ; 4-byte Folded Spill
	v_mov_b32_e32 v9, 0x2c40
	v_mul_lo_u32 v4, s66, v8
	buffer_store_dword v0, off, s[0:3], 0 offset:120 ; 4-byte Folded Spill
	v_sub_u32_e32 v0, v11, v15
	v_mul_lo_u32 v0, v0, s65
	v_lshl_add_u32 v121, v20, 8, v9
	v_cmp_gt_u32_e64 s[14:15], 16, v8
	v_mul_lo_u32 v9, s8, v8
	v_mul_u32_u24_e32 v8, 0xe0, v8
	v_or_b32_e32 v8, v8, v10
	v_lshlrev_b32_e32 v13, 2, v21
	buffer_store_dword v0, off, s[0:3], 0 offset:124 ; 4-byte Folded Spill
	v_add_u32_e32 v14, v17, v16
	v_add_u32_e32 v0, 0x1cc0, v8
	v_mul_u32_u24_e32 v8, 0xe0, v12
	s_movk_i32 s21, 0x1c80
	s_movk_i32 s20, 0x1c00
	v_lshl_or_b32 v7, v12, 7, v13
	v_cmp_gt_u32_e64 s[18:19], 16, v14
	buffer_store_dword v0, off, s[0:3], 0 offset:60 ; 4-byte Folded Spill
	v_add3_u32 v0, v8, v13, s21
	v_mul_lo_u32 v13, s8, v14
	v_mul_u32_u24_e32 v8, 0xe0, v14
	v_lshlrev_b32_e32 v14, 2, v1
	v_add_u32_e32 v112, 0x1c00, v3
	v_ashrrev_i32_e32 v3, 31, v2
	buffer_store_dword v0, off, s[0:3], 0 offset:64 ; 4-byte Folded Spill
	v_add3_u32 v0, v8, v14, s20
	buffer_store_dword v0, off, s[0:3], 0 offset:68 ; 4-byte Folded Spill
	v_lshlrev_b64 v[0:1], 2, v[2:3]
	v_mul_lo_u32 v6, s66, v12
	v_add_u32_e32 v7, 0x1c00, v7
	v_cmp_gt_u32_e64 s[36:37], 32, v5
	v_ashrrev_i32_e32 v5, 31, v4
	buffer_store_dword v7, off, s[0:3], 0 offset:56 ; 4-byte Folded Spill
	buffer_store_dword v0, off, s[0:3], 0 offset:72 ; 4-byte Folded Spill
	s_nop 0
	buffer_store_dword v1, off, s[0:3], 0 offset:76 ; 4-byte Folded Spill
	v_lshlrev_b64 v[0:1], 2, v[4:5]
	v_ashrrev_i32_e32 v7, 31, v6
	buffer_store_dword v0, off, s[0:3], 0 offset:80 ; 4-byte Folded Spill
	s_nop 0
	buffer_store_dword v1, off, s[0:3], 0 offset:84 ; 4-byte Folded Spill
	v_lshlrev_b64 v[0:1], 2, v[6:7]
	buffer_store_dword v0, off, s[0:3], 0 offset:88 ; 4-byte Folded Spill
	s_nop 0
	buffer_store_dword v1, off, s[0:3], 0 offset:92 ; 4-byte Folded Spill
	v_mul_lo_u32 v11, s8, v12
	v_lshlrev_b32_e32 v0, 2, v18
	v_ashrrev_i32_e32 v10, 31, v9
	buffer_store_dword v0, off, s[0:3], 0 offset:20 ; 4-byte Folded Spill
	v_lshlrev_b32_e32 v0, 2, v21
	buffer_store_dword v0, off, s[0:3], 0 offset:24 ; 4-byte Folded Spill
	v_lshlrev_b64 v[0:1], 2, v[9:10]
	v_cmp_gt_u32_e64 s[12:13], 32, v12
	s_cmp_lg_u64 s[56:57], 0
	v_cmp_gt_u32_e64 s[16:17], 16, v12
	v_ashrrev_i32_e32 v12, 31, v11
	v_ashrrev_i32_e32 v14, 31, v13
	buffer_store_dword v0, off, s[0:3], 0 offset:96 ; 4-byte Folded Spill
	s_nop 0
	buffer_store_dword v1, off, s[0:3], 0 offset:100 ; 4-byte Folded Spill
	s_cselect_b64 s[40:41], -1, 0
	s_add_u32 s46, s4, 0xd0
	v_lshlrev_b64 v[0:1], 2, v[11:12]
	v_lshlrev_b64 v[81:82], 2, v[13:14]
	v_mul_u32_u24_e32 v113, 0x380, v20
	v_mov_b32_e32 v89, 0
	s_addc_u32 s47, s5, 0
	v_mov_b32_e32 v8, 0xfeffffff
	s_mov_b32 s70, 0x3fb8aa3b
	s_mov_b32 s71, 0xc2ce8ed0
	;; [unrolled: 1-line block ×4, first 2 shown]
	v_mbcnt_hi_u32_b32 v127, -1, v19
	v_mov_b32_e32 v100, 0x7f800000
	v_mov_b32_e32 v91, 0
	;; [unrolled: 1-line block ×15, first 2 shown]
	buffer_store_dword v0, off, s[0:3], 0 offset:104 ; 4-byte Folded Spill
	s_nop 0
	buffer_store_dword v1, off, s[0:3], 0 offset:108 ; 4-byte Folded Spill
.LBB56_16:                              ; =>This Inner Loop Header: Depth=1
	s_mul_hi_i32 s21, s64, s66
	s_mul_i32 s20, s64, s66
	s_lshl_b64 s[20:21], s[20:21], 2
	s_add_u32 s22, s68, s20
	s_addc_u32 s23, s67, s21
	s_and_saveexec_b64 s[20:21], s[36:37]
	s_cbranch_execnz .LBB56_46
; %bb.17:                               ;   in Loop: Header=BB56_16 Depth=1
	s_or_b64 exec, exec, s[20:21]
	s_and_saveexec_b64 s[20:21], s[10:11]
	s_cbranch_execnz .LBB56_47
.LBB56_18:                              ;   in Loop: Header=BB56_16 Depth=1
	s_or_b64 exec, exec, s[20:21]
	s_and_saveexec_b64 s[20:21], s[12:13]
	s_cbranch_execz .LBB56_20
.LBB56_19:                              ;   in Loop: Header=BB56_16 Depth=1
	buffer_load_dword v0, off, s[0:3], 0 offset:88 ; 4-byte Folded Reload
	buffer_load_dword v1, off, s[0:3], 0 offset:92 ; 4-byte Folded Reload
	v_mov_b32_e32 v2, s23
	s_waitcnt vmcnt(1)
	v_add_co_u32_e32 v3, vcc, s22, v0
	buffer_load_dword v0, off, s[0:3], 0 offset:24 ; 4-byte Folded Reload
	s_waitcnt vmcnt(1)
	v_addc_co_u32_e32 v4, vcc, v2, v1, vcc
	s_waitcnt vmcnt(0)
	v_add_co_u32_e32 v2, vcc, v3, v0
	v_addc_co_u32_e32 v3, vcc, 0, v4, vcc
	global_load_dwordx4 v[2:5], v[2:3], off
	s_nop 0
	buffer_load_dword v0, off, s[0:3], 0 offset:56 ; 4-byte Folded Reload
	s_waitcnt vmcnt(0)
	ds_write_b128 v0, v[2:5]
.LBB56_20:                              ;   in Loop: Header=BB56_16 Depth=1
	s_or_b64 exec, exec, s[20:21]
	s_waitcnt vmcnt(0) lgkmcnt(0)
	s_barrier
	ds_read_b128 v[10:13], v112
	ds_read_b128 v[14:17], v113
	ds_read_b128 v[18:21], v113 offset:224
	ds_read_b128 v[22:25], v113 offset:448
	;; [unrolled: 1-line block ×3, first 2 shown]
	v_mov_b32_e32 v5, 0
	s_waitcnt lgkmcnt(3)
	;;#ASMSTART
	v_dot2_f32_f16 v5, v10, v14, v5
	;;#ASMEND
	;;#ASMSTART
	v_dot2_f32_f16 v5, v11, v15, v5
	;;#ASMEND
	;;#ASMSTART
	v_dot2_f32_f16 v5, v12, v16, v5
	;;#ASMEND
	v_mov_b32_e32 v4, 0
	;;#ASMSTART
	v_dot2_f32_f16 v5, v13, v17, v5
	;;#ASMEND
	s_waitcnt lgkmcnt(2)
	;;#ASMSTART
	v_dot2_f32_f16 v4, v10, v18, v4
	;;#ASMEND
	;;#ASMSTART
	v_dot2_f32_f16 v4, v11, v19, v4
	;;#ASMEND
	;;#ASMSTART
	v_dot2_f32_f16 v4, v12, v20, v4
	;;#ASMEND
	v_mov_b32_e32 v3, 0
	;;#ASMSTART
	v_dot2_f32_f16 v4, v13, v21, v4
	;;#ASMEND
	;; [unrolled: 14-line block ×3, first 2 shown]
	s_waitcnt lgkmcnt(0)
	;;#ASMSTART
	v_dot2_f32_f16 v2, v10, v26, v2
	;;#ASMEND
	;;#ASMSTART
	v_dot2_f32_f16 v2, v11, v27, v2
	;;#ASMEND
	;;#ASMSTART
	v_dot2_f32_f16 v2, v12, v28, v2
	;;#ASMEND
	;;#ASMSTART
	v_dot2_f32_f16 v2, v13, v29, v2
	;;#ASMEND
	ds_read_b128 v[10:13], v112 offset:16
	ds_read_b128 v[14:17], v113 offset:16
	ds_read_b128 v[18:21], v113 offset:240
	ds_read_b128 v[22:25], v113 offset:464
	ds_read_b128 v[26:29], v113 offset:688
	s_waitcnt lgkmcnt(3)
	;;#ASMSTART
	v_dot2_f32_f16 v5, v10, v14, v5
	;;#ASMEND
	;;#ASMSTART
	v_dot2_f32_f16 v5, v11, v15, v5
	;;#ASMEND
	;;#ASMSTART
	v_dot2_f32_f16 v5, v12, v16, v5
	;;#ASMEND
	;;#ASMSTART
	v_dot2_f32_f16 v5, v13, v17, v5
	;;#ASMEND
	s_waitcnt lgkmcnt(2)
	;;#ASMSTART
	v_dot2_f32_f16 v4, v10, v18, v4
	;;#ASMEND
	;;#ASMSTART
	v_dot2_f32_f16 v4, v11, v19, v4
	;;#ASMEND
	;;#ASMSTART
	v_dot2_f32_f16 v4, v12, v20, v4
	;;#ASMEND
	;;#ASMSTART
	v_dot2_f32_f16 v4, v13, v21, v4
	;;#ASMEND
	s_waitcnt lgkmcnt(1)
	;;#ASMSTART
	v_dot2_f32_f16 v3, v10, v22, v3
	;;#ASMEND
	;;#ASMSTART
	v_dot2_f32_f16 v3, v11, v23, v3
	;;#ASMEND
	;;#ASMSTART
	v_dot2_f32_f16 v3, v12, v24, v3
	;;#ASMEND
	;;#ASMSTART
	v_dot2_f32_f16 v3, v13, v25, v3
	;;#ASMEND
	s_waitcnt lgkmcnt(0)
	;;#ASMSTART
	v_dot2_f32_f16 v2, v10, v26, v2
	;;#ASMEND
	;;#ASMSTART
	v_dot2_f32_f16 v2, v11, v27, v2
	;;#ASMEND
	;;#ASMSTART
	v_dot2_f32_f16 v2, v12, v28, v2
	;;#ASMEND
	;;#ASMSTART
	v_dot2_f32_f16 v2, v13, v29, v2
	;;#ASMEND
	ds_read_b128 v[10:13], v112 offset:32
	ds_read_b128 v[14:17], v113 offset:32
	ds_read_b128 v[18:21], v113 offset:256
	ds_read_b128 v[22:25], v113 offset:480
	ds_read_b128 v[26:29], v113 offset:704
	s_waitcnt lgkmcnt(3)
	;;#ASMSTART
	v_dot2_f32_f16 v5, v10, v14, v5
	;;#ASMEND
	;;#ASMSTART
	v_dot2_f32_f16 v5, v11, v15, v5
	;;#ASMEND
	;;#ASMSTART
	v_dot2_f32_f16 v5, v12, v16, v5
	;;#ASMEND
	;;#ASMSTART
	v_dot2_f32_f16 v5, v13, v17, v5
	;;#ASMEND
	s_waitcnt lgkmcnt(2)
	;;#ASMSTART
	v_dot2_f32_f16 v4, v10, v18, v4
	;;#ASMEND
	;;#ASMSTART
	v_dot2_f32_f16 v4, v11, v19, v4
	;;#ASMEND
	;;#ASMSTART
	v_dot2_f32_f16 v4, v12, v20, v4
	;;#ASMEND
	;;#ASMSTART
	v_dot2_f32_f16 v4, v13, v21, v4
	;;#ASMEND
	s_waitcnt lgkmcnt(1)
	;;#ASMSTART
	v_dot2_f32_f16 v3, v10, v22, v3
	;;#ASMEND
	;;#ASMSTART
	v_dot2_f32_f16 v3, v11, v23, v3
	;;#ASMEND
	;;#ASMSTART
	v_dot2_f32_f16 v3, v12, v24, v3
	;;#ASMEND
	;;#ASMSTART
	v_dot2_f32_f16 v3, v13, v25, v3
	;;#ASMEND
	;; [unrolled: 57-line block ×6, first 2 shown]
	s_waitcnt lgkmcnt(0)
	;;#ASMSTART
	v_dot2_f32_f16 v2, v10, v26, v2
	;;#ASMEND
	;;#ASMSTART
	v_dot2_f32_f16 v2, v11, v27, v2
	;;#ASMEND
	;; [unrolled: 3-line block ×4, first 2 shown]
	s_barrier
	s_and_saveexec_b64 s[20:21], s[36:37]
	s_cbranch_execnz .LBB56_48
; %bb.21:                               ;   in Loop: Header=BB56_16 Depth=1
	s_or_b64 exec, exec, s[20:21]
	s_and_saveexec_b64 s[20:21], s[10:11]
	s_cbranch_execnz .LBB56_49
.LBB56_22:                              ;   in Loop: Header=BB56_16 Depth=1
	s_or_b64 exec, exec, s[20:21]
	s_and_saveexec_b64 s[20:21], s[12:13]
	s_cbranch_execz .LBB56_24
.LBB56_23:                              ;   in Loop: Header=BB56_16 Depth=1
	buffer_load_dword v0, off, s[0:3], 0 offset:88 ; 4-byte Folded Reload
	buffer_load_dword v1, off, s[0:3], 0 offset:92 ; 4-byte Folded Reload
	v_mov_b32_e32 v10, s23
	s_waitcnt vmcnt(1)
	v_add_co_u32_e32 v11, vcc, s22, v0
	buffer_load_dword v0, off, s[0:3], 0 offset:24 ; 4-byte Folded Reload
	s_waitcnt vmcnt(1)
	v_addc_co_u32_e32 v12, vcc, v10, v1, vcc
	s_waitcnt vmcnt(0)
	v_add_co_u32_e32 v10, vcc, v11, v0
	v_addc_co_u32_e32 v11, vcc, 0, v12, vcc
	global_load_dwordx4 v[10:13], v[10:11], off offset:112
	s_nop 0
	buffer_load_dword v0, off, s[0:3], 0 offset:56 ; 4-byte Folded Reload
	s_waitcnt vmcnt(0)
	ds_write_b128 v0, v[10:13]
.LBB56_24:                              ;   in Loop: Header=BB56_16 Depth=1
	s_or_b64 exec, exec, s[20:21]
	s_waitcnt lgkmcnt(0)
	s_barrier
	ds_read_b128 v[10:13], v112
	ds_read_b128 v[14:17], v113 offset:112
	ds_read_b128 v[18:21], v113 offset:336
	ds_read_b128 v[22:25], v113 offset:560
	ds_read_b128 v[26:29], v113 offset:784
	s_waitcnt lgkmcnt(3)
	;;#ASMSTART
	v_dot2_f32_f16 v5, v10, v14, v5
	;;#ASMEND
	;;#ASMSTART
	v_dot2_f32_f16 v5, v11, v15, v5
	;;#ASMEND
	;;#ASMSTART
	v_dot2_f32_f16 v5, v12, v16, v5
	;;#ASMEND
	;;#ASMSTART
	v_dot2_f32_f16 v5, v13, v17, v5
	;;#ASMEND
	s_waitcnt lgkmcnt(2)
	;;#ASMSTART
	v_dot2_f32_f16 v4, v10, v18, v4
	;;#ASMEND
	;;#ASMSTART
	v_dot2_f32_f16 v4, v11, v19, v4
	;;#ASMEND
	;;#ASMSTART
	v_dot2_f32_f16 v4, v12, v20, v4
	;;#ASMEND
	;;#ASMSTART
	v_dot2_f32_f16 v4, v13, v21, v4
	;;#ASMEND
	s_waitcnt lgkmcnt(1)
	;;#ASMSTART
	v_dot2_f32_f16 v3, v10, v22, v3
	;;#ASMEND
	;;#ASMSTART
	v_dot2_f32_f16 v3, v11, v23, v3
	;;#ASMEND
	;;#ASMSTART
	v_dot2_f32_f16 v3, v12, v24, v3
	;;#ASMEND
	;;#ASMSTART
	v_dot2_f32_f16 v3, v13, v25, v3
	;;#ASMEND
	s_waitcnt lgkmcnt(0)
	;;#ASMSTART
	v_dot2_f32_f16 v2, v10, v26, v2
	;;#ASMEND
	;;#ASMSTART
	v_dot2_f32_f16 v2, v11, v27, v2
	;;#ASMEND
	;;#ASMSTART
	v_dot2_f32_f16 v2, v12, v28, v2
	;;#ASMEND
	;;#ASMSTART
	v_dot2_f32_f16 v2, v13, v29, v2
	;;#ASMEND
	ds_read_b128 v[10:13], v112 offset:16
	ds_read_b128 v[14:17], v113 offset:128
	ds_read_b128 v[18:21], v113 offset:352
	ds_read_b128 v[22:25], v113 offset:576
	ds_read_b128 v[26:29], v113 offset:800
	s_waitcnt lgkmcnt(3)
	;;#ASMSTART
	v_dot2_f32_f16 v5, v10, v14, v5
	;;#ASMEND
	;;#ASMSTART
	v_dot2_f32_f16 v5, v11, v15, v5
	;;#ASMEND
	;;#ASMSTART
	v_dot2_f32_f16 v5, v12, v16, v5
	;;#ASMEND
	;;#ASMSTART
	v_dot2_f32_f16 v5, v13, v17, v5
	;;#ASMEND
	s_waitcnt lgkmcnt(2)
	;;#ASMSTART
	v_dot2_f32_f16 v4, v10, v18, v4
	;;#ASMEND
	;;#ASMSTART
	v_dot2_f32_f16 v4, v11, v19, v4
	;;#ASMEND
	;;#ASMSTART
	v_dot2_f32_f16 v4, v12, v20, v4
	;;#ASMEND
	;;#ASMSTART
	v_dot2_f32_f16 v4, v13, v21, v4
	;;#ASMEND
	s_waitcnt lgkmcnt(1)
	;;#ASMSTART
	v_dot2_f32_f16 v3, v10, v22, v3
	;;#ASMEND
	;;#ASMSTART
	v_dot2_f32_f16 v3, v11, v23, v3
	;;#ASMEND
	;;#ASMSTART
	v_dot2_f32_f16 v3, v12, v24, v3
	;;#ASMEND
	;;#ASMSTART
	v_dot2_f32_f16 v3, v13, v25, v3
	;;#ASMEND
	s_waitcnt lgkmcnt(0)
	;;#ASMSTART
	v_dot2_f32_f16 v2, v10, v26, v2
	;;#ASMEND
	;;#ASMSTART
	v_dot2_f32_f16 v2, v11, v27, v2
	;;#ASMEND
	;;#ASMSTART
	v_dot2_f32_f16 v2, v12, v28, v2
	;;#ASMEND
	;;#ASMSTART
	v_dot2_f32_f16 v2, v13, v29, v2
	;;#ASMEND
	ds_read_b128 v[10:13], v112 offset:32
	;; [unrolled: 57-line block ×6, first 2 shown]
	ds_read_b128 v[14:17], v113 offset:208
	ds_read_b128 v[18:21], v113 offset:432
	;; [unrolled: 1-line block ×4, first 2 shown]
	s_waitcnt lgkmcnt(3)
	;;#ASMSTART
	v_dot2_f32_f16 v5, v10, v14, v5
	;;#ASMEND
	;;#ASMSTART
	v_dot2_f32_f16 v5, v11, v15, v5
	;;#ASMEND
	;;#ASMSTART
	v_dot2_f32_f16 v5, v12, v16, v5
	;;#ASMEND
	;;#ASMSTART
	v_dot2_f32_f16 v5, v13, v17, v5
	;;#ASMEND
	s_waitcnt lgkmcnt(2)
	;;#ASMSTART
	v_dot2_f32_f16 v4, v10, v18, v4
	;;#ASMEND
	;;#ASMSTART
	v_dot2_f32_f16 v4, v11, v19, v4
	;;#ASMEND
	;;#ASMSTART
	v_dot2_f32_f16 v4, v12, v20, v4
	;;#ASMEND
	;;#ASMSTART
	v_dot2_f32_f16 v4, v13, v21, v4
	;;#ASMEND
	;; [unrolled: 13-line block ×4, first 2 shown]
	buffer_load_dword v0, off, s[0:3], 0 offset:28 ; 4-byte Folded Reload
	v_cndmask_b32_e64 v11, 0, 1, s[40:41]
	v_mov_b32_e32 v15, 0
	v_cmp_ne_u32_e64 s[20:21], 1, v11
	s_andn2_b64 vcc, exec, s[40:41]
	v_mov_b32_e32 v12, 0
	s_waitcnt vmcnt(0)
	v_add_u32_e32 v10, s64, v0
	s_cbranch_vccnz .LBB56_26
; %bb.25:                               ;   in Loop: Header=BB56_16 Depth=1
	buffer_load_dword v0, off, s[0:3], 0 offset:112 ; 4-byte Folded Reload
	v_mov_b32_e32 v13, s57
	s_waitcnt vmcnt(0)
	v_add_u32_e32 v11, v10, v0
	v_ashrrev_i32_e32 v12, 31, v11
	v_lshlrev_b64 v[11:12], 1, v[11:12]
	v_add_co_u32_e32 v11, vcc, s56, v11
	v_addc_co_u32_e32 v12, vcc, v13, v12, vcc
	global_load_ushort v11, v[11:12], off
	s_waitcnt vmcnt(0)
	v_cvt_f32_f16_e32 v11, v11
	v_mul_f32_e32 v12, v80, v11
.LBB56_26:                              ;   in Loop: Header=BB56_16 Depth=1
	v_and_b32_e32 v11, 0x60, v127
	v_add_u32_e32 v17, 32, v11
	v_xor_b32_e32 v11, 16, v127
	v_cmp_lt_i32_e32 vcc, v11, v17
	v_add_f32_e32 v5, v5, v12
	v_cndmask_b32_e32 v11, v127, v11, vcc
	v_add_f32_e32 v12, 0x40051340, v5
	v_max_f32_e32 v13, v8, v8
	v_lshlrev_b32_e32 v11, 2, v11
	v_max_f32_e32 v12, v13, v12
	ds_bpermute_b32 v13, v11, v12
	v_xor_b32_e32 v14, 8, v127
	v_cmp_lt_i32_e32 vcc, v14, v17
	v_cndmask_b32_e32 v14, v127, v14, vcc
	v_lshlrev_b32_e32 v16, 2, v14
	s_waitcnt lgkmcnt(0)
	v_max_f32_e32 v13, v13, v13
	v_max_f32_e32 v12, v12, v13
	ds_bpermute_b32 v14, v16, v12
	v_xor_b32_e32 v13, 4, v127
	v_cmp_lt_i32_e32 vcc, v13, v17
	v_cndmask_b32_e32 v13, v127, v13, vcc
	v_lshlrev_b32_e32 v13, 2, v13
	s_waitcnt lgkmcnt(0)
	v_max_f32_e32 v14, v14, v14
	;; [unrolled: 8-line block ×4, first 2 shown]
	v_max_f32_e32 v18, v18, v17
	ds_bpermute_b32 v19, v12, v18
	s_and_b64 vcc, exec, s[20:21]
	s_cbranch_vccnz .LBB56_28
; %bb.27:                               ;   in Loop: Header=BB56_16 Depth=1
	buffer_load_dword v0, off, s[0:3], 0 offset:116 ; 4-byte Folded Reload
	v_mov_b32_e32 v15, s57
	s_waitcnt vmcnt(0)
	v_add_u32_e32 v20, v10, v0
	v_ashrrev_i32_e32 v21, 31, v20
	v_lshlrev_b64 v[20:21], 1, v[20:21]
	v_add_co_u32_e32 v20, vcc, s56, v20
	v_addc_co_u32_e32 v21, vcc, v15, v21, vcc
	global_load_ushort v15, v[20:21], off
	s_waitcnt vmcnt(0)
	v_cvt_f32_f16_e32 v15, v15
	v_mul_f32_e32 v15, v80, v15
.LBB56_28:                              ;   in Loop: Header=BB56_16 Depth=1
	v_add_f32_e32 v15, v4, v15
	v_add_f32_e32 v4, 0x40051340, v15
	v_max_f32_e32 v17, v9, v9
	v_max_f32_e32 v4, v17, v4
	ds_bpermute_b32 v17, v11, v4
	v_mov_b32_e32 v21, 0
	s_and_b64 vcc, exec, s[20:21]
	s_waitcnt lgkmcnt(0)
	v_max_f32_e32 v17, v17, v17
	v_max_f32_e32 v4, v4, v17
	ds_bpermute_b32 v17, v16, v4
	s_waitcnt lgkmcnt(0)
	v_max_f32_e32 v17, v17, v17
	v_max_f32_e32 v4, v4, v17
	ds_bpermute_b32 v17, v13, v4
	;; [unrolled: 4-line block ×4, first 2 shown]
	v_mov_b32_e32 v17, 0
	s_cbranch_vccnz .LBB56_30
; %bb.29:                               ;   in Loop: Header=BB56_16 Depth=1
	buffer_load_dword v0, off, s[0:3], 0 offset:120 ; 4-byte Folded Reload
	v_mov_b32_e32 v17, s57
	s_waitcnt vmcnt(0)
	v_add_u32_e32 v22, v10, v0
	v_ashrrev_i32_e32 v23, 31, v22
	v_lshlrev_b64 v[22:23], 1, v[22:23]
	v_add_co_u32_e32 v22, vcc, s56, v22
	v_addc_co_u32_e32 v23, vcc, v17, v23, vcc
	global_load_ushort v17, v[22:23], off
	s_waitcnt vmcnt(0)
	v_cvt_f32_f16_e32 v17, v17
	v_mul_f32_e32 v17, v80, v17
.LBB56_30:                              ;   in Loop: Header=BB56_16 Depth=1
	v_add_f32_e32 v17, v3, v17
	v_add_f32_e32 v3, 0x40051340, v17
	v_max_f32_e32 v22, v7, v7
	v_max_f32_e32 v3, v22, v3
	ds_bpermute_b32 v22, v11, v3
	s_and_b64 vcc, exec, s[20:21]
	s_waitcnt lgkmcnt(0)
	v_max_f32_e32 v22, v22, v22
	v_max_f32_e32 v3, v3, v22
	ds_bpermute_b32 v22, v16, v3
	s_waitcnt lgkmcnt(0)
	v_max_f32_e32 v22, v22, v22
	v_max_f32_e32 v3, v3, v22
	ds_bpermute_b32 v22, v13, v3
	s_waitcnt lgkmcnt(0)
	v_max_f32_e32 v22, v22, v22
	v_max_f32_e32 v3, v3, v22
	ds_bpermute_b32 v22, v14, v3
	s_waitcnt lgkmcnt(0)
	v_max_f32_e32 v22, v22, v22
	v_max_f32_e32 v3, v3, v22
	ds_bpermute_b32 v22, v12, v3
	s_cbranch_vccnz .LBB56_32
; %bb.31:                               ;   in Loop: Header=BB56_16 Depth=1
	buffer_load_dword v0, off, s[0:3], 0 offset:124 ; 4-byte Folded Reload
	s_waitcnt vmcnt(0)
	v_add_u32_e32 v23, v10, v0
	v_ashrrev_i32_e32 v24, 31, v23
	v_lshlrev_b64 v[23:24], 1, v[23:24]
	v_mov_b32_e32 v10, s57
	v_add_co_u32_e32 v23, vcc, s56, v23
	v_addc_co_u32_e32 v24, vcc, v10, v24, vcc
	global_load_ushort v10, v[23:24], off
	s_waitcnt vmcnt(0)
	v_cvt_f32_f16_e32 v10, v10
	v_mul_f32_e32 v21, v80, v10
.LBB56_32:                              ;   in Loop: Header=BB56_16 Depth=1
	s_waitcnt lgkmcnt(0)
	s_barrier
	buffer_load_dword v0, off, s[0:3], 0 offset:16 ; 4-byte Folded Reload
	v_add_f32_e32 v10, v2, v21
	v_add_f32_e32 v2, 0x40051340, v10
	v_max_f32_e32 v21, v6, v6
	v_max_f32_e32 v2, v21, v2
	ds_bpermute_b32 v11, v11, v2
	v_max_f32_e32 v19, v19, v19
	v_max_f32_e32 v18, v18, v18
	;; [unrolled: 1-line block ×4, first 2 shown]
	s_waitcnt lgkmcnt(0)
	v_max_f32_e32 v11, v11, v11
	v_max_f32_e32 v2, v2, v11
	ds_bpermute_b32 v11, v16, v2
	v_max_f32_e32 v16, v4, v4
	v_max_f32_e32 v20, v20, v20
	s_mul_hi_i32 s39, s64, s8
	s_mul_i32 s38, s64, s8
	s_waitcnt lgkmcnt(0)
	v_max_f32_e32 v4, v11, v11
	v_max_f32_e32 v2, v2, v4
	ds_bpermute_b32 v11, v13, v2
	v_max_f32_e32 v4, v3, v21
	v_max_f32_e32 v3, v16, v20
	v_sub_f32_e32 v109, v9, v3
	v_sub_f32_e32 v111, v7, v4
	s_waitcnt lgkmcnt(0)
	v_max_f32_e32 v11, v11, v11
	v_max_f32_e32 v11, v2, v11
	ds_bpermute_b32 v13, v14, v11
	v_max_f32_e32 v2, v18, v19
	v_sub_f32_e32 v14, v5, v2
	v_mul_f32_e32 v5, 0x3fb8aa3b, v14
	v_fma_f32 v16, v14, s70, -v5
	s_waitcnt lgkmcnt(0)
	v_max_f32_e32 v13, v13, v13
	v_max_f32_e32 v11, v11, v13
	ds_bpermute_b32 v12, v12, v11
	v_rndne_f32_e32 v13, v5
	v_fmac_f32_e32 v16, 0x32a5705f, v14
	v_sub_f32_e32 v5, v5, v13
	v_add_f32_e32 v16, v5, v16
	s_waitcnt lgkmcnt(0)
	v_max_f32_e32 v5, v12, v12
	v_max_f32_e32 v5, v11, v5
	v_exp_f32_e32 v11, v16
	v_cvt_i32_f32_e32 v12, v13
	v_sub_f32_e32 v86, v8, v2
	v_cmp_ngt_f32_e64 s[22:23], s71, v14
	v_sub_f32_e32 v10, v10, v5
	v_ldexp_f32 v8, v11, v12
	v_sub_f32_e32 v11, v15, v3
	v_mul_f32_e32 v12, 0x3fb8aa3b, v11
	v_cndmask_b32_e64 v8, 0, v8, s[22:23]
	v_cmp_nlt_f32_e64 s[22:23], s72, v14
	v_fma_f32 v13, v11, s70, -v12
	v_rndne_f32_e32 v14, v12
	v_fmac_f32_e32 v13, 0x32a5705f, v11
	v_sub_f32_e32 v12, v12, v14
	v_add_f32_e32 v12, v12, v13
	v_exp_f32_e32 v12, v12
	v_cvt_i32_f32_e32 v13, v14
	v_cmp_ngt_f32_e64 s[26:27], s71, v11
	v_sub_f32_e32 v70, v6, v5
	v_cndmask_b32_e64 v104, v100, v8, s[22:23]
	v_ldexp_f32 v9, v12, v13
	v_cndmask_b32_e64 v9, 0, v9, s[26:27]
	v_cmp_nlt_f32_e64 s[26:27], s72, v11
	v_sub_f32_e32 v11, v17, v4
	v_mul_f32_e32 v12, 0x3fb8aa3b, v11
	v_fma_f32 v13, v11, s70, -v12
	v_rndne_f32_e32 v14, v12
	v_fmac_f32_e32 v13, 0x32a5705f, v11
	v_sub_f32_e32 v12, v12, v14
	v_add_f32_e32 v12, v12, v13
	v_exp_f32_e32 v12, v12
	v_cvt_i32_f32_e32 v13, v14
	v_cmp_ngt_f32_e64 s[30:31], s71, v11
	v_cndmask_b32_e64 v103, v100, v9, s[26:27]
	v_cvt_f16_f32_e32 v8, v104
	v_ldexp_f32 v7, v12, v13
	v_mul_f32_e32 v12, 0x3fb8aa3b, v10
	v_fma_f32 v13, v10, s70, -v12
	v_rndne_f32_e32 v14, v12
	v_fmac_f32_e32 v13, 0x32a5705f, v10
	v_sub_f32_e32 v12, v12, v14
	v_add_f32_e32 v12, v12, v13
	v_exp_f32_e32 v12, v12
	v_cvt_i32_f32_e32 v13, v14
	v_cndmask_b32_e64 v7, 0, v7, s[30:31]
	v_cmp_nlt_f32_e64 s[30:31], s72, v11
	v_cndmask_b32_e64 v106, v100, v7, s[30:31]
	v_ldexp_f32 v6, v12, v13
	v_cmp_ngt_f32_e64 s[30:31], s71, v10
	v_cndmask_b32_e64 v6, 0, v6, s[30:31]
	v_cmp_nlt_f32_e64 s[30:31], s72, v10
	v_cndmask_b32_e64 v105, v100, v6, s[30:31]
	v_cvt_f16_f32_e32 v9, v103
	v_cvt_f16_f32_e32 v7, v106
	;; [unrolled: 1-line block ×3, first 2 shown]
	s_lshl_b64 s[38:39], s[38:39], 2
	s_add_u32 s74, s62, s38
	v_cmp_ngt_f32_e32 vcc, s71, v86
	v_cmp_nlt_f32_e64 s[20:21], s72, v86
	v_cmp_ngt_f32_e64 s[22:23], s71, v109
	v_cmp_nlt_f32_e64 s[24:25], s72, v109
	v_cmp_ngt_f32_e64 s[26:27], s71, v111
	v_cmp_nlt_f32_e64 s[28:29], s72, v111
	v_cmp_ngt_f32_e64 s[30:31], s71, v70
	v_cmp_nlt_f32_e64 s[34:35], s72, v70
	s_waitcnt vmcnt(0)
	v_add_u32_e32 v10, v121, v0
	v_pack_b32_f16 v7, v7, v6
	v_pack_b32_f16 v6, v8, v9
	s_addc_u32 s75, s63, s39
	ds_write_b64 v10, v[6:7]
	s_and_saveexec_b64 s[60:61], s[14:15]
	s_cbranch_execz .LBB56_34
; %bb.33:                               ;   in Loop: Header=BB56_16 Depth=1
	buffer_load_dword v0, off, s[0:3], 0 offset:96 ; 4-byte Folded Reload
	buffer_load_dword v1, off, s[0:3], 0 offset:100 ; 4-byte Folded Reload
	v_mov_b32_e32 v6, s75
	s_waitcnt vmcnt(1)
	v_add_co_u32_e64 v7, s[38:39], s74, v0
	buffer_load_dword v0, off, s[0:3], 0 offset:20 ; 4-byte Folded Reload
	s_waitcnt vmcnt(1)
	v_addc_co_u32_e64 v8, s[38:39], v6, v1, s[38:39]
	s_waitcnt vmcnt(0)
	v_add_co_u32_e64 v6, s[38:39], v7, v0
	v_addc_co_u32_e64 v7, s[38:39], 0, v8, s[38:39]
	global_load_dwordx4 v[6:9], v[6:7], off offset:192
	s_nop 0
	buffer_load_dword v0, off, s[0:3], 0 offset:60 ; 4-byte Folded Reload
	s_waitcnt vmcnt(0)
	ds_write_b128 v0, v[6:9]
.LBB56_34:                              ;   in Loop: Header=BB56_16 Depth=1
	s_or_b64 exec, exec, s[60:61]
	s_and_saveexec_b64 s[60:61], s[16:17]
	s_cbranch_execz .LBB56_36
; %bb.35:                               ;   in Loop: Header=BB56_16 Depth=1
	buffer_load_dword v0, off, s[0:3], 0 offset:104 ; 4-byte Folded Reload
	buffer_load_dword v1, off, s[0:3], 0 offset:108 ; 4-byte Folded Reload
	v_mov_b32_e32 v6, s75
	s_waitcnt vmcnt(1)
	v_add_co_u32_e64 v7, s[38:39], s74, v0
	buffer_load_dword v0, off, s[0:3], 0 offset:24 ; 4-byte Folded Reload
	s_waitcnt vmcnt(1)
	v_addc_co_u32_e64 v8, s[38:39], v6, v1, s[38:39]
	s_waitcnt vmcnt(0)
	v_add_co_u32_e64 v6, s[38:39], v7, v0
	v_addc_co_u32_e64 v7, s[38:39], 0, v8, s[38:39]
	global_load_dwordx4 v[6:9], v[6:7], off offset:128
	s_nop 0
	buffer_load_dword v0, off, s[0:3], 0 offset:64 ; 4-byte Folded Reload
	s_waitcnt vmcnt(0)
	ds_write_b128 v0, v[6:9]
.LBB56_36:                              ;   in Loop: Header=BB56_16 Depth=1
	s_or_b64 exec, exec, s[60:61]
	buffer_load_dword v0, off, s[0:3], 0 offset:32 ; 4-byte Folded Reload
	s_waitcnt vmcnt(0)
	v_lshlrev_b32_e32 v87, 2, v0
	s_and_saveexec_b64 s[60:61], s[18:19]
	s_cbranch_execz .LBB56_38
; %bb.37:                               ;   in Loop: Header=BB56_16 Depth=1
	v_mov_b32_e32 v6, s75
	v_add_co_u32_e64 v7, s[38:39], s74, v81
	v_addc_co_u32_e64 v8, s[38:39], v6, v82, s[38:39]
	v_add_co_u32_e64 v6, s[38:39], v7, v87
	v_addc_co_u32_e64 v7, s[38:39], 0, v8, s[38:39]
	global_load_dwordx4 v[6:9], v[6:7], off
	s_nop 0
	buffer_load_dword v0, off, s[0:3], 0 offset:68 ; 4-byte Folded Reload
	s_waitcnt vmcnt(0)
	ds_write_b128 v0, v[6:9]
.LBB56_38:                              ;   in Loop: Header=BB56_16 Depth=1
	s_or_b64 exec, exec, s[60:61]
	s_waitcnt lgkmcnt(0)
	s_barrier
	buffer_load_dword v0, off, s[0:3], 0 offset:16 ; 4-byte Folded Reload
	s_or_b32 s38, s64, 16
	s_mul_hi_i32 s39, s38, s8
	s_mul_i32 s38, s38, s8
	s_lshl_b64 s[38:39], s[38:39], 2
	s_add_u32 s74, s62, s38
	s_addc_u32 s75, s63, s39
	s_waitcnt vmcnt(0)
	v_add_u32_e32 v108, 0x1800, v0
	v_add_u32_e32 v85, 0x1c00, v0
	;; [unrolled: 1-line block ×3, first 2 shown]
	ds_read2_b64 v[34:37], v108 offset0:128 offset1:156
	ds_read_b128 v[66:69], v121
	ds_read_b128 v[62:65], v121 offset:16
	ds_read_b128 v[54:57], v121 offset:32
	;; [unrolled: 1-line block ×3, first 2 shown]
	ds_read2_b64 v[30:33], v108 offset0:184 offset1:212
	ds_read2_b64 v[26:29], v85 offset0:112 offset1:140
	;; [unrolled: 1-line block ×5, first 2 shown]
	ds_read_b128 v[58:61], v121 offset:64
	ds_read_b128 v[50:53], v121 offset:80
	ds_read2_b64 v[10:13], v84 offset0:208 offset1:236
	v_add_u32_e32 v110, 0x2800, v0
	ds_read2_b64 v[6:9], v110 offset0:8 offset1:36
	ds_read_b128 v[46:49], v121 offset:96
	ds_read_b128 v[38:41], v121 offset:112
	s_waitcnt lgkmcnt(0)
	s_barrier
	s_and_saveexec_b64 s[60:61], s[14:15]
	s_cbranch_execz .LBB56_40
; %bb.39:                               ;   in Loop: Header=BB56_16 Depth=1
	buffer_load_dword v0, off, s[0:3], 0 offset:96 ; 4-byte Folded Reload
	buffer_load_dword v1, off, s[0:3], 0 offset:100 ; 4-byte Folded Reload
	v_mov_b32_e32 v117, s75
	s_waitcnt vmcnt(1)
	v_add_co_u32_e64 v118, s[38:39], s74, v0
	buffer_load_dword v0, off, s[0:3], 0 offset:20 ; 4-byte Folded Reload
	s_waitcnt vmcnt(1)
	v_addc_co_u32_e64 v119, s[38:39], v117, v1, s[38:39]
	s_waitcnt vmcnt(0)
	v_add_co_u32_e64 v117, s[38:39], v118, v0
	v_addc_co_u32_e64 v118, s[38:39], 0, v119, s[38:39]
	global_load_dwordx4 v[117:120], v[117:118], off offset:192
	s_nop 0
	buffer_load_dword v0, off, s[0:3], 0 offset:60 ; 4-byte Folded Reload
	s_waitcnt vmcnt(0)
	ds_write_b128 v0, v[117:120]
.LBB56_40:                              ;   in Loop: Header=BB56_16 Depth=1
	s_or_b64 exec, exec, s[60:61]
	s_and_saveexec_b64 s[60:61], s[16:17]
	s_cbranch_execz .LBB56_42
; %bb.41:                               ;   in Loop: Header=BB56_16 Depth=1
	buffer_load_dword v0, off, s[0:3], 0 offset:104 ; 4-byte Folded Reload
	buffer_load_dword v1, off, s[0:3], 0 offset:108 ; 4-byte Folded Reload
	v_mov_b32_e32 v117, s75
	s_waitcnt vmcnt(1)
	v_add_co_u32_e64 v118, s[38:39], s74, v0
	buffer_load_dword v0, off, s[0:3], 0 offset:24 ; 4-byte Folded Reload
	s_waitcnt vmcnt(1)
	v_addc_co_u32_e64 v119, s[38:39], v117, v1, s[38:39]
	s_waitcnt vmcnt(0)
	v_add_co_u32_e64 v117, s[38:39], v118, v0
	v_addc_co_u32_e64 v118, s[38:39], 0, v119, s[38:39]
	global_load_dwordx4 v[117:120], v[117:118], off offset:128
	s_nop 0
	buffer_load_dword v0, off, s[0:3], 0 offset:64 ; 4-byte Folded Reload
	s_waitcnt vmcnt(0)
	ds_write_b128 v0, v[117:120]
.LBB56_42:                              ;   in Loop: Header=BB56_16 Depth=1
	s_or_b64 exec, exec, s[60:61]
	v_mov_b32_e32 v77, v91
	v_mov_b32_e32 v79, v90
	v_mov_b32_e32 v78, v89
	s_and_saveexec_b64 s[60:61], s[18:19]
	s_cbranch_execz .LBB56_44
; %bb.43:                               ;   in Loop: Header=BB56_16 Depth=1
	v_mov_b32_e32 v117, s75
	v_add_co_u32_e64 v118, s[38:39], s74, v81
	v_addc_co_u32_e64 v119, s[38:39], v117, v82, s[38:39]
	v_add_co_u32_e64 v117, s[38:39], v118, v87
	v_addc_co_u32_e64 v118, s[38:39], 0, v119, s[38:39]
	global_load_dwordx4 v[117:120], v[117:118], off
	s_nop 0
	buffer_load_dword v0, off, s[0:3], 0 offset:68 ; 4-byte Folded Reload
	s_waitcnt vmcnt(0)
	ds_write_b128 v0, v[117:120]
.LBB56_44:                              ;   in Loop: Header=BB56_16 Depth=1
	s_or_b64 exec, exec, s[60:61]
	v_mul_f32_e32 v87, 0x3fb8aa3b, v86
	v_fma_f32 v117, v86, s70, -v87
	v_fmac_f32_e32 v117, 0x32a5705f, v86
	v_rndne_f32_e32 v86, v87
	v_sub_f32_e32 v87, v87, v86
	v_add_f32_e32 v87, v87, v117
	v_cvt_i32_f32_e32 v86, v86
	v_exp_f32_e32 v87, v87
	v_mul_u32_u24_sdwa v118, v64, s73 dst_sel:DWORD dst_unused:UNUSED_PAD src0_sel:WORD_0 src1_sel:DWORD
	v_mul_u32_u24_sdwa v64, v64, s73 dst_sel:DWORD dst_unused:UNUSED_PAD src0_sel:WORD_1 src1_sel:DWORD
	v_mul_u32_u24_sdwa v119, v65, s73 dst_sel:DWORD dst_unused:UNUSED_PAD src0_sel:WORD_0 src1_sel:DWORD
	v_ldexp_f32 v86, v87, v86
	v_mul_f32_e32 v87, 0x3fb8aa3b, v109
	v_fma_f32 v117, v109, s70, -v87
	v_fmac_f32_e32 v117, 0x32a5705f, v109
	v_rndne_f32_e32 v109, v87
	v_sub_f32_e32 v87, v87, v109
	v_add_f32_e32 v87, v87, v117
	v_exp_f32_e32 v87, v87
	v_cvt_i32_f32_e32 v109, v109
	v_cndmask_b32_e32 v86, 0, v86, vcc
	v_cndmask_b32_e64 v86, v100, v86, s[20:21]
	v_fmac_f32_e32 v104, v107, v86
	v_mul_f32_e32 v107, 0x3fb8aa3b, v111
	v_ldexp_f32 v87, v87, v109
	v_fma_f32 v109, v111, s70, -v107
	v_fmac_f32_e32 v109, 0x32a5705f, v111
	v_rndne_f32_e32 v111, v107
	v_sub_f32_e32 v107, v107, v111
	v_add_f32_e32 v107, v107, v109
	v_exp_f32_e32 v107, v107
	v_cvt_i32_f32_e32 v109, v111
	v_cndmask_b32_e64 v87, 0, v87, s[22:23]
	v_cndmask_b32_e64 v87, v100, v87, s[24:25]
	v_fmac_f32_e32 v103, v101, v87
	v_ldexp_f32 v101, v107, v109
	v_mul_f32_e32 v107, 0x3fb8aa3b, v70
	v_fma_f32 v109, v70, s70, -v107
	v_fmac_f32_e32 v109, 0x32a5705f, v70
	v_rndne_f32_e32 v70, v107
	v_sub_f32_e32 v107, v107, v70
	v_add_f32_e32 v107, v107, v109
	v_exp_f32_e32 v107, v107
	v_cvt_i32_f32_e32 v70, v70
	v_cndmask_b32_e64 v101, 0, v101, s[26:27]
	v_cndmask_b32_e64 v101, v100, v101, s[28:29]
	v_fmac_f32_e32 v106, v83, v101
	v_ldexp_f32 v70, v107, v70
	v_cndmask_b32_e64 v70, 0, v70, s[30:31]
	v_cndmask_b32_e64 v70, v100, v70, s[34:35]
	v_fmac_f32_e32 v105, v102, v70
	v_cvt_f16_f32_e32 v70, v70
	v_cvt_f16_f32_e32 v83, v86
	;; [unrolled: 1-line block ×4, first 2 shown]
	v_mul_u32_u24_e32 v70, 0x10001, v70
	v_mul_u32_u24_sdwa v101, v66, s73 dst_sel:DWORD dst_unused:UNUSED_PAD src0_sel:WORD_0 src1_sel:DWORD
	v_mul_u32_u24_e32 v83, 0x10001, v83
	v_mul_u32_u24_sdwa v66, v66, s73 dst_sel:DWORD dst_unused:UNUSED_PAD src0_sel:WORD_1 src1_sel:DWORD
	v_pk_mul_f16 v77, v77, v70
	v_pk_mul_f16 v70, v78, v70
	;; [unrolled: 1-line block ×3, first 2 shown]
	v_mul_u32_u24_e32 v86, 0x10001, v86
	v_mul_u32_u24_e32 v87, 0x10001, v87
	v_mul_u32_u24_sdwa v102, v67, s73 dst_sel:DWORD dst_unused:UNUSED_PAD src0_sel:WORD_0 src1_sel:DWORD
	v_pk_mul_f16 v97, v97, v83
	v_pk_fma_f16 v78, v95, v83, v78
	v_pk_mul_f16 v83, v34, v66
	v_mul_u32_u24_sdwa v67, v67, s73 dst_sel:DWORD dst_unused:UNUSED_PAD src0_sel:WORD_1 src1_sel:DWORD
	v_pk_mul_f16 v96, v96, v86
	v_pk_mul_f16 v94, v94, v87
	v_pk_fma_f16 v83, v93, v86, v83
	v_pk_mul_f16 v86, v34, v102
	v_mul_u32_u24_sdwa v107, v68, s73 dst_sel:DWORD dst_unused:UNUSED_PAD src0_sel:WORD_0 src1_sel:DWORD
	v_mul_u32_u24_sdwa v68, v68, s73 dst_sel:DWORD dst_unused:UNUSED_PAD src0_sel:WORD_1 src1_sel:DWORD
	v_mul_u32_u24_sdwa v109, v69, s73 dst_sel:DWORD dst_unused:UNUSED_PAD src0_sel:WORD_0 src1_sel:DWORD
	v_mul_u32_u24_sdwa v69, v69, s73 dst_sel:DWORD dst_unused:UNUSED_PAD src0_sel:WORD_1 src1_sel:DWORD
	v_pk_fma_f16 v86, v79, v87, v86
	v_pk_fma_f16 v34, v34, v67, v77
	;; [unrolled: 1-line block ×6, first 2 shown]
	v_mul_u32_u24_sdwa v111, v62, s73 dst_sel:DWORD dst_unused:UNUSED_PAD src0_sel:WORD_0 src1_sel:DWORD
	v_mul_u32_u24_sdwa v62, v62, s73 dst_sel:DWORD dst_unused:UNUSED_PAD src0_sel:WORD_1 src1_sel:DWORD
	v_mul_u32_u24_sdwa v117, v63, s73 dst_sel:DWORD dst_unused:UNUSED_PAD src0_sel:WORD_0 src1_sel:DWORD
	v_mul_u32_u24_sdwa v63, v63, s73 dst_sel:DWORD dst_unused:UNUSED_PAD src0_sel:WORD_1 src1_sel:DWORD
	v_pk_fma_f16 v67, v36, v107, v78
	v_pk_fma_f16 v70, v36, v68, v83
	;; [unrolled: 1-line block ×8, first 2 shown]
	v_mul_u32_u24_sdwa v65, v65, s73 dst_sel:DWORD dst_unused:UNUSED_PAD src0_sel:WORD_1 src1_sel:DWORD
	v_pk_fma_f16 v37, v30, v111, v67
	v_pk_fma_f16 v67, v30, v62, v70
	v_pk_fma_f16 v69, v30, v117, v78
	v_pk_fma_f16 v30, v30, v63, v34
	v_pk_fma_f16 v34, v31, v111, v36
	v_pk_fma_f16 v36, v31, v62, v66
	v_pk_fma_f16 v62, v31, v117, v68
	v_pk_fma_f16 v31, v31, v63, v35
	v_mul_u32_u24_sdwa v120, v54, s73 dst_sel:DWORD dst_unused:UNUSED_PAD src0_sel:WORD_0 src1_sel:DWORD
	v_mul_u32_u24_sdwa v54, v54, s73 dst_sel:DWORD dst_unused:UNUSED_PAD src0_sel:WORD_1 src1_sel:DWORD
	v_mul_u32_u24_sdwa v1, v55, s73 dst_sel:DWORD dst_unused:UNUSED_PAD src0_sel:WORD_0 src1_sel:DWORD
	v_mul_u32_u24_sdwa v55, v55, s73 dst_sel:DWORD dst_unused:UNUSED_PAD src0_sel:WORD_1 src1_sel:DWORD
	v_pk_fma_f16 v35, v32, v118, v37
	v_pk_fma_f16 v37, v32, v64, v67
	v_pk_fma_f16 v63, v32, v119, v69
	v_pk_fma_f16 v30, v32, v65, v30
	v_pk_fma_f16 v32, v33, v118, v34
	v_pk_fma_f16 v34, v33, v64, v36
	v_pk_fma_f16 v36, v33, v119, v62
	v_pk_fma_f16 v31, v33, v65, v31
	v_mul_u32_u24_sdwa v88, v56, s73 dst_sel:DWORD dst_unused:UNUSED_PAD src0_sel:WORD_0 src1_sel:DWORD
	v_mul_u32_u24_sdwa v56, v56, s73 dst_sel:DWORD dst_unused:UNUSED_PAD src0_sel:WORD_1 src1_sel:DWORD
	v_mul_u32_u24_sdwa v99, v57, s73 dst_sel:DWORD dst_unused:UNUSED_PAD src0_sel:WORD_0 src1_sel:DWORD
	;; [unrolled: 12-line block ×12, first 2 shown]
	v_mul_u32_u24_sdwa v41, v41, s73 dst_sel:DWORD dst_unused:UNUSED_PAD src0_sel:WORD_1 src1_sel:DWORD
	v_pk_fma_f16 v11, v6, v73, v11
	v_pk_fma_f16 v13, v6, v38, v15
	v_pk_fma_f16 v15, v6, v74, v17
	v_pk_fma_f16 v6, v6, v39, v10
	v_pk_fma_f16 v10, v7, v73, v12
	v_pk_fma_f16 v12, v7, v38, v14
	v_pk_fma_f16 v0, v7, v74, v0
	v_pk_fma_f16 v1, v7, v39, v1
	v_pk_fma_f16 v26, v8, v75, v11
	v_pk_fma_f16 v27, v8, v40, v13
	v_pk_fma_f16 v28, v8, v76, v15
	v_pk_fma_f16 v29, v8, v41, v6
	v_pk_fma_f16 v30, v9, v75, v10
	v_pk_fma_f16 v31, v9, v40, v12
	v_pk_fma_f16 v0, v9, v76, v0
	v_pk_fma_f16 v1, v9, v41, v1
	s_waitcnt lgkmcnt(0)
	s_barrier
	ds_read_b128 v[6:9], v121 offset:128
	ds_read2_b64 v[10:13], v108 offset0:128 offset1:156
	ds_read_b128 v[14:17], v121 offset:144
	ds_read_b128 v[18:21], v121 offset:160
	;; [unrolled: 1-line block ×3, first 2 shown]
	s_waitcnt lgkmcnt(4)
	v_mul_u32_u24_sdwa v32, v6, s73 dst_sel:DWORD dst_unused:UNUSED_PAD src0_sel:WORD_0 src1_sel:DWORD
	v_mul_u32_u24_sdwa v6, v6, s73 dst_sel:DWORD dst_unused:UNUSED_PAD src0_sel:WORD_1 src1_sel:DWORD
	v_mul_u32_u24_sdwa v33, v7, s73 dst_sel:DWORD dst_unused:UNUSED_PAD src0_sel:WORD_0 src1_sel:DWORD
	v_mul_u32_u24_sdwa v7, v7, s73 dst_sel:DWORD dst_unused:UNUSED_PAD src0_sel:WORD_1 src1_sel:DWORD
	s_waitcnt lgkmcnt(3)
	v_pk_fma_f16 v26, v10, v32, v26
	v_pk_fma_f16 v27, v10, v6, v27
	;; [unrolled: 1-line block ×8, first 2 shown]
	v_mul_u32_u24_sdwa v7, v8, s73 dst_sel:DWORD dst_unused:UNUSED_PAD src0_sel:WORD_0 src1_sel:DWORD
	v_mul_u32_u24_sdwa v8, v8, s73 dst_sel:DWORD dst_unused:UNUSED_PAD src0_sel:WORD_1 src1_sel:DWORD
	v_mul_u32_u24_sdwa v11, v9, s73 dst_sel:DWORD dst_unused:UNUSED_PAD src0_sel:WORD_0 src1_sel:DWORD
	v_mul_u32_u24_sdwa v9, v9, s73 dst_sel:DWORD dst_unused:UNUSED_PAD src0_sel:WORD_1 src1_sel:DWORD
	v_pk_fma_f16 v26, v12, v7, v26
	v_pk_fma_f16 v27, v12, v8, v27
	;; [unrolled: 1-line block ×7, first 2 shown]
	ds_read2_b64 v[6:9], v108 offset0:184 offset1:212
	v_pk_fma_f16 v0, v13, v11, v0
	s_waitcnt lgkmcnt(3)
	v_mul_u32_u24_sdwa v11, v14, s73 dst_sel:DWORD dst_unused:UNUSED_PAD src0_sel:WORD_0 src1_sel:DWORD
	v_mul_u32_u24_sdwa v13, v14, s73 dst_sel:DWORD dst_unused:UNUSED_PAD src0_sel:WORD_1 src1_sel:DWORD
	v_mul_u32_u24_sdwa v14, v15, s73 dst_sel:DWORD dst_unused:UNUSED_PAD src0_sel:WORD_0 src1_sel:DWORD
	v_mul_u32_u24_sdwa v15, v15, s73 dst_sel:DWORD dst_unused:UNUSED_PAD src0_sel:WORD_1 src1_sel:DWORD
	s_waitcnt lgkmcnt(0)
	v_pk_fma_f16 v26, v6, v11, v26
	v_pk_fma_f16 v27, v6, v13, v27
	;; [unrolled: 1-line block ×8, first 2 shown]
	v_mul_u32_u24_sdwa v7, v16, s73 dst_sel:DWORD dst_unused:UNUSED_PAD src0_sel:WORD_0 src1_sel:DWORD
	v_mul_u32_u24_sdwa v12, v16, s73 dst_sel:DWORD dst_unused:UNUSED_PAD src0_sel:WORD_1 src1_sel:DWORD
	v_mul_u32_u24_sdwa v13, v17, s73 dst_sel:DWORD dst_unused:UNUSED_PAD src0_sel:WORD_0 src1_sel:DWORD
	v_mul_u32_u24_sdwa v14, v17, s73 dst_sel:DWORD dst_unused:UNUSED_PAD src0_sel:WORD_1 src1_sel:DWORD
	v_pk_fma_f16 v15, v8, v7, v26
	v_pk_fma_f16 v16, v8, v12, v27
	;; [unrolled: 1-line block ×8, first 2 shown]
	ds_read2_b64 v[6:9], v85 offset0:112 offset1:140
	v_mul_u32_u24_sdwa v12, v18, s73 dst_sel:DWORD dst_unused:UNUSED_PAD src0_sel:WORD_0 src1_sel:DWORD
	v_mul_u32_u24_sdwa v13, v18, s73 dst_sel:DWORD dst_unused:UNUSED_PAD src0_sel:WORD_1 src1_sel:DWORD
	v_mul_u32_u24_sdwa v14, v19, s73 dst_sel:DWORD dst_unused:UNUSED_PAD src0_sel:WORD_0 src1_sel:DWORD
	v_mul_u32_u24_sdwa v18, v19, s73 dst_sel:DWORD dst_unused:UNUSED_PAD src0_sel:WORD_1 src1_sel:DWORD
	s_waitcnt lgkmcnt(0)
	v_pk_fma_f16 v15, v6, v12, v15
	v_pk_fma_f16 v16, v6, v13, v16
	;; [unrolled: 1-line block ×8, first 2 shown]
	v_mul_u32_u24_sdwa v7, v20, s73 dst_sel:DWORD dst_unused:UNUSED_PAD src0_sel:WORD_0 src1_sel:DWORD
	v_mul_u32_u24_sdwa v12, v20, s73 dst_sel:DWORD dst_unused:UNUSED_PAD src0_sel:WORD_1 src1_sel:DWORD
	v_mul_u32_u24_sdwa v13, v21, s73 dst_sel:DWORD dst_unused:UNUSED_PAD src0_sel:WORD_0 src1_sel:DWORD
	v_mul_u32_u24_sdwa v14, v21, s73 dst_sel:DWORD dst_unused:UNUSED_PAD src0_sel:WORD_1 src1_sel:DWORD
	v_pk_fma_f16 v15, v8, v7, v15
	v_pk_fma_f16 v16, v8, v12, v16
	;; [unrolled: 1-line block ×8, first 2 shown]
	ds_read2_b64 v[6:9], v84 offset0:40 offset1:68
	v_mul_u32_u24_sdwa v12, v22, s73 dst_sel:DWORD dst_unused:UNUSED_PAD src0_sel:WORD_0 src1_sel:DWORD
	v_mul_u32_u24_sdwa v13, v22, s73 dst_sel:DWORD dst_unused:UNUSED_PAD src0_sel:WORD_1 src1_sel:DWORD
	v_mul_u32_u24_sdwa v14, v23, s73 dst_sel:DWORD dst_unused:UNUSED_PAD src0_sel:WORD_0 src1_sel:DWORD
	v_mul_u32_u24_sdwa v19, v23, s73 dst_sel:DWORD dst_unused:UNUSED_PAD src0_sel:WORD_1 src1_sel:DWORD
	s_waitcnt lgkmcnt(0)
	v_pk_fma_f16 v15, v6, v12, v15
	v_pk_fma_f16 v16, v6, v13, v16
	;; [unrolled: 1-line block ×6, first 2 shown]
	v_mul_u32_u24_sdwa v7, v24, s73 dst_sel:DWORD dst_unused:UNUSED_PAD src0_sel:WORD_0 src1_sel:DWORD
	v_mul_u32_u24_sdwa v12, v24, s73 dst_sel:DWORD dst_unused:UNUSED_PAD src0_sel:WORD_1 src1_sel:DWORD
	v_pk_fma_f16 v20, v8, v12, v16
	v_pk_fma_f16 v23, v9, v7, v10
	;; [unrolled: 1-line block ×3, first 2 shown]
	ds_read_b128 v[10:13], v121 offset:192
	v_pk_fma_f16 v17, v6, v14, v17
	v_pk_fma_f16 v6, v6, v19, v18
	v_mul_u32_u24_sdwa v14, v25, s73 dst_sel:DWORD dst_unused:UNUSED_PAD src0_sel:WORD_0 src1_sel:DWORD
	v_mul_u32_u24_sdwa v18, v25, s73 dst_sel:DWORD dst_unused:UNUSED_PAD src0_sel:WORD_1 src1_sel:DWORD
	v_pk_fma_f16 v19, v8, v7, v15
	v_pk_fma_f16 v21, v8, v14, v17
	;; [unrolled: 1-line block ×5, first 2 shown]
	ds_read2_b64 v[6:9], v84 offset0:96 offset1:124
	ds_read_b128 v[14:17], v121 offset:208
	s_waitcnt lgkmcnt(2)
	v_mul_u32_u24_sdwa v18, v10, s73 dst_sel:DWORD dst_unused:UNUSED_PAD src0_sel:WORD_0 src1_sel:DWORD
	v_mul_u32_u24_sdwa v10, v10, s73 dst_sel:DWORD dst_unused:UNUSED_PAD src0_sel:WORD_1 src1_sel:DWORD
	v_mul_u32_u24_sdwa v25, v11, s73 dst_sel:DWORD dst_unused:UNUSED_PAD src0_sel:WORD_0 src1_sel:DWORD
	v_mul_u32_u24_sdwa v11, v11, s73 dst_sel:DWORD dst_unused:UNUSED_PAD src0_sel:WORD_1 src1_sel:DWORD
	s_waitcnt lgkmcnt(1)
	v_pk_fma_f16 v19, v6, v18, v19
	v_pk_fma_f16 v20, v6, v10, v20
	;; [unrolled: 1-line block ×8, first 2 shown]
	v_mul_u32_u24_sdwa v7, v12, s73 dst_sel:DWORD dst_unused:UNUSED_PAD src0_sel:WORD_0 src1_sel:DWORD
	v_mul_u32_u24_sdwa v11, v12, s73 dst_sel:DWORD dst_unused:UNUSED_PAD src0_sel:WORD_1 src1_sel:DWORD
	v_mul_u32_u24_sdwa v12, v13, s73 dst_sel:DWORD dst_unused:UNUSED_PAD src0_sel:WORD_0 src1_sel:DWORD
	v_mul_u32_u24_sdwa v13, v13, s73 dst_sel:DWORD dst_unused:UNUSED_PAD src0_sel:WORD_1 src1_sel:DWORD
	v_pk_fma_f16 v19, v8, v7, v19
	v_pk_fma_f16 v20, v8, v11, v20
	;; [unrolled: 1-line block ×8, first 2 shown]
	ds_read2_b64 v[6:9], v84 offset0:152 offset1:180
	s_waitcnt lgkmcnt(1)
	v_mul_u32_u24_sdwa v11, v14, s73 dst_sel:DWORD dst_unused:UNUSED_PAD src0_sel:WORD_0 src1_sel:DWORD
	v_mul_u32_u24_sdwa v12, v14, s73 dst_sel:DWORD dst_unused:UNUSED_PAD src0_sel:WORD_1 src1_sel:DWORD
	v_mul_u32_u24_sdwa v13, v15, s73 dst_sel:DWORD dst_unused:UNUSED_PAD src0_sel:WORD_0 src1_sel:DWORD
	v_mul_u32_u24_sdwa v14, v15, s73 dst_sel:DWORD dst_unused:UNUSED_PAD src0_sel:WORD_1 src1_sel:DWORD
	s_waitcnt lgkmcnt(0)
	v_pk_fma_f16 v15, v6, v11, v19
	v_pk_fma_f16 v19, v6, v12, v20
	;; [unrolled: 1-line block ×6, first 2 shown]
	v_mul_u32_u24_sdwa v7, v16, s73 dst_sel:DWORD dst_unused:UNUSED_PAD src0_sel:WORD_0 src1_sel:DWORD
	v_mul_u32_u24_sdwa v12, v16, s73 dst_sel:DWORD dst_unused:UNUSED_PAD src0_sel:WORD_1 src1_sel:DWORD
	v_pk_fma_f16 v20, v6, v13, v21
	v_pk_fma_f16 v6, v6, v14, v22
	;; [unrolled: 1-line block ×5, first 2 shown]
	ds_read_b128 v[10:13], v121 offset:224
	v_mul_u32_u24_sdwa v14, v17, s73 dst_sel:DWORD dst_unused:UNUSED_PAD src0_sel:WORD_0 src1_sel:DWORD
	v_mul_u32_u24_sdwa v16, v17, s73 dst_sel:DWORD dst_unused:UNUSED_PAD src0_sel:WORD_1 src1_sel:DWORD
	v_pk_fma_f16 v18, v8, v7, v15
	v_pk_fma_f16 v20, v8, v14, v20
	;; [unrolled: 1-line block ×5, first 2 shown]
	ds_read2_b64 v[6:9], v84 offset0:208 offset1:236
	ds_read_b128 v[14:17], v121 offset:240
	s_waitcnt lgkmcnt(2)
	v_mul_u32_u24_sdwa v24, v10, s73 dst_sel:DWORD dst_unused:UNUSED_PAD src0_sel:WORD_0 src1_sel:DWORD
	v_mul_u32_u24_sdwa v10, v10, s73 dst_sel:DWORD dst_unused:UNUSED_PAD src0_sel:WORD_1 src1_sel:DWORD
	v_mul_u32_u24_sdwa v25, v11, s73 dst_sel:DWORD dst_unused:UNUSED_PAD src0_sel:WORD_0 src1_sel:DWORD
	v_mul_u32_u24_sdwa v11, v11, s73 dst_sel:DWORD dst_unused:UNUSED_PAD src0_sel:WORD_1 src1_sel:DWORD
	s_waitcnt lgkmcnt(1)
	v_pk_fma_f16 v18, v6, v24, v18
	v_pk_fma_f16 v19, v6, v10, v19
	;; [unrolled: 1-line block ×8, first 2 shown]
	v_mul_u32_u24_sdwa v7, v12, s73 dst_sel:DWORD dst_unused:UNUSED_PAD src0_sel:WORD_0 src1_sel:DWORD
	v_mul_u32_u24_sdwa v11, v12, s73 dst_sel:DWORD dst_unused:UNUSED_PAD src0_sel:WORD_1 src1_sel:DWORD
	v_mul_u32_u24_sdwa v12, v13, s73 dst_sel:DWORD dst_unused:UNUSED_PAD src0_sel:WORD_0 src1_sel:DWORD
	v_mul_u32_u24_sdwa v13, v13, s73 dst_sel:DWORD dst_unused:UNUSED_PAD src0_sel:WORD_1 src1_sel:DWORD
	v_pk_fma_f16 v18, v8, v7, v18
	v_pk_fma_f16 v19, v8, v11, v19
	;; [unrolled: 1-line block ×8, first 2 shown]
	ds_read2_b64 v[6:9], v110 offset0:8 offset1:36
	s_waitcnt lgkmcnt(0)
	s_barrier
	s_load_dword s20, s[46:47], 0x4
	v_mul_u32_u24_sdwa v11, v14, s73 dst_sel:DWORD dst_unused:UNUSED_PAD src0_sel:WORD_0 src1_sel:DWORD
	v_mul_u32_u24_sdwa v12, v14, s73 dst_sel:DWORD dst_unused:UNUSED_PAD src0_sel:WORD_1 src1_sel:DWORD
	v_mul_u32_u24_sdwa v13, v15, s73 dst_sel:DWORD dst_unused:UNUSED_PAD src0_sel:WORD_0 src1_sel:DWORD
	v_mul_u32_u24_sdwa v14, v15, s73 dst_sel:DWORD dst_unused:UNUSED_PAD src0_sel:WORD_1 src1_sel:DWORD
	s_waitcnt lgkmcnt(0)
	s_lshl_b32 s20, s20, 5
	v_pk_fma_f16 v15, v6, v11, v18
	v_pk_fma_f16 v18, v6, v12, v19
	;; [unrolled: 1-line block ×8, first 2 shown]
	v_mul_u32_u24_sdwa v7, v16, s73 dst_sel:DWORD dst_unused:UNUSED_PAD src0_sel:WORD_0 src1_sel:DWORD
	v_mul_u32_u24_sdwa v12, v16, s73 dst_sel:DWORD dst_unused:UNUSED_PAD src0_sel:WORD_1 src1_sel:DWORD
	v_mul_u32_u24_sdwa v13, v17, s73 dst_sel:DWORD dst_unused:UNUSED_PAD src0_sel:WORD_0 src1_sel:DWORD
	v_mul_u32_u24_sdwa v14, v17, s73 dst_sel:DWORD dst_unused:UNUSED_PAD src0_sel:WORD_1 src1_sel:DWORD
	s_add_i32 s64, s20, s64
	v_pk_fma_f16 v95, v8, v7, v15
	v_pk_fma_f16 v93, v8, v12, v18
	v_pk_fma_f16 v90, v8, v13, v19
	v_pk_fma_f16 v91, v8, v14, v6
	v_pk_fma_f16 v97, v9, v7, v11
	v_pk_fma_f16 v96, v9, v12, v10
	v_pk_fma_f16 v94, v9, v13, v0
	s_cmp_lt_i32 s64, s69
	v_pk_fma_f16 v89, v9, v14, v1
	s_cbranch_scc0 .LBB56_51
; %bb.45:                               ;   in Loop: Header=BB56_16 Depth=1
	v_mov_b32_e32 v8, v2
	v_mov_b32_e32 v9, v3
	;; [unrolled: 1-line block ×8, first 2 shown]
	s_branch .LBB56_16
.LBB56_46:                              ;   in Loop: Header=BB56_16 Depth=1
	buffer_load_dword v0, off, s[0:3], 0 offset:72 ; 4-byte Folded Reload
	buffer_load_dword v1, off, s[0:3], 0 offset:76 ; 4-byte Folded Reload
	v_mov_b32_e32 v3, s23
	s_waitcnt vmcnt(1)
	v_add_co_u32_e32 v2, vcc, s22, v0
	s_waitcnt vmcnt(0)
	v_addc_co_u32_e32 v3, vcc, v3, v1, vcc
	global_load_dwordx4 v[2:5], v[2:3], off offset:96
	s_nop 0
	buffer_load_dword v0, off, s[0:3], 0 offset:48 ; 4-byte Folded Reload
	s_waitcnt vmcnt(0)
	ds_write_b128 v0, v[2:5]
	s_or_b64 exec, exec, s[20:21]
	s_and_saveexec_b64 s[20:21], s[10:11]
	s_cbranch_execz .LBB56_18
.LBB56_47:                              ;   in Loop: Header=BB56_16 Depth=1
	buffer_load_dword v0, off, s[0:3], 0 offset:80 ; 4-byte Folded Reload
	buffer_load_dword v1, off, s[0:3], 0 offset:84 ; 4-byte Folded Reload
	v_mov_b32_e32 v2, s23
	s_waitcnt vmcnt(1)
	v_add_co_u32_e32 v3, vcc, s22, v0
	buffer_load_dword v0, off, s[0:3], 0 offset:20 ; 4-byte Folded Reload
	s_waitcnt vmcnt(1)
	v_addc_co_u32_e32 v4, vcc, v2, v1, vcc
	s_waitcnt vmcnt(0)
	v_add_co_u32_e32 v2, vcc, v3, v0
	v_addc_co_u32_e32 v3, vcc, 0, v4, vcc
	global_load_dwordx4 v[2:5], v[2:3], off offset:64
	s_nop 0
	buffer_load_dword v0, off, s[0:3], 0 offset:52 ; 4-byte Folded Reload
	s_waitcnt vmcnt(0)
	ds_write_b128 v0, v[2:5]
	s_or_b64 exec, exec, s[20:21]
	s_and_saveexec_b64 s[20:21], s[12:13]
	s_cbranch_execnz .LBB56_19
	s_branch .LBB56_20
.LBB56_48:                              ;   in Loop: Header=BB56_16 Depth=1
	buffer_load_dword v0, off, s[0:3], 0 offset:72 ; 4-byte Folded Reload
	buffer_load_dword v1, off, s[0:3], 0 offset:76 ; 4-byte Folded Reload
	v_mov_b32_e32 v11, s23
	s_waitcnt vmcnt(1)
	v_add_co_u32_e32 v10, vcc, s22, v0
	s_waitcnt vmcnt(0)
	v_addc_co_u32_e32 v11, vcc, v11, v1, vcc
	global_load_dwordx4 v[10:13], v[10:11], off offset:208
	s_nop 0
	buffer_load_dword v0, off, s[0:3], 0 offset:48 ; 4-byte Folded Reload
	s_waitcnt vmcnt(0)
	ds_write_b128 v0, v[10:13]
	s_or_b64 exec, exec, s[20:21]
	s_and_saveexec_b64 s[20:21], s[10:11]
	s_cbranch_execz .LBB56_22
.LBB56_49:                              ;   in Loop: Header=BB56_16 Depth=1
	buffer_load_dword v0, off, s[0:3], 0 offset:80 ; 4-byte Folded Reload
	buffer_load_dword v1, off, s[0:3], 0 offset:84 ; 4-byte Folded Reload
	v_mov_b32_e32 v10, s23
	s_waitcnt vmcnt(1)
	v_add_co_u32_e32 v11, vcc, s22, v0
	buffer_load_dword v0, off, s[0:3], 0 offset:20 ; 4-byte Folded Reload
	s_waitcnt vmcnt(1)
	v_addc_co_u32_e32 v12, vcc, v10, v1, vcc
	s_waitcnt vmcnt(0)
	v_add_co_u32_e32 v10, vcc, v11, v0
	v_addc_co_u32_e32 v11, vcc, 0, v12, vcc
	global_load_dwordx4 v[10:13], v[10:11], off offset:176
	s_nop 0
	buffer_load_dword v0, off, s[0:3], 0 offset:52 ; 4-byte Folded Reload
	s_waitcnt vmcnt(0)
	ds_write_b128 v0, v[10:13]
	s_or_b64 exec, exec, s[20:21]
	s_and_saveexec_b64 s[20:21], s[12:13]
	s_cbranch_execnz .LBB56_23
	s_branch .LBB56_24
.LBB56_50:
	v_mov_b32_e32 v2, 0xfeffffff
	v_mov_b32_e32 v3, v2
	;; [unrolled: 1-line block ×16, first 2 shown]
.LBB56_51:
	s_cmp_gt_i32 s58, s64
	s_cbranch_scc1 .LBB56_53
; %bb.52:
	v_mbcnt_lo_u32_b32 v0, -1, 0
	v_mbcnt_hi_u32_b32 v81, -1, v0
	v_and_b32_e32 v0, 0x60, v81
	v_add_u32_e32 v82, 32, v0
	v_xor_b32_e32 v0, 8, v81
	buffer_store_dword v0, off, s[0:3], 0 offset:20 ; 4-byte Folded Spill
	v_xor_b32_e32 v0, 4, v81
	buffer_store_dword v0, off, s[0:3], 0 offset:24 ; 4-byte Folded Spill
	v_xor_b32_e32 v0, 2, v81
	v_xor_b32_e32 v92, 16, v81
	buffer_store_dword v0, off, s[0:3], 0 offset:48 ; 4-byte Folded Spill
	v_xor_b32_e32 v0, 1, v81
	buffer_store_dword v0, off, s[0:3], 0 offset:52 ; 4-byte Folded Spill
	s_cbranch_execz .LBB56_54
	s_branch .LBB56_99
.LBB56_53:
                                        ; implicit-def: $vgpr0
                                        ; kill: killed $vgpr0
                                        ; implicit-def: $vgpr0
                                        ; kill: killed $vgpr0
                                        ; implicit-def: $vgpr81
                                        ; implicit-def: $vgpr82
                                        ; implicit-def: $vgpr92
                                        ; implicit-def: $vgpr0
                                        ; kill: killed $vgpr0
                                        ; implicit-def: $vgpr0
                                        ; kill: killed $vgpr0
.LBB56_54:
	buffer_load_dword v8, off, s[0:3], 0 offset:168 ; 4-byte Folded Reload
	buffer_load_dword v1, off, s[0:3], 0 offset:144 ; 4-byte Folded Reload
	s_mul_hi_i32 s11, s64, s66
	s_mul_i32 s10, s64, s66
	s_mov_b64 s[22:23], src_private_base
	s_sub_i32 s30, s58, s64
	s_lshl_b64 s[10:11], s[10:11], 2
	s_add_u32 s22, s68, s10
	s_addc_u32 s31, s67, s11
	s_waitcnt vmcnt(1)
	v_mul_lo_u32 v0, s66, v8
	s_waitcnt vmcnt(0)
	v_add_u32_e32 v18, 0x1c60, v1
	v_cmp_gt_u32_e64 s[14:15], 32, v8
	v_cmp_gt_i32_e64 s[12:13], s30, v8
	v_ashrrev_i32_e32 v1, 31, v0
	v_lshlrev_b64 v[6:7], 2, v[0:1]
	s_and_saveexec_b64 s[10:11], s[14:15]
	s_cbranch_execz .LBB56_56
; %bb.55:
	v_mov_b32_e32 v0, 0
	buffer_store_dword v0, off, s[0:3], 0
	buffer_store_dword v0, off, s[0:3], 0 offset:4
	buffer_store_dword v0, off, s[0:3], 0 offset:8
	;; [unrolled: 1-line block ×3, first 2 shown]
	v_mov_b32_e32 v0, s31
	v_add_co_u32_e32 v1, vcc, s22, v6
	v_addc_co_u32_e32 v0, vcc, v0, v7, vcc
	v_add_co_u32_e32 v8, vcc, 0x60, v1
	v_addc_co_u32_e32 v0, vcc, 0, v0, vcc
	v_mov_b32_e32 v1, s23
	v_cndmask_b32_e64 v1, v1, v0, s[12:13]
	v_mov_b32_e32 v0, 0
	v_cndmask_b32_e64 v0, v0, v8, s[12:13]
	flat_load_dwordx4 v[8:11], v[0:1]
	s_waitcnt vmcnt(0) lgkmcnt(0)
	ds_write_b128 v18, v[8:11]
.LBB56_56:
	s_or_b64 exec, exec, s[10:11]
	buffer_load_dword v0, off, s[0:3], 0 offset:140 ; 4-byte Folded Reload
	buffer_load_dword v1, off, s[0:3], 0 offset:164 ; 4-byte Folded Reload
	s_mov_b64 s[24:25], src_private_base
	s_waitcnt vmcnt(0)
	v_lshl_add_u32 v77, v0, 4, v1
	buffer_load_dword v1, off, s[0:3], 0 offset:136 ; 4-byte Folded Reload
	v_mul_lo_u32 v0, s66, v77
	v_cmp_gt_u32_e64 s[16:17], 32, v77
	v_cmp_gt_i32_e64 s[20:21], s30, v77
	s_waitcnt vmcnt(0)
	v_lshlrev_b32_e32 v79, 2, v1
	v_lshl_or_b32 v1, v77, 7, v79
	v_add_u32_e32 v19, 0x1c40, v1
	v_ashrrev_i32_e32 v1, 31, v0
	v_lshlrev_b64 v[8:9], 2, v[0:1]
	s_and_saveexec_b64 s[10:11], s[16:17]
	s_cbranch_execz .LBB56_58
; %bb.57:
	v_mov_b32_e32 v0, 0
	buffer_store_dword v0, off, s[0:3], 0
	buffer_store_dword v0, off, s[0:3], 0 offset:4
	buffer_store_dword v0, off, s[0:3], 0 offset:8
	;; [unrolled: 1-line block ×3, first 2 shown]
	v_mov_b32_e32 v0, s31
	v_add_co_u32_e32 v1, vcc, s22, v8
	v_addc_co_u32_e32 v0, vcc, v0, v9, vcc
	v_add_co_u32_e32 v1, vcc, v1, v79
	v_addc_co_u32_e32 v0, vcc, 0, v0, vcc
	;; [unrolled: 2-line block ×3, first 2 shown]
	v_mov_b32_e32 v1, s25
	v_cndmask_b32_e64 v1, v1, v0, s[20:21]
	v_mov_b32_e32 v0, 0
	v_cndmask_b32_e64 v0, v0, v10, s[20:21]
	flat_load_dwordx4 v[10:13], v[0:1]
	s_waitcnt vmcnt(0) lgkmcnt(0)
	ds_write_b128 v19, v[10:13]
.LBB56_58:
	s_or_b64 exec, exec, s[10:11]
	buffer_load_dword v0, off, s[0:3], 0 offset:144 ; 4-byte Folded Reload
	s_mov_b64 s[26:27], src_private_base
	v_mov_b32_e32 v12, 0
	buffer_load_dword v1, off, s[0:3], 0 offset:156 ; 4-byte Folded Reload
	s_waitcnt vmcnt(1)
	v_add_u32_e32 v16, 0x1c00, v0
	buffer_load_dword v0, off, s[0:3], 0 offset:140 ; 4-byte Folded Reload
	s_waitcnt vmcnt(0)
	v_mov_b32_e32 v41, v0
	v_lshl_add_u32 v78, v0, 3, v1
	buffer_load_dword v0, off, s[0:3], 0 offset:160 ; 4-byte Folded Reload
	v_cmp_gt_u32_e64 s[18:19], 32, v78
	v_cmp_gt_i32_e64 s[10:11], s30, v78
	s_waitcnt vmcnt(0)
	v_lshlrev_b32_e32 v84, 2, v0
	v_mul_lo_u32 v0, s66, v78
	v_lshl_or_b32 v1, v78, 7, v84
	v_add_u32_e32 v20, 0x1c00, v1
	v_ashrrev_i32_e32 v1, 31, v0
	v_lshlrev_b64 v[10:11], 2, v[0:1]
	s_and_saveexec_b64 s[28:29], s[18:19]
	s_cbranch_execz .LBB56_60
; %bb.59:
	v_mov_b32_e32 v0, s31
	v_add_co_u32_e32 v1, vcc, s22, v10
	v_addc_co_u32_e32 v0, vcc, v0, v11, vcc
	v_add_co_u32_e32 v13, vcc, v1, v84
	v_addc_co_u32_e32 v0, vcc, 0, v0, vcc
	v_mov_b32_e32 v1, s27
	v_cndmask_b32_e64 v1, v1, v0, s[10:11]
	v_mov_b32_e32 v0, 0
	buffer_store_dword v12, off, s[0:3], 0
	buffer_store_dword v12, off, s[0:3], 0 offset:4
	buffer_store_dword v12, off, s[0:3], 0 offset:8
	;; [unrolled: 1-line block ×3, first 2 shown]
	v_cndmask_b32_e64 v0, v0, v13, s[10:11]
	flat_load_dwordx4 v[21:24], v[0:1]
	s_waitcnt vmcnt(0) lgkmcnt(0)
	ds_write_b128 v20, v[21:24]
.LBB56_60:
	s_or_b64 exec, exec, s[28:29]
	v_mul_u32_u24_e32 v17, 0x380, v41
	s_waitcnt lgkmcnt(0)
	s_barrier
	ds_read_b128 v[21:24], v16
	ds_read_b128 v[25:28], v17
	ds_read_b128 v[29:32], v17 offset:224
	ds_read_b128 v[33:36], v17 offset:448
	;; [unrolled: 1-line block ×3, first 2 shown]
	v_mov_b32_e32 v15, 0
	s_waitcnt lgkmcnt(3)
	;;#ASMSTART
	v_dot2_f32_f16 v15, v21, v25, v15
	;;#ASMEND
	;;#ASMSTART
	v_dot2_f32_f16 v15, v22, v26, v15
	;;#ASMEND
	;; [unrolled: 3-line block ×3, first 2 shown]
	v_mov_b32_e32 v14, 0
	;;#ASMSTART
	v_dot2_f32_f16 v15, v24, v28, v15
	;;#ASMEND
	s_waitcnt lgkmcnt(2)
	;;#ASMSTART
	v_dot2_f32_f16 v14, v21, v29, v14
	;;#ASMEND
	;;#ASMSTART
	v_dot2_f32_f16 v14, v22, v30, v14
	;;#ASMEND
	;; [unrolled: 3-line block ×3, first 2 shown]
	v_mov_b32_e32 v13, 0
	;;#ASMSTART
	v_dot2_f32_f16 v14, v24, v32, v14
	;;#ASMEND
	s_waitcnt lgkmcnt(1)
	;;#ASMSTART
	v_dot2_f32_f16 v13, v21, v33, v13
	;;#ASMEND
	;;#ASMSTART
	v_dot2_f32_f16 v13, v22, v34, v13
	;;#ASMEND
	;;#ASMSTART
	v_dot2_f32_f16 v13, v23, v35, v13
	;;#ASMEND
	;;#ASMSTART
	v_dot2_f32_f16 v13, v24, v36, v13
	;;#ASMEND
	s_waitcnt lgkmcnt(0)
	;;#ASMSTART
	v_dot2_f32_f16 v12, v21, v37, v12
	;;#ASMEND
	;;#ASMSTART
	v_dot2_f32_f16 v12, v22, v38, v12
	;;#ASMEND
	;;#ASMSTART
	v_dot2_f32_f16 v12, v23, v39, v12
	;;#ASMEND
	;;#ASMSTART
	v_dot2_f32_f16 v12, v24, v40, v12
	;;#ASMEND
	ds_read_b128 v[21:24], v16 offset:16
	ds_read_b128 v[25:28], v17 offset:16
	ds_read_b128 v[29:32], v17 offset:240
	ds_read_b128 v[33:36], v17 offset:464
	ds_read_b128 v[37:40], v17 offset:688
	s_waitcnt lgkmcnt(3)
	;;#ASMSTART
	v_dot2_f32_f16 v15, v21, v25, v15
	;;#ASMEND
	;;#ASMSTART
	v_dot2_f32_f16 v15, v22, v26, v15
	;;#ASMEND
	;;#ASMSTART
	v_dot2_f32_f16 v15, v23, v27, v15
	;;#ASMEND
	;;#ASMSTART
	v_dot2_f32_f16 v15, v24, v28, v15
	;;#ASMEND
	s_waitcnt lgkmcnt(2)
	;;#ASMSTART
	v_dot2_f32_f16 v14, v21, v29, v14
	;;#ASMEND
	;;#ASMSTART
	v_dot2_f32_f16 v14, v22, v30, v14
	;;#ASMEND
	;;#ASMSTART
	v_dot2_f32_f16 v14, v23, v31, v14
	;;#ASMEND
	;;#ASMSTART
	v_dot2_f32_f16 v14, v24, v32, v14
	;;#ASMEND
	s_waitcnt lgkmcnt(1)
	;;#ASMSTART
	v_dot2_f32_f16 v13, v21, v33, v13
	;;#ASMEND
	;;#ASMSTART
	v_dot2_f32_f16 v13, v22, v34, v13
	;;#ASMEND
	;;#ASMSTART
	v_dot2_f32_f16 v13, v23, v35, v13
	;;#ASMEND
	;;#ASMSTART
	v_dot2_f32_f16 v13, v24, v36, v13
	;;#ASMEND
	s_waitcnt lgkmcnt(0)
	;;#ASMSTART
	v_dot2_f32_f16 v12, v21, v37, v12
	;;#ASMEND
	;;#ASMSTART
	v_dot2_f32_f16 v12, v22, v38, v12
	;;#ASMEND
	;;#ASMSTART
	v_dot2_f32_f16 v12, v23, v39, v12
	;;#ASMEND
	;;#ASMSTART
	v_dot2_f32_f16 v12, v24, v40, v12
	;;#ASMEND
	ds_read_b128 v[21:24], v16 offset:32
	ds_read_b128 v[25:28], v17 offset:32
	ds_read_b128 v[29:32], v17 offset:256
	ds_read_b128 v[33:36], v17 offset:480
	ds_read_b128 v[37:40], v17 offset:704
	s_waitcnt lgkmcnt(3)
	;;#ASMSTART
	v_dot2_f32_f16 v15, v21, v25, v15
	;;#ASMEND
	;;#ASMSTART
	v_dot2_f32_f16 v15, v22, v26, v15
	;;#ASMEND
	;;#ASMSTART
	v_dot2_f32_f16 v15, v23, v27, v15
	;;#ASMEND
	;;#ASMSTART
	v_dot2_f32_f16 v15, v24, v28, v15
	;;#ASMEND
	s_waitcnt lgkmcnt(2)
	;;#ASMSTART
	v_dot2_f32_f16 v14, v21, v29, v14
	;;#ASMEND
	;;#ASMSTART
	v_dot2_f32_f16 v14, v22, v30, v14
	;;#ASMEND
	;;#ASMSTART
	v_dot2_f32_f16 v14, v23, v31, v14
	;;#ASMEND
	;; [unrolled: 57-line block ×6, first 2 shown]
	;;#ASMSTART
	v_dot2_f32_f16 v14, v24, v32, v14
	;;#ASMEND
	s_waitcnt lgkmcnt(1)
	;;#ASMSTART
	v_dot2_f32_f16 v13, v21, v33, v13
	;;#ASMEND
	;;#ASMSTART
	v_dot2_f32_f16 v13, v22, v34, v13
	;;#ASMEND
	;; [unrolled: 3-line block ×4, first 2 shown]
	s_waitcnt lgkmcnt(0)
	;;#ASMSTART
	v_dot2_f32_f16 v12, v21, v37, v12
	;;#ASMEND
	;;#ASMSTART
	v_dot2_f32_f16 v12, v22, v38, v12
	;;#ASMEND
	;; [unrolled: 3-line block ×4, first 2 shown]
	s_barrier
	s_and_saveexec_b64 s[28:29], s[14:15]
	s_cbranch_execnz .LBB56_67
; %bb.61:
	s_or_b64 exec, exec, s[28:29]
	s_and_saveexec_b64 s[12:13], s[16:17]
	s_cbranch_execnz .LBB56_68
.LBB56_62:
	s_or_b64 exec, exec, s[12:13]
	s_and_saveexec_b64 s[12:13], s[18:19]
	s_cbranch_execz .LBB56_64
.LBB56_63:
	v_mov_b32_e32 v0, 0
	buffer_store_dword v0, off, s[0:3], 0
	buffer_store_dword v0, off, s[0:3], 0 offset:4
	buffer_store_dword v0, off, s[0:3], 0 offset:8
	;; [unrolled: 1-line block ×3, first 2 shown]
	v_mov_b32_e32 v0, s31
	v_add_co_u32_e32 v1, vcc, s22, v10
	v_addc_co_u32_e32 v0, vcc, v0, v11, vcc
	v_add_co_u32_e32 v1, vcc, v1, v84
	v_addc_co_u32_e32 v0, vcc, 0, v0, vcc
	;; [unrolled: 2-line block ×3, first 2 shown]
	v_mov_b32_e32 v1, s27
	v_cndmask_b32_e64 v1, v1, v0, s[10:11]
	v_mov_b32_e32 v0, 0
	v_cndmask_b32_e64 v0, v0, v6, s[10:11]
	flat_load_dwordx4 v[6:9], v[0:1]
	s_waitcnt vmcnt(0) lgkmcnt(0)
	ds_write_b128 v20, v[6:9]
.LBB56_64:
	s_or_b64 exec, exec, s[12:13]
	s_waitcnt lgkmcnt(0)
	s_barrier
	ds_read_b128 v[6:9], v16
	ds_read_b128 v[18:21], v17 offset:112
	ds_read_b128 v[22:25], v17 offset:336
	ds_read_b128 v[26:29], v17 offset:560
	ds_read_b128 v[30:33], v17 offset:784
	s_waitcnt lgkmcnt(3)
	;;#ASMSTART
	v_dot2_f32_f16 v15, v6, v18, v15
	;;#ASMEND
	;;#ASMSTART
	v_dot2_f32_f16 v15, v7, v19, v15
	;;#ASMEND
	;;#ASMSTART
	v_dot2_f32_f16 v15, v8, v20, v15
	;;#ASMEND
	;;#ASMSTART
	v_dot2_f32_f16 v15, v9, v21, v15
	;;#ASMEND
	s_waitcnt lgkmcnt(2)
	;;#ASMSTART
	v_dot2_f32_f16 v14, v6, v22, v14
	;;#ASMEND
	;;#ASMSTART
	v_dot2_f32_f16 v14, v7, v23, v14
	;;#ASMEND
	;;#ASMSTART
	v_dot2_f32_f16 v14, v8, v24, v14
	;;#ASMEND
	;;#ASMSTART
	v_dot2_f32_f16 v14, v9, v25, v14
	;;#ASMEND
	s_waitcnt lgkmcnt(1)
	;;#ASMSTART
	v_dot2_f32_f16 v13, v6, v26, v13
	;;#ASMEND
	;;#ASMSTART
	v_dot2_f32_f16 v13, v7, v27, v13
	;;#ASMEND
	;;#ASMSTART
	v_dot2_f32_f16 v13, v8, v28, v13
	;;#ASMEND
	;;#ASMSTART
	v_dot2_f32_f16 v13, v9, v29, v13
	;;#ASMEND
	s_waitcnt lgkmcnt(0)
	;;#ASMSTART
	v_dot2_f32_f16 v12, v6, v30, v12
	;;#ASMEND
	;;#ASMSTART
	v_dot2_f32_f16 v12, v7, v31, v12
	;;#ASMEND
	;;#ASMSTART
	v_dot2_f32_f16 v12, v8, v32, v12
	;;#ASMEND
	;;#ASMSTART
	v_dot2_f32_f16 v12, v9, v33, v12
	;;#ASMEND
	ds_read_b128 v[6:9], v16 offset:16
	ds_read_b128 v[18:21], v17 offset:128
	ds_read_b128 v[22:25], v17 offset:352
	ds_read_b128 v[26:29], v17 offset:576
	ds_read_b128 v[30:33], v17 offset:800
	s_waitcnt lgkmcnt(3)
	;;#ASMSTART
	v_dot2_f32_f16 v15, v6, v18, v15
	;;#ASMEND
	;;#ASMSTART
	v_dot2_f32_f16 v15, v7, v19, v15
	;;#ASMEND
	;;#ASMSTART
	v_dot2_f32_f16 v15, v8, v20, v15
	;;#ASMEND
	;;#ASMSTART
	v_dot2_f32_f16 v15, v9, v21, v15
	;;#ASMEND
	s_waitcnt lgkmcnt(2)
	;;#ASMSTART
	v_dot2_f32_f16 v14, v6, v22, v14
	;;#ASMEND
	;;#ASMSTART
	v_dot2_f32_f16 v14, v7, v23, v14
	;;#ASMEND
	;;#ASMSTART
	v_dot2_f32_f16 v14, v8, v24, v14
	;;#ASMEND
	;;#ASMSTART
	v_dot2_f32_f16 v14, v9, v25, v14
	;;#ASMEND
	s_waitcnt lgkmcnt(1)
	;;#ASMSTART
	v_dot2_f32_f16 v13, v6, v26, v13
	;;#ASMEND
	;;#ASMSTART
	v_dot2_f32_f16 v13, v7, v27, v13
	;;#ASMEND
	;;#ASMSTART
	v_dot2_f32_f16 v13, v8, v28, v13
	;;#ASMEND
	;;#ASMSTART
	v_dot2_f32_f16 v13, v9, v29, v13
	;;#ASMEND
	s_waitcnt lgkmcnt(0)
	;;#ASMSTART
	v_dot2_f32_f16 v12, v6, v30, v12
	;;#ASMEND
	;;#ASMSTART
	v_dot2_f32_f16 v12, v7, v31, v12
	;;#ASMEND
	;;#ASMSTART
	v_dot2_f32_f16 v12, v8, v32, v12
	;;#ASMEND
	;;#ASMSTART
	v_dot2_f32_f16 v12, v9, v33, v12
	;;#ASMEND
	ds_read_b128 v[6:9], v16 offset:32
	ds_read_b128 v[18:21], v17 offset:144
	ds_read_b128 v[22:25], v17 offset:368
	ds_read_b128 v[26:29], v17 offset:592
	ds_read_b128 v[30:33], v17 offset:816
	s_waitcnt lgkmcnt(3)
	;;#ASMSTART
	v_dot2_f32_f16 v15, v6, v18, v15
	;;#ASMEND
	;;#ASMSTART
	v_dot2_f32_f16 v15, v7, v19, v15
	;;#ASMEND
	;;#ASMSTART
	v_dot2_f32_f16 v15, v8, v20, v15
	;;#ASMEND
	;;#ASMSTART
	v_dot2_f32_f16 v15, v9, v21, v15
	;;#ASMEND
	s_waitcnt lgkmcnt(2)
	;;#ASMSTART
	v_dot2_f32_f16 v14, v6, v22, v14
	;;#ASMEND
	;;#ASMSTART
	v_dot2_f32_f16 v14, v7, v23, v14
	;;#ASMEND
	;;#ASMSTART
	v_dot2_f32_f16 v14, v8, v24, v14
	;;#ASMEND
	;;#ASMSTART
	v_dot2_f32_f16 v14, v9, v25, v14
	;;#ASMEND
	s_waitcnt lgkmcnt(1)
	;;#ASMSTART
	v_dot2_f32_f16 v13, v6, v26, v13
	;;#ASMEND
	;;#ASMSTART
	v_dot2_f32_f16 v13, v7, v27, v13
	;;#ASMEND
	;;#ASMSTART
	v_dot2_f32_f16 v13, v8, v28, v13
	;;#ASMEND
	;;#ASMSTART
	v_dot2_f32_f16 v13, v9, v29, v13
	;;#ASMEND
	s_waitcnt lgkmcnt(0)
	;;#ASMSTART
	v_dot2_f32_f16 v12, v6, v30, v12
	;;#ASMEND
	;;#ASMSTART
	v_dot2_f32_f16 v12, v7, v31, v12
	;;#ASMEND
	;;#ASMSTART
	v_dot2_f32_f16 v12, v8, v32, v12
	;;#ASMEND
	;;#ASMSTART
	v_dot2_f32_f16 v12, v9, v33, v12
	;;#ASMEND
	ds_read_b128 v[6:9], v16 offset:48
	ds_read_b128 v[18:21], v17 offset:160
	ds_read_b128 v[22:25], v17 offset:384
	ds_read_b128 v[26:29], v17 offset:608
	ds_read_b128 v[30:33], v17 offset:832
	s_waitcnt lgkmcnt(3)
	;;#ASMSTART
	v_dot2_f32_f16 v15, v6, v18, v15
	;;#ASMEND
	;;#ASMSTART
	v_dot2_f32_f16 v15, v7, v19, v15
	;;#ASMEND
	;;#ASMSTART
	v_dot2_f32_f16 v15, v8, v20, v15
	;;#ASMEND
	;;#ASMSTART
	v_dot2_f32_f16 v15, v9, v21, v15
	;;#ASMEND
	s_waitcnt lgkmcnt(2)
	;;#ASMSTART
	v_dot2_f32_f16 v14, v6, v22, v14
	;;#ASMEND
	;;#ASMSTART
	v_dot2_f32_f16 v14, v7, v23, v14
	;;#ASMEND
	;;#ASMSTART
	v_dot2_f32_f16 v14, v8, v24, v14
	;;#ASMEND
	;;#ASMSTART
	v_dot2_f32_f16 v14, v9, v25, v14
	;;#ASMEND
	s_waitcnt lgkmcnt(1)
	;;#ASMSTART
	v_dot2_f32_f16 v13, v6, v26, v13
	;;#ASMEND
	;;#ASMSTART
	v_dot2_f32_f16 v13, v7, v27, v13
	;;#ASMEND
	;;#ASMSTART
	v_dot2_f32_f16 v13, v8, v28, v13
	;;#ASMEND
	;;#ASMSTART
	v_dot2_f32_f16 v13, v9, v29, v13
	;;#ASMEND
	s_waitcnt lgkmcnt(0)
	;;#ASMSTART
	v_dot2_f32_f16 v12, v6, v30, v12
	;;#ASMEND
	;;#ASMSTART
	v_dot2_f32_f16 v12, v7, v31, v12
	;;#ASMEND
	;;#ASMSTART
	v_dot2_f32_f16 v12, v8, v32, v12
	;;#ASMEND
	;;#ASMSTART
	v_dot2_f32_f16 v12, v9, v33, v12
	;;#ASMEND
	ds_read_b128 v[6:9], v16 offset:64
	ds_read_b128 v[18:21], v17 offset:176
	ds_read_b128 v[22:25], v17 offset:400
	ds_read_b128 v[26:29], v17 offset:624
	ds_read_b128 v[30:33], v17 offset:848
	s_waitcnt lgkmcnt(3)
	;;#ASMSTART
	v_dot2_f32_f16 v15, v6, v18, v15
	;;#ASMEND
	;;#ASMSTART
	v_dot2_f32_f16 v15, v7, v19, v15
	;;#ASMEND
	;;#ASMSTART
	v_dot2_f32_f16 v15, v8, v20, v15
	;;#ASMEND
	;;#ASMSTART
	v_dot2_f32_f16 v15, v9, v21, v15
	;;#ASMEND
	s_waitcnt lgkmcnt(2)
	;;#ASMSTART
	v_dot2_f32_f16 v14, v6, v22, v14
	;;#ASMEND
	;;#ASMSTART
	v_dot2_f32_f16 v14, v7, v23, v14
	;;#ASMEND
	;;#ASMSTART
	v_dot2_f32_f16 v14, v8, v24, v14
	;;#ASMEND
	;;#ASMSTART
	v_dot2_f32_f16 v14, v9, v25, v14
	;;#ASMEND
	s_waitcnt lgkmcnt(1)
	;;#ASMSTART
	v_dot2_f32_f16 v13, v6, v26, v13
	;;#ASMEND
	;;#ASMSTART
	v_dot2_f32_f16 v13, v7, v27, v13
	;;#ASMEND
	;;#ASMSTART
	v_dot2_f32_f16 v13, v8, v28, v13
	;;#ASMEND
	;;#ASMSTART
	v_dot2_f32_f16 v13, v9, v29, v13
	;;#ASMEND
	s_waitcnt lgkmcnt(0)
	;;#ASMSTART
	v_dot2_f32_f16 v12, v6, v30, v12
	;;#ASMEND
	;;#ASMSTART
	v_dot2_f32_f16 v12, v7, v31, v12
	;;#ASMEND
	;;#ASMSTART
	v_dot2_f32_f16 v12, v8, v32, v12
	;;#ASMEND
	;;#ASMSTART
	v_dot2_f32_f16 v12, v9, v33, v12
	;;#ASMEND
	ds_read_b128 v[6:9], v16 offset:80
	ds_read_b128 v[18:21], v17 offset:192
	ds_read_b128 v[22:25], v17 offset:416
	ds_read_b128 v[26:29], v17 offset:640
	ds_read_b128 v[30:33], v17 offset:864
	s_waitcnt lgkmcnt(3)
	;;#ASMSTART
	v_dot2_f32_f16 v15, v6, v18, v15
	;;#ASMEND
	;;#ASMSTART
	v_dot2_f32_f16 v15, v7, v19, v15
	;;#ASMEND
	;;#ASMSTART
	v_dot2_f32_f16 v15, v8, v20, v15
	;;#ASMEND
	;;#ASMSTART
	v_dot2_f32_f16 v15, v9, v21, v15
	;;#ASMEND
	s_waitcnt lgkmcnt(2)
	;;#ASMSTART
	v_dot2_f32_f16 v14, v6, v22, v14
	;;#ASMEND
	;;#ASMSTART
	v_dot2_f32_f16 v14, v7, v23, v14
	;;#ASMEND
	;;#ASMSTART
	v_dot2_f32_f16 v14, v8, v24, v14
	;;#ASMEND
	;;#ASMSTART
	v_dot2_f32_f16 v14, v9, v25, v14
	;;#ASMEND
	s_waitcnt lgkmcnt(1)
	;;#ASMSTART
	v_dot2_f32_f16 v13, v6, v26, v13
	;;#ASMEND
	;;#ASMSTART
	v_dot2_f32_f16 v13, v7, v27, v13
	;;#ASMEND
	;;#ASMSTART
	v_dot2_f32_f16 v13, v8, v28, v13
	;;#ASMEND
	;;#ASMSTART
	v_dot2_f32_f16 v13, v9, v29, v13
	;;#ASMEND
	s_waitcnt lgkmcnt(0)
	;;#ASMSTART
	v_dot2_f32_f16 v12, v6, v30, v12
	;;#ASMEND
	;;#ASMSTART
	v_dot2_f32_f16 v12, v7, v31, v12
	;;#ASMEND
	;;#ASMSTART
	v_dot2_f32_f16 v12, v8, v32, v12
	;;#ASMEND
	;;#ASMSTART
	v_dot2_f32_f16 v12, v9, v33, v12
	;;#ASMEND
	ds_read_b128 v[6:9], v16 offset:96
	ds_read_b128 v[18:21], v17 offset:208
	ds_read_b128 v[22:25], v17 offset:432
	;; [unrolled: 1-line block ×4, first 2 shown]
	s_waitcnt lgkmcnt(3)
	;;#ASMSTART
	v_dot2_f32_f16 v15, v6, v18, v15
	;;#ASMEND
	;;#ASMSTART
	v_dot2_f32_f16 v15, v7, v19, v15
	;;#ASMEND
	;;#ASMSTART
	v_dot2_f32_f16 v15, v8, v20, v15
	;;#ASMEND
	;;#ASMSTART
	v_dot2_f32_f16 v15, v9, v21, v15
	;;#ASMEND
	s_waitcnt lgkmcnt(2)
	;;#ASMSTART
	v_dot2_f32_f16 v14, v6, v22, v14
	;;#ASMEND
	;;#ASMSTART
	v_dot2_f32_f16 v14, v7, v23, v14
	;;#ASMEND
	;;#ASMSTART
	v_dot2_f32_f16 v14, v8, v24, v14
	;;#ASMEND
	;;#ASMSTART
	v_dot2_f32_f16 v14, v9, v25, v14
	;;#ASMEND
	;; [unrolled: 13-line block ×4, first 2 shown]
	buffer_load_dword v0, off, s[0:3], 0 offset:28 ; 4-byte Folded Reload
	s_cmp_lg_u64 s[56:57], 0
	s_cselect_b64 s[14:15], -1, 0
	v_mov_b32_e32 v9, v5
	v_mov_b32_e32 v8, v4
	;; [unrolled: 1-line block ×5, first 2 shown]
	s_waitcnt vmcnt(0)
	v_cmp_gt_i32_e64 s[12:13], s30, v0
	v_add_u32_e32 v10, s64, v0
	v_cndmask_b32_e64 v0, 0, 1, s[14:15]
	v_cmp_ne_u32_e64 s[14:15], 1, v0
	s_and_saveexec_b64 s[16:17], s[12:13]
	s_cbranch_execz .LBB56_71
; %bb.65:
	s_and_b64 vcc, exec, s[14:15]
	s_cbranch_vccnz .LBB56_69
; %bb.66:
	buffer_load_dword v1, off, s[0:3], 0 offset:128 ; 4-byte Folded Reload
	v_mov_b32_e32 v6, s57
	s_waitcnt vmcnt(0)
	v_mul_hi_u32 v0, s52, v1
	v_add_u32_e32 v0, v1, v0
	v_lshrrev_b32_e32 v0, s53, v0
	v_mul_lo_u32 v0, v0, s54
	v_sub_u32_e32 v0, v1, v0
	v_mad_u64_u32 v[0:1], s[18:19], v0, s65, v[10:11]
	v_ashrrev_i32_e32 v1, 31, v0
	v_lshlrev_b64 v[0:1], 1, v[0:1]
	v_add_co_u32_e32 v0, vcc, s56, v0
	v_addc_co_u32_e32 v1, vcc, v6, v1, vcc
	global_load_ushort v0, v[0:1], off
	s_waitcnt vmcnt(0)
	v_cvt_f32_f16_e32 v0, v0
	v_mul_f32_e32 v6, v80, v0
	s_branch .LBB56_70
.LBB56_67:
	v_mov_b32_e32 v0, 0
	buffer_store_dword v0, off, s[0:3], 0
	buffer_store_dword v0, off, s[0:3], 0 offset:4
	buffer_store_dword v0, off, s[0:3], 0 offset:8
	;; [unrolled: 1-line block ×3, first 2 shown]
	v_mov_b32_e32 v0, s31
	v_add_co_u32_e32 v1, vcc, s22, v6
	v_addc_co_u32_e32 v0, vcc, v0, v7, vcc
	v_add_co_u32_e32 v6, vcc, 0xd0, v1
	v_addc_co_u32_e32 v0, vcc, 0, v0, vcc
	v_mov_b32_e32 v1, s23
	v_cndmask_b32_e64 v1, v1, v0, s[12:13]
	v_mov_b32_e32 v0, 0
	v_cndmask_b32_e64 v0, v0, v6, s[12:13]
	flat_load_dwordx4 v[21:24], v[0:1]
	s_waitcnt vmcnt(0) lgkmcnt(0)
	ds_write_b128 v18, v[21:24]
	s_or_b64 exec, exec, s[28:29]
	s_and_saveexec_b64 s[12:13], s[16:17]
	s_cbranch_execz .LBB56_62
.LBB56_68:
	v_mov_b32_e32 v0, 0
	buffer_store_dword v0, off, s[0:3], 0
	buffer_store_dword v0, off, s[0:3], 0 offset:4
	buffer_store_dword v0, off, s[0:3], 0 offset:8
	;; [unrolled: 1-line block ×3, first 2 shown]
	v_mov_b32_e32 v0, s31
	v_add_co_u32_e32 v1, vcc, s22, v8
	v_addc_co_u32_e32 v0, vcc, v0, v9, vcc
	v_add_co_u32_e32 v1, vcc, v1, v79
	v_addc_co_u32_e32 v0, vcc, 0, v0, vcc
	;; [unrolled: 2-line block ×3, first 2 shown]
	v_mov_b32_e32 v1, s25
	v_cndmask_b32_e64 v1, v1, v0, s[20:21]
	v_mov_b32_e32 v0, 0
	v_cndmask_b32_e64 v0, v0, v6, s[20:21]
	flat_load_dwordx4 v[6:9], v[0:1]
	s_waitcnt vmcnt(0) lgkmcnt(0)
	ds_write_b128 v19, v[6:9]
	s_or_b64 exec, exec, s[12:13]
	s_and_saveexec_b64 s[12:13], s[18:19]
	s_cbranch_execnz .LBB56_63
	s_branch .LBB56_64
.LBB56_69:
	v_mov_b32_e32 v6, 0
.LBB56_70:
	v_add_f32_e32 v15, v15, v6
	v_add_f32_e32 v0, 0x40051340, v15
	v_max_f32_e32 v1, v2, v2
	v_mov_b32_e32 v9, v5
	v_max_f32_e32 v11, v1, v0
	v_mov_b32_e32 v8, v4
	v_mov_b32_e32 v7, v3
	;; [unrolled: 1-line block ×3, first 2 shown]
.LBB56_71:
	s_or_b64 exec, exec, s[16:17]
	v_mbcnt_lo_u32_b32 v0, -1, 0
	v_mbcnt_hi_u32_b32 v81, -1, v0
	v_and_b32_e32 v0, 0x60, v81
	v_add_u32_e32 v82, 32, v0
	v_xor_b32_e32 v92, 16, v81
	v_cmp_lt_i32_e32 vcc, v92, v82
	v_cndmask_b32_e32 v0, v81, v92, vcc
	v_lshlrev_b32_e32 v18, 2, v0
	ds_bpermute_b32 v0, v18, v11
	v_xor_b32_e32 v1, 8, v81
	v_cmp_lt_i32_e32 vcc, v1, v82
	buffer_store_dword v1, off, s[0:3], 0 offset:20 ; 4-byte Folded Spill
	v_cndmask_b32_e32 v1, v81, v1, vcc
	v_lshlrev_b32_e32 v19, 2, v1
	s_waitcnt lgkmcnt(0)
	v_max_f32_e32 v0, v0, v0
	v_max_f32_e32 v1, v11, v11
	;; [unrolled: 1-line block ×3, first 2 shown]
	ds_bpermute_b32 v1, v19, v0
	v_xor_b32_e32 v6, 4, v81
	v_cmp_lt_i32_e32 vcc, v6, v82
	buffer_store_dword v6, off, s[0:3], 0 offset:24 ; 4-byte Folded Spill
	v_cndmask_b32_e32 v6, v81, v6, vcc
	s_waitcnt lgkmcnt(0)
	v_max_f32_e32 v1, v1, v1
	v_lshlrev_b32_e32 v11, 2, v6
	v_max_f32_e32 v0, v0, v1
	ds_bpermute_b32 v1, v11, v0
	v_xor_b32_e32 v6, 2, v81
	v_cmp_lt_i32_e32 vcc, v6, v82
	buffer_store_dword v6, off, s[0:3], 0 offset:48 ; 4-byte Folded Spill
	v_cndmask_b32_e32 v6, v81, v6, vcc
	s_waitcnt lgkmcnt(0)
	v_max_f32_e32 v1, v1, v1
	v_lshlrev_b32_e32 v16, 2, v6
	v_max_f32_e32 v0, v0, v1
	;; [unrolled: 9-line block ×3, first 2 shown]
	ds_bpermute_b32 v1, v17, v0
	s_waitcnt lgkmcnt(0)
	v_max_f32_e32 v1, v1, v1
	v_max_f32_e32 v21, v0, v1
	s_and_saveexec_b64 s[16:17], s[12:13]
	s_cbranch_execz .LBB56_76
; %bb.72:
	s_and_b64 vcc, exec, s[14:15]
	s_cbranch_vccnz .LBB56_74
; %bb.73:
	buffer_load_dword v0, off, s[0:3], 0 offset:128 ; 4-byte Folded Reload
	v_mov_b32_e32 v6, s57
	s_waitcnt vmcnt(0)
	v_or_b32_e32 v0, 1, v0
	v_mul_hi_u32 v1, s52, v0
	v_add_u32_e32 v1, v0, v1
	v_lshrrev_b32_e32 v1, s53, v1
	v_mul_lo_u32 v1, v1, s54
	v_sub_u32_e32 v0, v0, v1
	v_mad_u64_u32 v[0:1], s[18:19], v0, s65, v[10:11]
	v_ashrrev_i32_e32 v1, 31, v0
	v_lshlrev_b64 v[0:1], 1, v[0:1]
	v_add_co_u32_e32 v0, vcc, s56, v0
	v_addc_co_u32_e32 v1, vcc, v6, v1, vcc
	global_load_ushort v0, v[0:1], off
	s_waitcnt vmcnt(0)
	v_cvt_f32_f16_e32 v0, v0
	v_mul_f32_e32 v20, v80, v0
	s_branch .LBB56_75
.LBB56_74:
	v_mov_b32_e32 v20, 0
.LBB56_75:
	v_add_f32_e32 v14, v14, v20
	v_add_f32_e32 v0, 0x40051340, v14
	v_max_f32_e32 v1, v7, v7
	v_max_f32_e32 v7, v1, v0
.LBB56_76:
	s_or_b64 exec, exec, s[16:17]
	ds_bpermute_b32 v0, v18, v7
	v_max_f32_e32 v1, v7, v7
	s_waitcnt lgkmcnt(0)
	v_max_f32_e32 v0, v0, v0
	v_max_f32_e32 v0, v1, v0
	ds_bpermute_b32 v1, v19, v0
	s_waitcnt lgkmcnt(0)
	v_max_f32_e32 v1, v1, v1
	v_max_f32_e32 v0, v0, v1
	ds_bpermute_b32 v1, v11, v0
	;; [unrolled: 4-line block ×4, first 2 shown]
	s_waitcnt lgkmcnt(0)
	v_max_f32_e32 v1, v1, v1
	v_max_f32_e32 v22, v0, v1
	s_and_saveexec_b64 s[16:17], s[12:13]
	s_cbranch_execz .LBB56_81
; %bb.77:
	s_and_b64 vcc, exec, s[14:15]
	s_cbranch_vccnz .LBB56_79
; %bb.78:
	buffer_load_dword v0, off, s[0:3], 0 offset:128 ; 4-byte Folded Reload
	v_mov_b32_e32 v6, s57
	s_waitcnt vmcnt(0)
	v_or_b32_e32 v0, 2, v0
	v_mul_hi_u32 v1, s52, v0
	v_add_u32_e32 v1, v0, v1
	v_lshrrev_b32_e32 v1, s53, v1
	v_mul_lo_u32 v1, v1, s54
	v_sub_u32_e32 v0, v0, v1
	v_mad_u64_u32 v[0:1], s[18:19], v0, s65, v[10:11]
	v_ashrrev_i32_e32 v1, 31, v0
	v_lshlrev_b64 v[0:1], 1, v[0:1]
	v_add_co_u32_e32 v0, vcc, s56, v0
	v_addc_co_u32_e32 v1, vcc, v6, v1, vcc
	global_load_ushort v0, v[0:1], off
	s_waitcnt vmcnt(0)
	v_cvt_f32_f16_e32 v0, v0
	v_mul_f32_e32 v20, v80, v0
	s_branch .LBB56_80
.LBB56_79:
	v_mov_b32_e32 v20, 0
.LBB56_80:
	v_add_f32_e32 v13, v13, v20
	v_add_f32_e32 v0, 0x40051340, v13
	v_max_f32_e32 v1, v8, v8
	v_max_f32_e32 v8, v1, v0
.LBB56_81:
	s_or_b64 exec, exec, s[16:17]
	ds_bpermute_b32 v0, v18, v8
	v_max_f32_e32 v1, v8, v8
	s_waitcnt lgkmcnt(0)
	v_max_f32_e32 v0, v0, v0
	v_max_f32_e32 v0, v1, v0
	ds_bpermute_b32 v1, v19, v0
	s_waitcnt lgkmcnt(0)
	v_max_f32_e32 v1, v1, v1
	v_max_f32_e32 v0, v0, v1
	ds_bpermute_b32 v1, v11, v0
	;; [unrolled: 4-line block ×4, first 2 shown]
	s_waitcnt lgkmcnt(0)
	v_max_f32_e32 v1, v1, v1
	v_max_f32_e32 v23, v0, v1
	s_and_saveexec_b64 s[16:17], s[12:13]
	s_cbranch_execz .LBB56_86
; %bb.82:
	s_and_b64 vcc, exec, s[14:15]
	s_cbranch_vccnz .LBB56_84
; %bb.83:
	buffer_load_dword v0, off, s[0:3], 0 offset:128 ; 4-byte Folded Reload
	v_mov_b32_e32 v6, s57
	s_waitcnt vmcnt(0)
	v_or_b32_e32 v0, 3, v0
	v_mul_hi_u32 v1, s52, v0
	v_add_u32_e32 v1, v0, v1
	v_lshrrev_b32_e32 v1, s53, v1
	v_mul_lo_u32 v1, v1, s54
	v_sub_u32_e32 v0, v0, v1
	v_mad_u64_u32 v[0:1], s[12:13], v0, s65, v[10:11]
	v_ashrrev_i32_e32 v1, 31, v0
	v_lshlrev_b64 v[0:1], 1, v[0:1]
	v_add_co_u32_e32 v0, vcc, s56, v0
	v_addc_co_u32_e32 v1, vcc, v6, v1, vcc
	global_load_ushort v0, v[0:1], off
	s_waitcnt vmcnt(0)
	v_cvt_f32_f16_e32 v0, v0
	v_mul_f32_e32 v10, v80, v0
	s_branch .LBB56_85
.LBB56_84:
	v_mov_b32_e32 v10, 0
.LBB56_85:
	v_add_f32_e32 v12, v12, v10
	v_add_f32_e32 v0, 0x40051340, v12
	v_max_f32_e32 v1, v9, v9
	v_max_f32_e32 v9, v1, v0
.LBB56_86:
	s_or_b64 exec, exec, s[16:17]
	ds_bpermute_b32 v0, v18, v9
	v_max_f32_e32 v1, v9, v9
	v_sub_f32_e32 v6, v15, v21
	s_mov_b32 s14, 0x3fb8aa3b
	v_mul_f32_e32 v7, 0x3fb8aa3b, v6
	s_waitcnt lgkmcnt(0)
	v_max_f32_e32 v0, v0, v0
	v_max_f32_e32 v0, v1, v0
	ds_bpermute_b32 v1, v19, v0
	v_fma_f32 v8, v6, s14, -v7
	v_rndne_f32_e32 v9, v7
	v_fmac_f32_e32 v8, 0x32a5705f, v6
	v_sub_f32_e32 v7, v7, v9
	s_waitcnt lgkmcnt(0)
	v_max_f32_e32 v1, v1, v1
	v_max_f32_e32 v0, v0, v1
	ds_bpermute_b32 v1, v11, v0
	v_add_f32_e32 v7, v7, v8
	v_cvt_i32_f32_e32 v9, v9
	v_exp_f32_e32 v7, v7
	s_mov_b64 s[16:17], src_private_base
	s_waitcnt lgkmcnt(0)
	v_max_f32_e32 v1, v1, v1
	v_max_f32_e32 v0, v0, v1
	ds_bpermute_b32 v1, v16, v0
	s_mov_b32 s15, 0xc2ce8ed0
	s_mov_b32 s16, 0x42b17218
	v_ldexp_f32 v7, v7, v9
	v_cmp_ngt_f32_e32 vcc, s15, v6
	s_waitcnt lgkmcnt(0)
	v_max_f32_e32 v1, v1, v1
	v_max_f32_e32 v0, v0, v1
	ds_bpermute_b32 v1, v17, v0
	v_cndmask_b32_e32 v7, 0, v7, vcc
	v_cmp_nlt_f32_e32 vcc, s16, v6
	v_sub_f32_e32 v6, v14, v22
	s_waitcnt lgkmcnt(0)
	v_max_f32_e32 v1, v1, v1
	v_max_f32_e32 v24, v0, v1
	v_mov_b32_e32 v0, 0x7f800000
	v_cndmask_b32_e32 v1, v0, v7, vcc
	v_mul_f32_e32 v7, 0x3fb8aa3b, v6
	v_fma_f32 v8, v6, s14, -v7
	v_rndne_f32_e32 v9, v7
	v_fmac_f32_e32 v8, 0x32a5705f, v6
	v_sub_f32_e32 v7, v7, v9
	s_waitcnt vmcnt(0)
	s_barrier
	v_add_f32_e32 v7, v7, v8
	v_cvt_i32_f32_e32 v8, v9
	buffer_load_dword v9, off, s[0:3], 0 offset:28 ; 4-byte Folded Reload
	v_exp_f32_e32 v7, v7
	v_cmp_ngt_f32_e64 s[12:13], s15, v6
	s_waitcnt vmcnt(0)
	v_cmp_gt_u32_e32 vcc, s30, v9
	v_cndmask_b32_e32 v1, 0, v1, vcc
	buffer_store_dword v1, off, s[0:3], 0 offset:56 ; 4-byte Folded Spill
	v_cvt_f16_f32_e32 v9, v1
	v_ldexp_f32 v1, v7, v8
	v_sub_f32_e32 v7, v13, v23
	v_mul_f32_e32 v8, 0x3fb8aa3b, v7
	v_fma_f32 v10, v7, s14, -v8
	v_rndne_f32_e32 v11, v8
	v_fmac_f32_e32 v10, 0x32a5705f, v7
	v_sub_f32_e32 v8, v8, v11
	v_add_f32_e32 v8, v8, v10
	v_exp_f32_e32 v8, v8
	v_cvt_i32_f32_e32 v10, v11
	v_cndmask_b32_e64 v1, 0, v1, s[12:13]
	v_cmp_nlt_f32_e64 s[12:13], s16, v6
	v_cndmask_b32_e64 v1, v0, v1, s[12:13]
	v_cndmask_b32_e32 v1, 0, v1, vcc
	buffer_store_dword v1, off, s[0:3], 0 offset:60 ; 4-byte Folded Spill
	v_cvt_f16_f32_e32 v6, v1
	v_ldexp_f32 v1, v8, v10
	v_sub_f32_e32 v8, v12, v24
	v_mul_f32_e32 v10, 0x3fb8aa3b, v8
	v_fma_f32 v11, v8, s14, -v10
	v_rndne_f32_e32 v12, v10
	v_fmac_f32_e32 v11, 0x32a5705f, v8
	v_sub_f32_e32 v10, v10, v12
	v_add_f32_e32 v10, v10, v11
	v_exp_f32_e32 v10, v10
	v_cvt_i32_f32_e32 v11, v12
	v_cmp_ngt_f32_e64 s[12:13], s15, v7
	v_cndmask_b32_e64 v1, 0, v1, s[12:13]
	v_cmp_nlt_f32_e64 s[12:13], s16, v7
	v_cndmask_b32_e64 v1, v0, v1, s[12:13]
	v_ldexp_f32 v7, v10, v11
	v_cmp_ngt_f32_e64 s[12:13], s15, v8
	v_cndmask_b32_e64 v7, 0, v7, s[12:13]
	v_cmp_nlt_f32_e64 s[12:13], s16, v8
	v_cndmask_b32_e64 v0, v0, v7, s[12:13]
	v_cndmask_b32_e32 v1, 0, v1, vcc
	v_cndmask_b32_e32 v0, 0, v0, vcc
	v_mov_b32_e32 v7, 0x2c40
	buffer_store_dword v1, off, s[0:3], 0 offset:64 ; 4-byte Folded Spill
	v_cvt_f16_f32_e32 v1, v1
	buffer_store_dword v0, off, s[0:3], 0 offset:68 ; 4-byte Folded Spill
	v_cvt_f16_f32_e32 v0, v0
	v_lshl_add_u32 v111, v41, 8, v7
	buffer_load_dword v7, off, s[0:3], 0 offset:16 ; 4-byte Folded Reload
	s_mul_hi_i32 s15, s64, s8
	v_pack_b32_f16 v1, v1, v0
	v_pack_b32_f16 v0, v9, v6
	buffer_load_dword v6, off, s[0:3], 0 offset:136 ; 4-byte Folded Reload
	s_mul_i32 s14, s64, s8
	s_lshl_b64 s[14:15], s[14:15], 2
	s_add_u32 s16, s62, s14
	v_cmp_gt_u32_e64 s[12:13], 16, v77
	s_addc_u32 s24, s63, s15
	s_waitcnt vmcnt(1)
	v_add_u32_e32 v7, v111, v7
	ds_write_b64 v7, v[0:1]
	v_mul_lo_u32 v0, s8, v77
	v_mul_u32_u24_e32 v1, 0xe0, v77
	s_waitcnt vmcnt(0)
	v_lshl_or_b32 v1, v6, 2, v1
	v_add_u32_e32 v115, 0x1cc0, v1
	v_ashrrev_i32_e32 v1, 31, v0
	v_lshlrev_b64 v[73:74], 2, v[0:1]
	s_and_saveexec_b64 s[14:15], s[12:13]
	s_cbranch_execz .LBB56_88
; %bb.87:
	v_mov_b32_e32 v0, 0
	buffer_store_dword v0, off, s[0:3], 0
	buffer_store_dword v0, off, s[0:3], 0 offset:4
	buffer_store_dword v0, off, s[0:3], 0 offset:8
	;; [unrolled: 1-line block ×3, first 2 shown]
	v_mov_b32_e32 v0, s24
	v_add_co_u32_e32 v1, vcc, s16, v73
	v_addc_co_u32_e32 v0, vcc, v0, v74, vcc
	v_add_co_u32_e32 v1, vcc, v1, v79
	v_addc_co_u32_e32 v0, vcc, 0, v0, vcc
	v_add_co_u32_e32 v6, vcc, 0xc0, v1
	v_addc_co_u32_e32 v0, vcc, 0, v0, vcc
	v_mov_b32_e32 v1, s17
	v_cndmask_b32_e64 v1, v1, v0, s[20:21]
	v_mov_b32_e32 v0, 0
	v_cndmask_b32_e64 v0, v0, v6, s[20:21]
	flat_load_dwordx4 v[10:13], v[0:1]
	s_waitcnt vmcnt(0) lgkmcnt(0)
	ds_write_b128 v115, v[10:13]
.LBB56_88:
	s_or_b64 exec, exec, s[14:15]
	v_mul_lo_u32 v0, s8, v78
	v_mul_u32_u24_e32 v6, 0xe0, v78
	s_movk_i32 s18, 0x1c80
	s_mov_b64 s[20:21], src_private_base
	v_ashrrev_i32_e32 v1, 31, v0
	v_lshlrev_b64 v[75:76], 2, v[0:1]
	v_cmp_gt_u32_e64 s[14:15], 16, v78
	v_add3_u32 v116, v6, v84, s18
	s_and_saveexec_b64 s[18:19], s[14:15]
	s_cbranch_execz .LBB56_90
; %bb.89:
	v_mov_b32_e32 v0, 0
	buffer_store_dword v0, off, s[0:3], 0
	buffer_store_dword v0, off, s[0:3], 0 offset:4
	buffer_store_dword v0, off, s[0:3], 0 offset:8
	;; [unrolled: 1-line block ×3, first 2 shown]
	v_mov_b32_e32 v0, s24
	v_add_co_u32_e32 v1, vcc, s16, v75
	v_addc_co_u32_e32 v0, vcc, v0, v76, vcc
	v_add_co_u32_e32 v1, vcc, v1, v84
	v_addc_co_u32_e32 v0, vcc, 0, v0, vcc
	;; [unrolled: 2-line block ×3, first 2 shown]
	v_mov_b32_e32 v1, s21
	v_cndmask_b32_e64 v1, v1, v0, s[10:11]
	v_mov_b32_e32 v0, 0
	v_cndmask_b32_e64 v0, v0, v6, s[10:11]
	flat_load_dwordx4 v[10:13], v[0:1]
	s_waitcnt vmcnt(0) lgkmcnt(0)
	ds_write_b128 v116, v[10:13]
.LBB56_90:
	s_or_b64 exec, exec, s[18:19]
	buffer_load_dword v0, off, s[0:3], 0 offset:132 ; 4-byte Folded Reload
	buffer_load_dword v1, off, s[0:3], 0 offset:152 ; 4-byte Folded Reload
	;; [unrolled: 1-line block ×3, first 2 shown]
	s_mov_b64 s[18:19], src_private_base
	s_movk_i32 s18, 0x1c00
	s_waitcnt vmcnt(1)
	v_add_u32_e32 v112, v1, v0
	v_mul_lo_u32 v6, s8, v112
	s_waitcnt vmcnt(0)
	v_lshlrev_b32_e32 v114, 2, v7
	v_mul_u32_u24_e32 v0, 0xe0, v112
	v_cmp_gt_u32_e64 s[10:11], 16, v112
	v_ashrrev_i32_e32 v7, 31, v6
	v_lshlrev_b64 v[71:72], 2, v[6:7]
	v_mov_b32_e32 v1, 0
	v_add3_u32 v9, v0, v114, s18
	s_and_saveexec_b64 s[22:23], s[10:11]
	s_cbranch_execz .LBB56_92
; %bb.91:
	buffer_store_dword v1, off, s[0:3], 0
	buffer_store_dword v1, off, s[0:3], 0 offset:4
	buffer_store_dword v1, off, s[0:3], 0 offset:8
	;; [unrolled: 1-line block ×3, first 2 shown]
	v_mov_b32_e32 v0, s24
	v_add_co_u32_e32 v1, vcc, s16, v71
	v_addc_co_u32_e32 v0, vcc, v0, v72, vcc
	v_add_co_u32_e32 v6, vcc, v1, v114
	v_addc_co_u32_e32 v0, vcc, 0, v0, vcc
	v_mov_b32_e32 v1, s19
	v_cmp_gt_i32_e32 vcc, s30, v112
	v_cndmask_b32_e32 v1, v1, v0, vcc
	v_mov_b32_e32 v0, 0
	v_cndmask_b32_e32 v0, v0, v6, vcc
	flat_load_dwordx4 v[10:13], v[0:1]
	s_waitcnt vmcnt(0) lgkmcnt(0)
	ds_write_b128 v9, v[10:13]
.LBB56_92:
	s_or_b64 exec, exec, s[22:23]
	v_sub_f32_e32 v0, v2, v21
	s_mov_b32 s16, 0x3fb8aa3b
	v_mul_f32_e32 v1, 0x3fb8aa3b, v0
	v_fma_f32 v2, v0, s16, -v1
	v_rndne_f32_e32 v6, v1
	v_fmac_f32_e32 v2, 0x32a5705f, v0
	v_sub_f32_e32 v1, v1, v6
	v_add_f32_e32 v1, v1, v2
	v_exp_f32_e32 v1, v1
	v_cvt_i32_f32_e32 v2, v6
	s_mov_b32 s18, 0xc2ce8ed0
	v_cmp_ngt_f32_e32 vcc, s18, v0
	s_mov_b32 s20, 0x42b17218
	v_ldexp_f32 v1, v1, v2
	v_cndmask_b32_e32 v1, 0, v1, vcc
	v_mov_b32_e32 v2, 0x7f800000
	v_cmp_nlt_f32_e32 vcc, s20, v0
	v_cndmask_b32_e32 v0, v2, v1, vcc
	v_sub_f32_e32 v3, v3, v22
	buffer_store_dword v0, off, s[0:3], 0 offset:72 ; 4-byte Folded Spill
	v_sub_f32_e32 v1, v4, v23
	buffer_store_dword v21, off, s[0:3], 0 offset:32 ; 4-byte Folded Spill
	s_nop 0
	buffer_store_dword v22, off, s[0:3], 0 offset:36 ; 4-byte Folded Spill
	buffer_store_dword v23, off, s[0:3], 0 offset:40 ; 4-byte Folded Spill
	;; [unrolled: 1-line block ×3, first 2 shown]
	v_mul_f32_e32 v6, 0x3fb8aa3b, v3
	v_fma_f32 v7, v3, s16, -v6
	v_rndne_f32_e32 v8, v6
	v_fmac_f32_e32 v7, 0x32a5705f, v3
	v_sub_f32_e32 v6, v6, v8
	v_add_f32_e32 v6, v6, v7
	v_exp_f32_e32 v6, v6
	v_cvt_i32_f32_e32 v7, v8
	v_mul_f32_e32 v4, 0x3fb8aa3b, v1
	v_cvt_f16_f32_e32 v70, v0
	v_cmp_ngt_f32_e32 vcc, s18, v3
	v_ldexp_f32 v0, v6, v7
	v_fma_f32 v6, v1, s16, -v4
	v_rndne_f32_e32 v7, v4
	v_fmac_f32_e32 v6, 0x32a5705f, v1
	v_sub_f32_e32 v4, v4, v7
	v_add_f32_e32 v4, v4, v6
	v_exp_f32_e32 v4, v4
	v_cvt_i32_f32_e32 v6, v7
	v_cndmask_b32_e32 v0, 0, v0, vcc
	v_cmp_nlt_f32_e32 vcc, s20, v3
	v_cndmask_b32_e32 v85, v2, v0, vcc
	v_ldexp_f32 v0, v4, v6
	v_cmp_ngt_f32_e32 vcc, s18, v1
	v_cndmask_b32_e32 v0, 0, v0, vcc
	v_cmp_nlt_f32_e32 vcc, s20, v1
	v_cndmask_b32_e32 v0, v2, v0, vcc
	s_waitcnt vmcnt(0) lgkmcnt(0)
	s_barrier
	v_cvt_f16_f32_e32 v86, v85
	v_cvt_f16_f32_e32 v83, v0
	v_sub_f32_e32 v3, v5, v24
	v_mul_f32_e32 v4, 0x3fb8aa3b, v3
	v_fma_f32 v5, v3, s16, -v4
	v_rndne_f32_e32 v6, v4
	v_fmac_f32_e32 v5, 0x32a5705f, v3
	v_sub_f32_e32 v4, v4, v6
	v_add_f32_e32 v4, v4, v5
	v_exp_f32_e32 v4, v4
	v_cvt_i32_f32_e32 v5, v6
	v_cmp_ngt_f32_e32 vcc, s18, v3
	s_or_b32 s16, s64, 16
	s_mul_hi_i32 s23, s16, s8
	v_ldexp_f32 v1, v4, v5
	v_cndmask_b32_e32 v1, 0, v1, vcc
	v_cmp_nlt_f32_e32 vcc, s20, v3
	v_cndmask_b32_e32 v99, v2, v1, vcc
	buffer_load_dword v2, off, s[0:3], 0 offset:16 ; 4-byte Folded Reload
	v_cvt_f16_f32_e32 v87, v99
	s_mul_i32 s22, s16, s8
	s_lshl_b64 s[22:23], s[22:23], 2
	s_add_u32 s8, s62, s22
	s_addc_u32 s16, s63, s23
	s_add_i32 s30, s30, -16
	s_waitcnt vmcnt(0)
	v_add_u32_e32 v1, 0x1800, v2
	ds_read2_b64 v[34:37], v1 offset0:128 offset1:156
	ds_read_b128 v[66:69], v111
	ds_read_b128 v[62:65], v111 offset:16
	ds_read_b128 v[54:57], v111 offset:32
	;; [unrolled: 1-line block ×3, first 2 shown]
	ds_read2_b64 v[30:33], v1 offset0:184 offset1:212
	v_add_u32_e32 v1, 0x1c00, v2
	ds_read2_b64 v[26:29], v1 offset0:112 offset1:140
	v_add_u32_e32 v1, 0x2000, v2
	ds_read2_b64 v[22:25], v1 offset0:40 offset1:68
	ds_read2_b64 v[18:21], v1 offset0:96 offset1:124
	;; [unrolled: 1-line block ×3, first 2 shown]
	ds_read_b128 v[58:61], v111 offset:64
	ds_read_b128 v[50:53], v111 offset:80
	ds_read2_b64 v[10:13], v1 offset0:208 offset1:236
	v_add_u32_e32 v1, 0x2800, v2
	ds_read2_b64 v[1:4], v1 offset0:8 offset1:36
	ds_read_b128 v[46:49], v111 offset:96
	ds_read_b128 v[38:41], v111 offset:112
	s_waitcnt lgkmcnt(0)
	s_barrier
	s_and_saveexec_b64 s[22:23], s[12:13]
	s_cbranch_execz .LBB56_94
; %bb.93:
	v_mov_b32_e32 v5, 0
	buffer_store_dword v5, off, s[0:3], 0
	buffer_store_dword v5, off, s[0:3], 0 offset:4
	buffer_store_dword v5, off, s[0:3], 0 offset:8
	;; [unrolled: 1-line block ×3, first 2 shown]
	v_mov_b32_e32 v5, s16
	v_add_co_u32_e32 v6, vcc, s8, v73
	v_addc_co_u32_e32 v5, vcc, v5, v74, vcc
	v_add_co_u32_e32 v6, vcc, v6, v79
	v_addc_co_u32_e32 v5, vcc, 0, v5, vcc
	;; [unrolled: 2-line block ×3, first 2 shown]
	v_mov_b32_e32 v6, s17
	v_cmp_gt_i32_e32 vcc, s30, v77
	v_cndmask_b32_e32 v6, v6, v5, vcc
	v_mov_b32_e32 v5, 0
	v_cndmask_b32_e32 v5, v5, v7, vcc
	flat_load_dwordx4 v[107:110], v[5:6]
	s_waitcnt vmcnt(0) lgkmcnt(0)
	ds_write_b128 v115, v[107:110]
.LBB56_94:
	s_or_b64 exec, exec, s[22:23]
	s_mov_b32 s17, 0x10001
	s_and_saveexec_b64 s[12:13], s[14:15]
	s_cbranch_execz .LBB56_96
; %bb.95:
	v_mov_b32_e32 v5, 0
	buffer_store_dword v5, off, s[0:3], 0
	buffer_store_dword v5, off, s[0:3], 0 offset:4
	buffer_store_dword v5, off, s[0:3], 0 offset:8
	;; [unrolled: 1-line block ×3, first 2 shown]
	v_mov_b32_e32 v5, s16
	v_add_co_u32_e32 v6, vcc, s8, v75
	v_addc_co_u32_e32 v5, vcc, v5, v76, vcc
	v_add_co_u32_e32 v6, vcc, v6, v84
	v_addc_co_u32_e32 v5, vcc, 0, v5, vcc
	;; [unrolled: 2-line block ×3, first 2 shown]
	v_mov_b32_e32 v6, s21
	v_cmp_gt_i32_e32 vcc, s30, v78
	v_cndmask_b32_e32 v6, v6, v5, vcc
	v_mov_b32_e32 v5, 0
	v_cndmask_b32_e32 v5, v5, v7, vcc
	flat_load_dwordx4 v[73:76], v[5:6]
	s_waitcnt vmcnt(0) lgkmcnt(0)
	ds_write_b128 v116, v[73:76]
.LBB56_96:
	s_or_b64 exec, exec, s[12:13]
	v_mul_u32_u24_e32 v113, 0x10001, v70
	v_mul_u32_u24_e32 v107, 0x10001, v86
	;; [unrolled: 1-line block ×4, first 2 shown]
	v_mul_u32_u24_sdwa v83, v66, s17 dst_sel:DWORD dst_unused:UNUSED_PAD src0_sel:WORD_0 src1_sel:DWORD
	v_mul_u32_u24_sdwa v100, v66, s17 dst_sel:DWORD dst_unused:UNUSED_PAD src0_sel:WORD_1 src1_sel:DWORD
	v_mul_u32_u24_sdwa v101, v67, s17 dst_sel:DWORD dst_unused:UNUSED_PAD src0_sel:WORD_0 src1_sel:DWORD
	v_mul_u32_u24_sdwa v110, v67, s17 dst_sel:DWORD dst_unused:UNUSED_PAD src0_sel:WORD_1 src1_sel:DWORD
	;; [unrolled: 2-line block ×32, first 2 shown]
	s_and_saveexec_b64 s[12:13], s[10:11]
	s_cbranch_execz .LBB56_98
; %bb.97:
	v_mov_b32_e32 v5, 0
	buffer_store_dword v5, off, s[0:3], 0
	buffer_store_dword v5, off, s[0:3], 0 offset:4
	buffer_store_dword v5, off, s[0:3], 0 offset:8
	;; [unrolled: 1-line block ×3, first 2 shown]
	v_mov_b32_e32 v5, s16
	v_add_co_u32_e32 v6, vcc, s8, v71
	v_addc_co_u32_e32 v5, vcc, v5, v72, vcc
	v_add_co_u32_e32 v7, vcc, v6, v114
	v_addc_co_u32_e32 v5, vcc, 0, v5, vcc
	v_mov_b32_e32 v6, s19
	v_cmp_gt_i32_e32 vcc, s30, v112
	v_cndmask_b32_e32 v6, v6, v5, vcc
	v_mov_b32_e32 v5, 0
	v_cndmask_b32_e32 v5, v5, v7, vcc
	flat_load_dwordx4 v[5:8], v[5:6]
	s_waitcnt vmcnt(0) lgkmcnt(0)
	ds_write_b128 v9, v[5:8]
.LBB56_98:
	s_or_b64 exec, exec, s[12:13]
	v_pk_mul_f16 v8, v91, v84
	v_pk_mul_f16 v9, v89, v84
	;; [unrolled: 1-line block ×8, first 2 shown]
	v_pk_fma_f16 v71, v95, v113, v71
	v_pk_fma_f16 v72, v93, v107, v72
	;; [unrolled: 1-line block ×113, first 2 shown]
	buffer_load_dword v32, off, s[0:3], 0 offset:56 ; 4-byte Folded Reload
	buffer_load_dword v1, off, s[0:3], 0 offset:72 ; 4-byte Folded Reload
	;; [unrolled: 1-line block ×5, first 2 shown]
	s_waitcnt vmcnt(0) lgkmcnt(0)
	s_barrier
	buffer_load_dword v31, off, s[0:3], 0 offset:16 ; 4-byte Folded Reload
	v_pk_fma_f16 v5, v13, v46, v5
	v_pk_fma_f16 v6, v13, v47, v6
	;; [unrolled: 1-line block ×15, first 2 shown]
	s_mov_b32 s8, 0x10001
	v_fmac_f32_e32 v32, v104, v1
	v_fmac_f32_e32 v33, v103, v85
	;; [unrolled: 1-line block ×4, first 2 shown]
	v_mov_b32_e32 v105, v35
	v_mov_b32_e32 v106, v34
	;; [unrolled: 1-line block ×3, first 2 shown]
	s_waitcnt vmcnt(0)
	v_add_u32_e32 v28, 0x1800, v31
	ds_read2_b64 v[0:3], v28 offset0:128 offset1:156
	ds_read_b128 v[4:7], v111 offset:128
	ds_read_b128 v[8:11], v111 offset:144
	;; [unrolled: 1-line block ×4, first 2 shown]
	v_mov_b32_e32 v104, v32
	s_waitcnt lgkmcnt(3)
	v_mul_u32_u24_sdwa v29, v4, s8 dst_sel:DWORD dst_unused:UNUSED_PAD src0_sel:WORD_0 src1_sel:DWORD
	v_mul_u32_u24_sdwa v4, v4, s8 dst_sel:DWORD dst_unused:UNUSED_PAD src0_sel:WORD_1 src1_sel:DWORD
	v_mul_u32_u24_sdwa v30, v5, s8 dst_sel:DWORD dst_unused:UNUSED_PAD src0_sel:WORD_0 src1_sel:DWORD
	v_mul_u32_u24_sdwa v5, v5, s8 dst_sel:DWORD dst_unused:UNUSED_PAD src0_sel:WORD_1 src1_sel:DWORD
	v_pk_fma_f16 v20, v0, v29, v20
	v_pk_fma_f16 v21, v0, v4, v21
	v_pk_fma_f16 v22, v0, v30, v22
	v_pk_fma_f16 v0, v0, v5, v23
	v_pk_fma_f16 v23, v1, v29, v24
	v_pk_fma_f16 v4, v1, v4, v25
	v_pk_fma_f16 v24, v1, v30, v26
	v_pk_fma_f16 v1, v1, v5, v27
	v_mul_u32_u24_sdwa v5, v6, s8 dst_sel:DWORD dst_unused:UNUSED_PAD src0_sel:WORD_0 src1_sel:DWORD
	v_mul_u32_u24_sdwa v6, v6, s8 dst_sel:DWORD dst_unused:UNUSED_PAD src0_sel:WORD_1 src1_sel:DWORD
	v_mul_u32_u24_sdwa v25, v7, s8 dst_sel:DWORD dst_unused:UNUSED_PAD src0_sel:WORD_0 src1_sel:DWORD
	v_mul_u32_u24_sdwa v7, v7, s8 dst_sel:DWORD dst_unused:UNUSED_PAD src0_sel:WORD_1 src1_sel:DWORD
	v_pk_fma_f16 v20, v2, v5, v20
	v_pk_fma_f16 v21, v2, v6, v21
	;; [unrolled: 1-line block ×8, first 2 shown]
	ds_read2_b64 v[0:3], v28 offset0:184 offset1:212
	s_waitcnt lgkmcnt(3)
	v_mul_u32_u24_sdwa v23, v8, s8 dst_sel:DWORD dst_unused:UNUSED_PAD src0_sel:WORD_0 src1_sel:DWORD
	v_mul_u32_u24_sdwa v8, v8, s8 dst_sel:DWORD dst_unused:UNUSED_PAD src0_sel:WORD_1 src1_sel:DWORD
	v_mul_u32_u24_sdwa v24, v9, s8 dst_sel:DWORD dst_unused:UNUSED_PAD src0_sel:WORD_0 src1_sel:DWORD
	v_mul_u32_u24_sdwa v9, v9, s8 dst_sel:DWORD dst_unused:UNUSED_PAD src0_sel:WORD_1 src1_sel:DWORD
	s_waitcnt lgkmcnt(0)
	v_pk_fma_f16 v20, v0, v23, v20
	v_pk_fma_f16 v21, v0, v8, v21
	;; [unrolled: 1-line block ×8, first 2 shown]
	v_mul_u32_u24_sdwa v7, v10, s8 dst_sel:DWORD dst_unused:UNUSED_PAD src0_sel:WORD_0 src1_sel:DWORD
	v_mul_u32_u24_sdwa v8, v10, s8 dst_sel:DWORD dst_unused:UNUSED_PAD src0_sel:WORD_1 src1_sel:DWORD
	v_mul_u32_u24_sdwa v9, v11, s8 dst_sel:DWORD dst_unused:UNUSED_PAD src0_sel:WORD_0 src1_sel:DWORD
	v_mul_u32_u24_sdwa v10, v11, s8 dst_sel:DWORD dst_unused:UNUSED_PAD src0_sel:WORD_1 src1_sel:DWORD
	v_pk_fma_f16 v11, v2, v7, v20
	v_pk_fma_f16 v20, v2, v8, v21
	;; [unrolled: 1-line block ×4, first 2 shown]
	v_add_u32_e32 v0, 0x1c00, v31
	v_pk_fma_f16 v5, v3, v7, v5
	v_pk_fma_f16 v4, v3, v8, v4
	;; [unrolled: 1-line block ×4, first 2 shown]
	ds_read2_b64 v[0:3], v0 offset0:112 offset1:140
	v_mul_u32_u24_sdwa v8, v12, s8 dst_sel:DWORD dst_unused:UNUSED_PAD src0_sel:WORD_0 src1_sel:DWORD
	v_mul_u32_u24_sdwa v9, v12, s8 dst_sel:DWORD dst_unused:UNUSED_PAD src0_sel:WORD_1 src1_sel:DWORD
	v_mul_u32_u24_sdwa v10, v13, s8 dst_sel:DWORD dst_unused:UNUSED_PAD src0_sel:WORD_0 src1_sel:DWORD
	v_mul_u32_u24_sdwa v12, v13, s8 dst_sel:DWORD dst_unused:UNUSED_PAD src0_sel:WORD_1 src1_sel:DWORD
	s_waitcnt lgkmcnt(0)
	v_pk_fma_f16 v11, v0, v8, v11
	v_pk_fma_f16 v13, v0, v9, v20
	;; [unrolled: 1-line block ×4, first 2 shown]
	v_mul_u32_u24_sdwa v8, v14, s8 dst_sel:DWORD dst_unused:UNUSED_PAD src0_sel:WORD_1 src1_sel:DWORD
	v_pk_fma_f16 v20, v0, v10, v21
	v_pk_fma_f16 v0, v0, v12, v22
	;; [unrolled: 1-line block ×4, first 2 shown]
	v_mul_u32_u24_sdwa v7, v14, s8 dst_sel:DWORD dst_unused:UNUSED_PAD src0_sel:WORD_0 src1_sel:DWORD
	v_mul_u32_u24_sdwa v9, v15, s8 dst_sel:DWORD dst_unused:UNUSED_PAD src0_sel:WORD_0 src1_sel:DWORD
	v_mul_u32_u24_sdwa v10, v15, s8 dst_sel:DWORD dst_unused:UNUSED_PAD src0_sel:WORD_1 src1_sel:DWORD
	v_pk_fma_f16 v12, v2, v8, v13
	v_pk_fma_f16 v4, v3, v8, v4
	v_add_u32_e32 v8, 0x2000, v31
	v_pk_fma_f16 v11, v2, v7, v11
	v_pk_fma_f16 v13, v2, v9, v20
	;; [unrolled: 1-line block ×6, first 2 shown]
	ds_read2_b64 v[0:3], v8 offset0:40 offset1:68
	v_mul_u32_u24_sdwa v9, v16, s8 dst_sel:DWORD dst_unused:UNUSED_PAD src0_sel:WORD_0 src1_sel:DWORD
	v_mul_u32_u24_sdwa v10, v16, s8 dst_sel:DWORD dst_unused:UNUSED_PAD src0_sel:WORD_1 src1_sel:DWORD
	v_mul_u32_u24_sdwa v15, v17, s8 dst_sel:DWORD dst_unused:UNUSED_PAD src0_sel:WORD_0 src1_sel:DWORD
	v_mul_u32_u24_sdwa v16, v17, s8 dst_sel:DWORD dst_unused:UNUSED_PAD src0_sel:WORD_1 src1_sel:DWORD
	s_waitcnt lgkmcnt(0)
	v_pk_fma_f16 v11, v0, v9, v11
	v_pk_fma_f16 v12, v0, v10, v12
	v_pk_fma_f16 v13, v0, v15, v13
	v_pk_fma_f16 v0, v0, v16, v14
	v_pk_fma_f16 v5, v1, v9, v5
	v_pk_fma_f16 v4, v1, v10, v4
	v_pk_fma_f16 v6, v1, v15, v6
	v_pk_fma_f16 v1, v1, v16, v7
	v_mul_u32_u24_sdwa v7, v18, s8 dst_sel:DWORD dst_unused:UNUSED_PAD src0_sel:WORD_0 src1_sel:DWORD
	v_mul_u32_u24_sdwa v9, v18, s8 dst_sel:DWORD dst_unused:UNUSED_PAD src0_sel:WORD_1 src1_sel:DWORD
	v_mul_u32_u24_sdwa v10, v19, s8 dst_sel:DWORD dst_unused:UNUSED_PAD src0_sel:WORD_0 src1_sel:DWORD
	v_mul_u32_u24_sdwa v14, v19, s8 dst_sel:DWORD dst_unused:UNUSED_PAD src0_sel:WORD_1 src1_sel:DWORD
	v_pk_fma_f16 v11, v2, v7, v11
	v_pk_fma_f16 v12, v2, v9, v12
	v_pk_fma_f16 v13, v2, v10, v13
	v_pk_fma_f16 v15, v2, v14, v0
	v_pk_fma_f16 v16, v3, v7, v5
	v_pk_fma_f16 v9, v3, v9, v4
	v_pk_fma_f16 v10, v3, v10, v6
	v_pk_fma_f16 v14, v3, v14, v1
	ds_read2_b64 v[0:3], v8 offset0:96 offset1:124
	ds_read_b128 v[4:7], v111 offset:192
	s_waitcnt lgkmcnt(0)
	v_mul_u32_u24_sdwa v17, v4, s8 dst_sel:DWORD dst_unused:UNUSED_PAD src0_sel:WORD_0 src1_sel:DWORD
	v_mul_u32_u24_sdwa v4, v4, s8 dst_sel:DWORD dst_unused:UNUSED_PAD src0_sel:WORD_1 src1_sel:DWORD
	v_mul_u32_u24_sdwa v18, v5, s8 dst_sel:DWORD dst_unused:UNUSED_PAD src0_sel:WORD_0 src1_sel:DWORD
	v_mul_u32_u24_sdwa v5, v5, s8 dst_sel:DWORD dst_unused:UNUSED_PAD src0_sel:WORD_1 src1_sel:DWORD
	v_pk_fma_f16 v11, v0, v17, v11
	v_pk_fma_f16 v12, v0, v4, v12
	v_pk_fma_f16 v13, v0, v18, v13
	v_pk_fma_f16 v0, v0, v5, v15
	v_pk_fma_f16 v15, v1, v17, v16
	v_pk_fma_f16 v4, v1, v4, v9
	v_pk_fma_f16 v9, v1, v18, v10
	v_pk_fma_f16 v1, v1, v5, v14
	v_mul_u32_u24_sdwa v5, v6, s8 dst_sel:DWORD dst_unused:UNUSED_PAD src0_sel:WORD_0 src1_sel:DWORD
	v_mul_u32_u24_sdwa v6, v6, s8 dst_sel:DWORD dst_unused:UNUSED_PAD src0_sel:WORD_1 src1_sel:DWORD
	v_mul_u32_u24_sdwa v10, v7, s8 dst_sel:DWORD dst_unused:UNUSED_PAD src0_sel:WORD_0 src1_sel:DWORD
	v_mul_u32_u24_sdwa v7, v7, s8 dst_sel:DWORD dst_unused:UNUSED_PAD src0_sel:WORD_1 src1_sel:DWORD
	v_pk_fma_f16 v11, v2, v5, v11
	v_pk_fma_f16 v12, v2, v6, v12
	v_pk_fma_f16 v13, v2, v10, v13
	v_pk_fma_f16 v14, v2, v7, v0
	v_pk_fma_f16 v15, v3, v5, v15
	v_pk_fma_f16 v16, v3, v6, v4
	v_pk_fma_f16 v9, v3, v10, v9
	v_pk_fma_f16 v10, v3, v7, v1
	ds_read2_b64 v[0:3], v8 offset0:152 offset1:180
	ds_read_b128 v[4:7], v111 offset:208
	s_waitcnt lgkmcnt(0)
	v_mul_u32_u24_sdwa v17, v4, s8 dst_sel:DWORD dst_unused:UNUSED_PAD src0_sel:WORD_0 src1_sel:DWORD
	v_mul_u32_u24_sdwa v4, v4, s8 dst_sel:DWORD dst_unused:UNUSED_PAD src0_sel:WORD_1 src1_sel:DWORD
	v_mul_u32_u24_sdwa v18, v5, s8 dst_sel:DWORD dst_unused:UNUSED_PAD src0_sel:WORD_0 src1_sel:DWORD
	v_mul_u32_u24_sdwa v5, v5, s8 dst_sel:DWORD dst_unused:UNUSED_PAD src0_sel:WORD_1 src1_sel:DWORD
	v_pk_fma_f16 v11, v0, v17, v11
	v_pk_fma_f16 v12, v0, v4, v12
	v_pk_fma_f16 v13, v0, v18, v13
	v_pk_fma_f16 v0, v0, v5, v14
	v_pk_fma_f16 v14, v1, v17, v15
	v_pk_fma_f16 v4, v1, v4, v16
	v_pk_fma_f16 v9, v1, v18, v9
	v_pk_fma_f16 v1, v1, v5, v10
	v_mul_u32_u24_sdwa v5, v6, s8 dst_sel:DWORD dst_unused:UNUSED_PAD src0_sel:WORD_0 src1_sel:DWORD
	v_mul_u32_u24_sdwa v6, v6, s8 dst_sel:DWORD dst_unused:UNUSED_PAD src0_sel:WORD_1 src1_sel:DWORD
	v_mul_u32_u24_sdwa v10, v7, s8 dst_sel:DWORD dst_unused:UNUSED_PAD src0_sel:WORD_0 src1_sel:DWORD
	v_mul_u32_u24_sdwa v7, v7, s8 dst_sel:DWORD dst_unused:UNUSED_PAD src0_sel:WORD_1 src1_sel:DWORD
	v_pk_fma_f16 v11, v2, v5, v11
	v_pk_fma_f16 v12, v2, v6, v12
	v_pk_fma_f16 v13, v2, v10, v13
	v_pk_fma_f16 v15, v2, v7, v0
	v_pk_fma_f16 v14, v3, v5, v14
	v_pk_fma_f16 v16, v3, v6, v4
	v_pk_fma_f16 v9, v3, v10, v9
	v_pk_fma_f16 v10, v3, v7, v1
	ds_read2_b64 v[0:3], v8 offset0:208 offset1:236
	ds_read_b128 v[4:7], v111 offset:224
	s_waitcnt lgkmcnt(0)
	v_mul_u32_u24_sdwa v8, v4, s8 dst_sel:DWORD dst_unused:UNUSED_PAD src0_sel:WORD_0 src1_sel:DWORD
	v_mul_u32_u24_sdwa v4, v4, s8 dst_sel:DWORD dst_unused:UNUSED_PAD src0_sel:WORD_1 src1_sel:DWORD
	v_mul_u32_u24_sdwa v17, v5, s8 dst_sel:DWORD dst_unused:UNUSED_PAD src0_sel:WORD_0 src1_sel:DWORD
	v_mul_u32_u24_sdwa v5, v5, s8 dst_sel:DWORD dst_unused:UNUSED_PAD src0_sel:WORD_1 src1_sel:DWORD
	v_pk_fma_f16 v11, v0, v8, v11
	v_pk_fma_f16 v12, v0, v4, v12
	;; [unrolled: 1-line block ×8, first 2 shown]
	v_mul_u32_u24_sdwa v10, v7, s8 dst_sel:DWORD dst_unused:UNUSED_PAD src0_sel:WORD_0 src1_sel:DWORD
	v_mul_u32_u24_sdwa v7, v7, s8 dst_sel:DWORD dst_unused:UNUSED_PAD src0_sel:WORD_1 src1_sel:DWORD
	v_mul_u32_u24_sdwa v5, v6, s8 dst_sel:DWORD dst_unused:UNUSED_PAD src0_sel:WORD_0 src1_sel:DWORD
	v_mul_u32_u24_sdwa v6, v6, s8 dst_sel:DWORD dst_unused:UNUSED_PAD src0_sel:WORD_1 src1_sel:DWORD
	v_pk_fma_f16 v14, v2, v7, v0
	v_add_u32_e32 v0, 0x2800, v31
	v_pk_fma_f16 v11, v2, v5, v11
	v_pk_fma_f16 v12, v2, v6, v12
	;; [unrolled: 1-line block ×7, first 2 shown]
	ds_read2_b64 v[0:3], v0 offset0:8 offset1:36
	ds_read_b128 v[4:7], v111 offset:240
	s_waitcnt lgkmcnt(0)
	s_barrier
	v_mul_u32_u24_sdwa v16, v4, s8 dst_sel:DWORD dst_unused:UNUSED_PAD src0_sel:WORD_0 src1_sel:DWORD
	v_mul_u32_u24_sdwa v4, v4, s8 dst_sel:DWORD dst_unused:UNUSED_PAD src0_sel:WORD_1 src1_sel:DWORD
	v_mul_u32_u24_sdwa v17, v5, s8 dst_sel:DWORD dst_unused:UNUSED_PAD src0_sel:WORD_0 src1_sel:DWORD
	v_mul_u32_u24_sdwa v5, v5, s8 dst_sel:DWORD dst_unused:UNUSED_PAD src0_sel:WORD_1 src1_sel:DWORD
	v_pk_fma_f16 v11, v0, v16, v11
	v_pk_fma_f16 v12, v0, v4, v12
	;; [unrolled: 1-line block ×8, first 2 shown]
	v_mul_u32_u24_sdwa v5, v6, s8 dst_sel:DWORD dst_unused:UNUSED_PAD src0_sel:WORD_0 src1_sel:DWORD
	v_mul_u32_u24_sdwa v6, v6, s8 dst_sel:DWORD dst_unused:UNUSED_PAD src0_sel:WORD_1 src1_sel:DWORD
	v_mul_u32_u24_sdwa v10, v7, s8 dst_sel:DWORD dst_unused:UNUSED_PAD src0_sel:WORD_0 src1_sel:DWORD
	v_mul_u32_u24_sdwa v7, v7, s8 dst_sel:DWORD dst_unused:UNUSED_PAD src0_sel:WORD_1 src1_sel:DWORD
	v_pk_fma_f16 v95, v2, v5, v11
	v_pk_fma_f16 v93, v2, v6, v12
	;; [unrolled: 1-line block ×8, first 2 shown]
	buffer_load_dword v2, off, s[0:3], 0 offset:32 ; 4-byte Folded Reload
	buffer_load_dword v3, off, s[0:3], 0 offset:36 ; 4-byte Folded Reload
	;; [unrolled: 1-line block ×4, first 2 shown]
.LBB56_99:
	buffer_load_dword v6, off, s[0:3], 0 offset:20 ; 4-byte Folded Reload
	buffer_load_dword v8, off, s[0:3], 0 offset:24 ; 4-byte Folded Reload
	;; [unrolled: 1-line block ×4, first 2 shown]
	v_cmp_lt_i32_e32 vcc, v92, v82
	v_cndmask_b32_e32 v0, v81, v92, vcc
	v_lshlrev_b32_e32 v0, 2, v0
	ds_bpermute_b32 v1, v0, v104
	ds_bpermute_b32 v11, v0, v103
	;; [unrolled: 1-line block ×4, first 2 shown]
	s_cmp_eq_u64 s[44:45], 0
	s_waitcnt lgkmcnt(3)
	v_add_f32_e32 v1, v104, v1
	s_waitcnt lgkmcnt(2)
	v_add_f32_e32 v11, v103, v11
	;; [unrolled: 2-line block ×4, first 2 shown]
	s_cselect_b64 s[10:11], -1, 0
	s_cmp_lg_u32 s9, 0
	s_cselect_b64 s[12:13], -1, 0
	s_or_b64 s[10:11], s[12:13], s[10:11]
	s_waitcnt vmcnt(3)
	v_cmp_lt_i32_e32 vcc, v6, v82
	v_cndmask_b32_e32 v6, v81, v6, vcc
	v_lshlrev_b32_e32 v6, 2, v6
	ds_bpermute_b32 v7, v6, v1
	ds_bpermute_b32 v13, v6, v11
	ds_bpermute_b32 v14, v6, v12
	ds_bpermute_b32 v6, v6, v0
	s_waitcnt vmcnt(2)
	v_cmp_lt_i32_e32 vcc, v8, v82
	v_cndmask_b32_e32 v8, v81, v8, vcc
	v_lshlrev_b32_e32 v8, 2, v8
	s_waitcnt lgkmcnt(3)
	v_add_f32_e32 v1, v1, v7
	s_waitcnt lgkmcnt(2)
	v_add_f32_e32 v11, v11, v13
	s_waitcnt lgkmcnt(1)
	v_add_f32_e32 v12, v12, v14
	s_waitcnt lgkmcnt(0)
	v_add_f32_e32 v0, v0, v6
	ds_bpermute_b32 v7, v8, v1
	ds_bpermute_b32 v13, v8, v11
	ds_bpermute_b32 v14, v8, v12
	ds_bpermute_b32 v6, v8, v0
	s_waitcnt vmcnt(1)
	v_cmp_lt_i32_e32 vcc, v9, v82
	v_cndmask_b32_e32 v9, v81, v9, vcc
	v_lshlrev_b32_e32 v9, 2, v9
	s_waitcnt lgkmcnt(3)
	v_add_f32_e32 v1, v1, v7
	s_waitcnt lgkmcnt(2)
	v_add_f32_e32 v8, v11, v13
	s_waitcnt lgkmcnt(1)
	v_add_f32_e32 v12, v12, v14
	s_waitcnt lgkmcnt(0)
	v_add_f32_e32 v0, v0, v6
	;; [unrolled: 16-line block ×3, first 2 shown]
	ds_bpermute_b32 v7, v10, v1
	ds_bpermute_b32 v9, v10, v8
	ds_bpermute_b32 v12, v10, v11
	ds_bpermute_b32 v10, v10, v0
	s_and_b64 vcc, exec, s[10:11]
	s_waitcnt lgkmcnt(3)
	v_add_f32_e32 v6, v1, v7
	s_waitcnt lgkmcnt(2)
	v_add_f32_e32 v7, v8, v9
	;; [unrolled: 2-line block ×4, first 2 shown]
	s_cbranch_vccnz .LBB56_102
; %bb.100:
	s_lshl_b64 s[10:11], s[42:43], 2
	s_add_u32 s10, s44, s10
	s_addc_u32 s11, s45, s11
	v_mov_b32_e32 v0, 0
	global_load_dword v0, v0, s[10:11]
	v_max_f32_e32 v1, v2, v2
	v_max_f32_e32 v10, v3, v3
	s_mov_b32 s11, 0x3fb8aa3b
	v_max_f32_e32 v11, v4, v4
	s_mov_b32 s10, 0xc2ce8ed0
	s_mov_b32 s8, 0x42b17218
	v_mov_b32_e32 v13, 0x7f800000
	s_waitcnt vmcnt(0)
	v_max_f32_e32 v17, v0, v0
	v_max_f32_e32 v14, v1, v17
	v_sub_f32_e32 v1, v2, v14
	v_max_f32_e32 v15, v10, v17
	v_sub_f32_e32 v2, v0, v14
	v_mul_f32_e32 v10, 0x3fb8aa3b, v1
	v_sub_f32_e32 v3, v3, v15
	v_mul_f32_e32 v18, 0x3fb8aa3b, v2
	v_fma_f32 v23, v1, s11, -v10
	v_rndne_f32_e32 v24, v10
	v_max_f32_e32 v16, v11, v17
	v_sub_f32_e32 v11, v0, v15
	v_mul_f32_e32 v19, 0x3fb8aa3b, v3
	v_fma_f32 v25, v2, s11, -v18
	v_rndne_f32_e32 v26, v18
	v_fmac_f32_e32 v23, 0x32a5705f, v1
	v_sub_f32_e32 v10, v10, v24
	v_sub_f32_e32 v4, v4, v16
	v_mul_f32_e32 v20, 0x3fb8aa3b, v11
	v_fma_f32 v27, v3, s11, -v19
	v_rndne_f32_e32 v28, v19
	v_fmac_f32_e32 v25, 0x32a5705f, v2
	v_sub_f32_e32 v18, v18, v26
	v_add_f32_e32 v10, v10, v23
	v_mul_f32_e32 v21, 0x3fb8aa3b, v4
	v_fma_f32 v29, v11, s11, -v20
	v_rndne_f32_e32 v30, v20
	v_cvt_i32_f32_e32 v24, v24
	v_fmac_f32_e32 v27, 0x32a5705f, v3
	v_sub_f32_e32 v19, v19, v28
	v_add_f32_e32 v18, v18, v25
	v_exp_f32_e32 v10, v10
	v_fma_f32 v31, v4, s11, -v21
	v_rndne_f32_e32 v32, v21
	v_cvt_i32_f32_e32 v26, v26
	v_fmac_f32_e32 v29, 0x32a5705f, v11
	v_sub_f32_e32 v20, v20, v30
	v_add_f32_e32 v19, v19, v27
	v_exp_f32_e32 v18, v18
	v_cvt_i32_f32_e32 v28, v28
	v_fmac_f32_e32 v31, 0x32a5705f, v4
	v_sub_f32_e32 v21, v21, v32
	v_add_f32_e32 v20, v20, v29
	v_exp_f32_e32 v19, v19
	v_cvt_i32_f32_e32 v30, v30
	v_add_f32_e32 v21, v21, v31
	v_exp_f32_e32 v20, v20
	v_cvt_i32_f32_e32 v32, v32
	v_exp_f32_e32 v21, v21
	v_ldexp_f32 v10, v10, v24
	v_cmp_ngt_f32_e32 vcc, s10, v1
	v_ldexp_f32 v18, v18, v26
	v_cndmask_b32_e32 v10, 0, v10, vcc
	v_cmp_ngt_f32_e32 vcc, s10, v2
	v_ldexp_f32 v19, v19, v28
	v_cndmask_b32_e32 v18, 0, v18, vcc
	;; [unrolled: 3-line block ×4, first 2 shown]
	v_cmp_ngt_f32_e32 vcc, s10, v4
	v_sub_f32_e32 v12, v0, v16
	v_cndmask_b32_e32 v21, 0, v21, vcc
	v_cmp_nlt_f32_e32 vcc, s8, v1
	v_mul_f32_e32 v22, 0x3fb8aa3b, v12
	v_cndmask_b32_e32 v1, v13, v10, vcc
	v_cmp_nlt_f32_e32 vcc, s8, v2
	v_fma_f32 v33, v12, s11, -v22
	v_rndne_f32_e32 v34, v22
	v_cndmask_b32_e32 v10, v13, v18, vcc
	v_cmp_nlt_f32_e32 vcc, s8, v3
	v_fmac_f32_e32 v33, 0x32a5705f, v12
	v_sub_f32_e32 v22, v22, v34
	v_cndmask_b32_e32 v2, v13, v19, vcc
	v_add_f32_e32 v22, v22, v33
	v_cvt_f16_f32_e32 v3, v1
	v_cvt_f16_f32_e32 v18, v2
	v_cvt_i32_f32_e32 v34, v34
	v_exp_f32_e32 v22, v22
	v_cmp_nlt_f32_e32 vcc, s8, v11
	v_cndmask_b32_e32 v11, v13, v20, vcc
	v_fmac_f32_e32 v10, v6, v1
	v_fmac_f32_e32 v11, v7, v2
	v_mul_u32_u24_e32 v1, 0x10001, v3
	v_mul_u32_u24_e32 v2, 0x10001, v18
	v_cmp_nlt_f32_e32 vcc, s8, v4
	v_pk_mul_f16 v95, v95, v1
	v_pk_mul_f16 v97, v97, v1
	;; [unrolled: 1-line block ×4, first 2 shown]
	v_cndmask_b32_e32 v1, v13, v21, vcc
	v_ldexp_f32 v2, v22, v34
	v_cmp_ngt_f32_e32 vcc, s10, v12
	v_cndmask_b32_e32 v2, 0, v2, vcc
	v_cmp_nlt_f32_e32 vcc, s8, v12
	v_cndmask_b32_e32 v12, v13, v2, vcc
	v_max_f32_e32 v2, v5, v5
	v_max_f32_e32 v17, v2, v17
	v_sub_f32_e32 v2, v5, v17
	v_mul_f32_e32 v3, 0x3fb8aa3b, v2
	v_fma_f32 v4, v2, s11, -v3
	v_rndne_f32_e32 v5, v3
	v_fmac_f32_e32 v4, 0x32a5705f, v2
	v_sub_f32_e32 v3, v3, v5
	v_fmac_f32_e32 v12, v8, v1
	v_cvt_f16_f32_e32 v1, v1
	v_add_f32_e32 v3, v3, v4
	v_exp_f32_e32 v3, v3
	v_cvt_i32_f32_e32 v4, v5
	v_mul_u32_u24_e32 v1, 0x10001, v1
	v_sub_f32_e32 v0, v0, v17
	v_pk_mul_f16 v90, v90, v1
	v_pk_mul_f16 v94, v94, v1
	v_ldexp_f32 v1, v3, v4
	v_mul_f32_e32 v3, 0x3fb8aa3b, v0
	v_fma_f32 v4, v0, s11, -v3
	v_rndne_f32_e32 v5, v3
	v_fmac_f32_e32 v4, 0x32a5705f, v0
	v_sub_f32_e32 v3, v3, v5
	v_add_f32_e32 v3, v3, v4
	v_exp_f32_e32 v3, v3
	v_cvt_i32_f32_e32 v4, v5
	v_cmp_ngt_f32_e32 vcc, s10, v2
	v_cndmask_b32_e32 v1, 0, v1, vcc
	v_cmp_nlt_f32_e32 vcc, s8, v2
	v_cndmask_b32_e32 v1, v13, v1, vcc
	v_ldexp_f32 v2, v3, v4
	v_cvt_f16_f32_e32 v3, v1
	v_cmp_ngt_f32_e32 vcc, s10, v0
	v_cndmask_b32_e32 v2, 0, v2, vcc
	v_cmp_nlt_f32_e32 vcc, s8, v0
	v_cndmask_b32_e32 v13, v13, v2, vcc
	v_fmac_f32_e32 v13, v9, v1
	v_mul_u32_u24_e32 v0, 0x10001, v3
	v_mov_b32_e32 v6, v10
	v_mov_b32_e32 v2, v14
	v_pk_mul_f16 v91, v91, v0
	v_pk_mul_f16 v89, v89, v0
	v_mov_b32_e32 v7, v11
	v_mov_b32_e32 v8, v12
	;; [unrolled: 1-line block ×6, first 2 shown]
	buffer_load_dword v0, off, s[0:3], 0 offset:128 ; 4-byte Folded Reload
	s_waitcnt vmcnt(0)
	v_cmp_gt_i32_e32 vcc, s54, v0
	s_and_saveexec_b64 s[10:11], vcc
	s_cbranch_execnz .LBB56_103
.LBB56_101:
	s_endpgm
.LBB56_102:
	v_mov_b32_e32 v10, v6
	v_mov_b32_e32 v11, v7
	;; [unrolled: 1-line block ×4, first 2 shown]
	buffer_load_dword v0, off, s[0:3], 0 offset:128 ; 4-byte Folded Reload
	s_waitcnt vmcnt(0)
	v_cmp_gt_i32_e32 vcc, s54, v0
	s_and_saveexec_b64 s[10:11], vcc
	s_cbranch_execz .LBB56_101
.LBB56_103:
	s_load_dword s8, s[4:5], 0xd4
	v_mov_b32_e32 v1, 1.0
	s_waitcnt lgkmcnt(0)
	s_cmp_lg_u32 s8, 1
	s_cselect_b64 s[4:5], -1, 0
	s_cmp_eq_u32 s8, 1
	s_cselect_b64 s[12:13], -1, 0
	s_and_b64 vcc, exec, s[4:5]
	s_cbranch_vccnz .LBB56_105
; %bb.104:
	v_div_scale_f32 v0, s[10:11], v10, v10, 1.0
	v_div_scale_f32 v1, vcc, 1.0, v10, 1.0
	v_rcp_f32_e32 v14, v0
	v_fma_f32 v15, -v0, v14, 1.0
	v_fmac_f32_e32 v14, v15, v14
	v_mul_f32_e32 v15, v1, v14
	v_fma_f32 v16, -v0, v15, v1
	v_fmac_f32_e32 v15, v16, v14
	v_fma_f32 v0, -v0, v15, v1
	v_div_fmas_f32 v0, v0, v14, v15
	v_div_fixup_f32 v1, v0, v10, 1.0
.LBB56_105:
	buffer_load_dword v0, off, s[0:3], 0 offset:132 ; 4-byte Folded Reload
	s_mul_i32 s14, s33, s54
	s_add_i32 s14, s14, s59
	s_waitcnt vmcnt(0)
	v_add_u32_e32 v0, s14, v0
	v_mul_lo_u32 v0, v0, s55
	v_add_u32_e32 v0, s42, v0
	v_mul_lo_u32 v0, s8, v0
	v_add_u32_e32 v14, s9, v0
	s_and_saveexec_b64 s[10:11], s[6:7]
	s_cbranch_execz .LBB56_107
; %bb.106:
	buffer_load_dword v15, off, s[0:3], 0 offset:172 ; 4-byte Folded Reload
	buffer_load_dword v16, off, s[0:3], 0 offset:176 ; 4-byte Folded Reload
	s_movk_i32 s15, 0x70
	v_mov_b32_e32 v0, s49
	v_cvt_f32_f16_e32 v10, v97
	v_cvt_f32_f16_e32 v21, v95
	v_mul_f32_e32 v17, v1, v10
	s_waitcnt vmcnt(0)
	v_mad_u64_u32 v[15:16], s[16:17], v14, s15, v[15:16]
	v_mov_b32_e32 v16, 0
	v_lshlrev_b64 v[15:16], 2, v[15:16]
	v_add_co_u32_e32 v19, vcc, s48, v15
	v_addc_co_u32_e32 v20, vcc, v0, v16, vcc
	v_cvt_f32_f16_sdwa v0, v97 dst_sel:DWORD dst_unused:UNUSED_PAD src0_sel:WORD_1
	v_cvt_f32_f16_sdwa v15, v95 dst_sel:DWORD dst_unused:UNUSED_PAD src0_sel:WORD_1
	v_mul_f32_e32 v18, v1, v0
	v_mul_f32_e32 v16, v1, v15
	;; [unrolled: 1-line block ×3, first 2 shown]
	global_store_dwordx4 v[19:20], v[15:18], off
.LBB56_107:
	s_or_b64 exec, exec, s[10:11]
	buffer_load_dword v0, off, s[0:3], 0 offset:28 ; 4-byte Folded Reload
	s_waitcnt vmcnt(0)
	v_cmp_eq_u32_e32 vcc, 0, v0
	s_and_b64 s[10:11], vcc, s[4:5]
	s_and_saveexec_b64 s[4:5], s[10:11]
	s_cbranch_execz .LBB56_109
; %bb.108:
	v_ashrrev_i32_e32 v15, 31, v14
	v_lshlrev_b64 v[0:1], 3, v[14:15]
	v_mov_b32_e32 v10, s51
	v_add_co_u32_e32 v0, vcc, s50, v0
	v_addc_co_u32_e32 v1, vcc, v10, v1, vcc
	v_mov_b32_e32 v14, v2
	v_mov_b32_e32 v15, v6
	global_store_dwordx2 v[0:1], v[14:15], off
.LBB56_109:
	s_or_b64 exec, exec, s[4:5]
	buffer_load_dword v0, off, s[0:3], 0 offset:148 ; 4-byte Folded Reload
	s_waitcnt vmcnt(0)
	v_cmp_gt_i32_e32 vcc, s54, v0
	s_and_b64 exec, exec, vcc
	s_cbranch_execz .LBB56_101
; %bb.110:
	v_cndmask_b32_e64 v0, 0, 1, s[12:13]
	v_cmp_ne_u32_e64 s[4:5], 1, v0
	s_andn2_b64 vcc, exec, s[12:13]
	v_mov_b32_e32 v1, 1.0
	s_cbranch_vccnz .LBB56_112
; %bb.111:
	v_div_scale_f32 v0, s[12:13], v11, v11, 1.0
	v_div_scale_f32 v1, vcc, 1.0, v11, 1.0
	v_rcp_f32_e32 v2, v0
	v_fma_f32 v6, -v0, v2, 1.0
	v_fmac_f32_e32 v2, v6, v2
	v_mul_f32_e32 v6, v1, v2
	v_fma_f32 v10, -v0, v6, v1
	v_fmac_f32_e32 v6, v10, v2
	v_fma_f32 v0, -v0, v6, v1
	v_div_fmas_f32 v0, v0, v2, v6
	v_div_fixup_f32 v1, v0, v11, 1.0
.LBB56_112:
	buffer_load_dword v0, off, s[0:3], 0 offset:184 ; 4-byte Folded Reload
	s_waitcnt vmcnt(0)
	v_add_u32_e32 v0, s14, v0
	v_mul_lo_u32 v0, v0, s55
	v_add_u32_e32 v0, s42, v0
	v_mul_lo_u32 v0, s8, v0
	v_add_u32_e32 v0, s9, v0
	s_and_saveexec_b64 s[12:13], s[6:7]
	s_cbranch_execz .LBB56_114
; %bb.113:
	buffer_load_dword v10, off, s[0:3], 0 offset:172 ; 4-byte Folded Reload
	buffer_load_dword v11, off, s[0:3], 0 offset:176 ; 4-byte Folded Reload
	s_movk_i32 s15, 0x70
	v_mov_b32_e32 v2, s49
	v_cvt_f32_f16_e32 v6, v96
	v_cvt_f32_f16_sdwa v14, v93 dst_sel:DWORD dst_unused:UNUSED_PAD src0_sel:WORD_1
	v_cvt_f32_f16_e32 v18, v93
	v_mul_f32_e32 v16, v1, v6
	v_mul_f32_e32 v15, v1, v14
	;; [unrolled: 1-line block ×3, first 2 shown]
	s_waitcnt vmcnt(0)
	v_mad_u64_u32 v[10:11], s[16:17], v0, s15, v[10:11]
	v_mov_b32_e32 v11, 0
	v_lshlrev_b64 v[10:11], 2, v[10:11]
	v_add_co_u32_e32 v10, vcc, s48, v10
	v_addc_co_u32_e32 v11, vcc, v2, v11, vcc
	v_cvt_f32_f16_sdwa v2, v96 dst_sel:DWORD dst_unused:UNUSED_PAD src0_sel:WORD_1
	v_mul_f32_e32 v17, v1, v2
	global_store_dwordx4 v[10:11], v[14:17], off
.LBB56_114:
	s_or_b64 exec, exec, s[12:13]
	s_and_saveexec_b64 s[12:13], s[10:11]
	s_cbranch_execz .LBB56_116
; %bb.115:
	v_ashrrev_i32_e32 v1, 31, v0
	v_lshlrev_b64 v[0:1], 3, v[0:1]
	v_mov_b32_e32 v2, s51
	v_add_co_u32_e32 v0, vcc, s50, v0
	v_addc_co_u32_e32 v1, vcc, v2, v1, vcc
	v_mov_b32_e32 v6, v3
	global_store_dwordx2 v[0:1], v[6:7], off
.LBB56_116:
	s_or_b64 exec, exec, s[12:13]
	buffer_load_dword v0, off, s[0:3], 0 offset:180 ; 4-byte Folded Reload
	s_waitcnt vmcnt(0)
	v_add_u32_e32 v0, s59, v0
	v_cmp_gt_i32_e32 vcc, s54, v0
	s_and_b64 exec, exec, vcc
	s_cbranch_execz .LBB56_101
; %bb.117:
	s_and_b64 vcc, exec, s[4:5]
	v_mov_b32_e32 v1, 1.0
	s_cbranch_vccnz .LBB56_119
; %bb.118:
	v_div_scale_f32 v0, s[12:13], v12, v12, 1.0
	v_div_scale_f32 v1, vcc, 1.0, v12, 1.0
	v_rcp_f32_e32 v2, v0
	v_fma_f32 v3, -v0, v2, 1.0
	v_fmac_f32_e32 v2, v3, v2
	v_mul_f32_e32 v3, v1, v2
	v_fma_f32 v6, -v0, v3, v1
	v_fmac_f32_e32 v3, v6, v2
	v_fma_f32 v0, -v0, v3, v1
	v_div_fmas_f32 v0, v0, v2, v3
	v_div_fixup_f32 v1, v0, v12, 1.0
.LBB56_119:
	buffer_load_dword v0, off, s[0:3], 0 offset:180 ; 4-byte Folded Reload
	s_waitcnt vmcnt(0)
	v_add_u32_e32 v0, s14, v0
	v_mul_lo_u32 v0, v0, s55
	v_add_u32_e32 v0, s42, v0
	v_mul_lo_u32 v0, s8, v0
	v_add_u32_e32 v0, s9, v0
	s_and_saveexec_b64 s[12:13], s[6:7]
	s_cbranch_execz .LBB56_121
; %bb.120:
	buffer_load_dword v2, off, s[0:3], 0 offset:172 ; 4-byte Folded Reload
	buffer_load_dword v3, off, s[0:3], 0 offset:176 ; 4-byte Folded Reload
	s_movk_i32 s15, 0x70
	v_mov_b32_e32 v6, s49
	v_cvt_f32_f16_e32 v7, v94
	v_cvt_f32_f16_sdwa v10, v90 dst_sel:DWORD dst_unused:UNUSED_PAD src0_sel:WORD_1
	v_cvt_f32_f16_e32 v11, v90
	v_mul_f32_e32 v16, v1, v7
	v_mul_f32_e32 v15, v1, v10
	;; [unrolled: 1-line block ×3, first 2 shown]
	s_waitcnt vmcnt(0)
	v_mad_u64_u32 v[2:3], s[16:17], v0, s15, v[2:3]
	v_mov_b32_e32 v3, 0
	v_lshlrev_b64 v[2:3], 2, v[2:3]
	v_add_co_u32_e32 v2, vcc, s48, v2
	v_addc_co_u32_e32 v3, vcc, v6, v3, vcc
	v_cvt_f32_f16_sdwa v6, v94 dst_sel:DWORD dst_unused:UNUSED_PAD src0_sel:WORD_1
	v_mul_f32_e32 v17, v1, v6
	global_store_dwordx4 v[2:3], v[14:17], off
.LBB56_121:
	s_or_b64 exec, exec, s[12:13]
	s_mov_b64 s[12:13], exec
	buffer_load_dword v3, off, s[0:3], 0 offset:188 ; 4-byte Folded Reload
	s_and_b64 s[16:17], s[12:13], s[10:11]
	s_mov_b64 exec, s[16:17]
	s_cbranch_execz .LBB56_123
; %bb.122:
	v_ashrrev_i32_e32 v1, 31, v0
	v_lshlrev_b64 v[0:1], 3, v[0:1]
	v_mov_b32_e32 v2, s51
	v_add_co_u32_e32 v0, vcc, s50, v0
	v_addc_co_u32_e32 v1, vcc, v2, v1, vcc
	v_mov_b32_e32 v7, v4
	global_store_dwordx2 v[0:1], v[7:8], off
.LBB56_123:
	s_or_b64 exec, exec, s[12:13]
	s_waitcnt vmcnt(0)
	v_add_u32_e32 v0, s59, v3
	v_cmp_gt_i32_e32 vcc, s54, v0
	s_and_b64 exec, exec, vcc
	s_cbranch_execz .LBB56_101
; %bb.124:
	s_and_b64 vcc, exec, s[4:5]
	v_mov_b32_e32 v1, 1.0
	s_cbranch_vccnz .LBB56_126
; %bb.125:
	v_div_scale_f32 v0, s[4:5], v13, v13, 1.0
	v_div_scale_f32 v1, vcc, 1.0, v13, 1.0
	v_rcp_f32_e32 v2, v0
	v_fma_f32 v3, -v0, v2, 1.0
	v_fmac_f32_e32 v2, v3, v2
	v_mul_f32_e32 v3, v1, v2
	v_fma_f32 v4, -v0, v3, v1
	v_fmac_f32_e32 v3, v4, v2
	v_fma_f32 v0, -v0, v3, v1
	v_div_fmas_f32 v0, v0, v2, v3
	v_div_fixup_f32 v1, v0, v13, 1.0
.LBB56_126:
	buffer_load_dword v0, off, s[0:3], 0 offset:188 ; 4-byte Folded Reload
	s_waitcnt vmcnt(0)
	v_add_u32_e32 v0, s14, v0
	v_mul_lo_u32 v0, v0, s55
	v_add_u32_e32 v0, s42, v0
	v_mul_lo_u32 v0, s8, v0
	v_add_u32_e32 v0, s9, v0
	s_and_saveexec_b64 s[4:5], s[6:7]
	s_cbranch_execz .LBB56_128
; %bb.127:
	buffer_load_dword v2, off, s[0:3], 0 offset:172 ; 4-byte Folded Reload
	buffer_load_dword v3, off, s[0:3], 0 offset:176 ; 4-byte Folded Reload
	s_movk_i32 s6, 0x70
	v_mov_b32_e32 v4, s49
	v_cvt_f32_f16_sdwa v8, v91 dst_sel:DWORD dst_unused:UNUSED_PAD src0_sel:WORD_1
	v_cvt_f32_f16_e32 v10, v91
	s_waitcnt vmcnt(0)
	v_mad_u64_u32 v[2:3], s[6:7], v0, s6, v[2:3]
	v_mov_b32_e32 v3, 0
	v_lshlrev_b64 v[2:3], 2, v[2:3]
	v_add_co_u32_e32 v6, vcc, s48, v2
	v_addc_co_u32_e32 v7, vcc, v4, v3, vcc
	v_cvt_f32_f16_sdwa v2, v89 dst_sel:DWORD dst_unused:UNUSED_PAD src0_sel:WORD_1
	v_cvt_f32_f16_e32 v3, v89
	v_mul_f32_e32 v4, v1, v2
	v_mul_f32_e32 v3, v1, v3
	;; [unrolled: 1-line block ×4, first 2 shown]
	global_store_dwordx4 v[6:7], v[1:4], off
.LBB56_128:
	s_or_b64 exec, exec, s[4:5]
	s_and_b64 exec, exec, s[10:11]
	s_cbranch_execz .LBB56_101
; %bb.129:
	v_ashrrev_i32_e32 v1, 31, v0
	v_lshlrev_b64 v[0:1], 3, v[0:1]
	v_mov_b32_e32 v2, s51
	v_add_co_u32_e32 v0, vcc, s50, v0
	v_addc_co_u32_e32 v1, vcc, v2, v1, vcc
	v_mov_b32_e32 v8, v5
	global_store_dwordx2 v[0:1], v[8:9], off
	s_endpgm
	.section	.rodata,"a",@progbits
	.p2align	6, 0x0
	.amdhsa_kernel _ZL15flash_attn_tileILi112ELi112ELi32ELi1ELb0EEvPKcS1_S1_S1_S1_PKiPfP15HIP_vector_typeIfLj2EEffffjfiS5_IjLj3EEiiiiiiiiiiiliiliiiiil
		.amdhsa_group_segment_fixed_size 13376
		.amdhsa_private_segment_fixed_size 208
		.amdhsa_kernarg_size 464
		.amdhsa_user_sgpr_count 8
		.amdhsa_user_sgpr_private_segment_buffer 1
		.amdhsa_user_sgpr_dispatch_ptr 0
		.amdhsa_user_sgpr_queue_ptr 0
		.amdhsa_user_sgpr_kernarg_segment_ptr 1
		.amdhsa_user_sgpr_dispatch_id 0
		.amdhsa_user_sgpr_flat_scratch_init 1
		.amdhsa_user_sgpr_private_segment_size 0
		.amdhsa_uses_dynamic_stack 0
		.amdhsa_system_sgpr_private_segment_wavefront_offset 1
		.amdhsa_system_sgpr_workgroup_id_x 1
		.amdhsa_system_sgpr_workgroup_id_y 1
		.amdhsa_system_sgpr_workgroup_id_z 1
		.amdhsa_system_sgpr_workgroup_info 0
		.amdhsa_system_vgpr_workitem_id 1
		.amdhsa_next_free_vgpr 128
		.amdhsa_next_free_sgpr 96
		.amdhsa_reserve_vcc 1
		.amdhsa_reserve_flat_scratch 1
		.amdhsa_float_round_mode_32 0
		.amdhsa_float_round_mode_16_64 0
		.amdhsa_float_denorm_mode_32 3
		.amdhsa_float_denorm_mode_16_64 3
		.amdhsa_dx10_clamp 1
		.amdhsa_ieee_mode 1
		.amdhsa_fp16_overflow 0
		.amdhsa_exception_fp_ieee_invalid_op 0
		.amdhsa_exception_fp_denorm_src 0
		.amdhsa_exception_fp_ieee_div_zero 0
		.amdhsa_exception_fp_ieee_overflow 0
		.amdhsa_exception_fp_ieee_underflow 0
		.amdhsa_exception_fp_ieee_inexact 0
		.amdhsa_exception_int_div_zero 0
	.end_amdhsa_kernel
	.section	.text._ZL15flash_attn_tileILi112ELi112ELi32ELi1ELb0EEvPKcS1_S1_S1_S1_PKiPfP15HIP_vector_typeIfLj2EEffffjfiS5_IjLj3EEiiiiiiiiiiiliiliiiiil,"axG",@progbits,_ZL15flash_attn_tileILi112ELi112ELi32ELi1ELb0EEvPKcS1_S1_S1_S1_PKiPfP15HIP_vector_typeIfLj2EEffffjfiS5_IjLj3EEiiiiiiiiiiiliiliiiiil,comdat
.Lfunc_end56:
	.size	_ZL15flash_attn_tileILi112ELi112ELi32ELi1ELb0EEvPKcS1_S1_S1_S1_PKiPfP15HIP_vector_typeIfLj2EEffffjfiS5_IjLj3EEiiiiiiiiiiiliiliiiiil, .Lfunc_end56-_ZL15flash_attn_tileILi112ELi112ELi32ELi1ELb0EEvPKcS1_S1_S1_S1_PKiPfP15HIP_vector_typeIfLj2EEffffjfiS5_IjLj3EEiiiiiiiiiiiliiliiiiil
                                        ; -- End function
	.set _ZL15flash_attn_tileILi112ELi112ELi32ELi1ELb0EEvPKcS1_S1_S1_S1_PKiPfP15HIP_vector_typeIfLj2EEffffjfiS5_IjLj3EEiiiiiiiiiiiliiliiiiil.num_vgpr, 128
	.set _ZL15flash_attn_tileILi112ELi112ELi32ELi1ELb0EEvPKcS1_S1_S1_S1_PKiPfP15HIP_vector_typeIfLj2EEffffjfiS5_IjLj3EEiiiiiiiiiiiliiliiiiil.num_agpr, 0
	.set _ZL15flash_attn_tileILi112ELi112ELi32ELi1ELb0EEvPKcS1_S1_S1_S1_PKiPfP15HIP_vector_typeIfLj2EEffffjfiS5_IjLj3EEiiiiiiiiiiiliiliiiiil.numbered_sgpr, 76
	.set _ZL15flash_attn_tileILi112ELi112ELi32ELi1ELb0EEvPKcS1_S1_S1_S1_PKiPfP15HIP_vector_typeIfLj2EEffffjfiS5_IjLj3EEiiiiiiiiiiiliiliiiiil.num_named_barrier, 0
	.set _ZL15flash_attn_tileILi112ELi112ELi32ELi1ELb0EEvPKcS1_S1_S1_S1_PKiPfP15HIP_vector_typeIfLj2EEffffjfiS5_IjLj3EEiiiiiiiiiiiliiliiiiil.private_seg_size, 208
	.set _ZL15flash_attn_tileILi112ELi112ELi32ELi1ELb0EEvPKcS1_S1_S1_S1_PKiPfP15HIP_vector_typeIfLj2EEffffjfiS5_IjLj3EEiiiiiiiiiiiliiliiiiil.uses_vcc, 1
	.set _ZL15flash_attn_tileILi112ELi112ELi32ELi1ELb0EEvPKcS1_S1_S1_S1_PKiPfP15HIP_vector_typeIfLj2EEffffjfiS5_IjLj3EEiiiiiiiiiiiliiliiiiil.uses_flat_scratch, 1
	.set _ZL15flash_attn_tileILi112ELi112ELi32ELi1ELb0EEvPKcS1_S1_S1_S1_PKiPfP15HIP_vector_typeIfLj2EEffffjfiS5_IjLj3EEiiiiiiiiiiiliiliiiiil.has_dyn_sized_stack, 0
	.set _ZL15flash_attn_tileILi112ELi112ELi32ELi1ELb0EEvPKcS1_S1_S1_S1_PKiPfP15HIP_vector_typeIfLj2EEffffjfiS5_IjLj3EEiiiiiiiiiiiliiliiiiil.has_recursion, 0
	.set _ZL15flash_attn_tileILi112ELi112ELi32ELi1ELb0EEvPKcS1_S1_S1_S1_PKiPfP15HIP_vector_typeIfLj2EEffffjfiS5_IjLj3EEiiiiiiiiiiiliiliiiiil.has_indirect_call, 0
	.section	.AMDGPU.csdata,"",@progbits
; Kernel info:
; codeLenInByte = 26180
; TotalNumSgprs: 82
; NumVgprs: 128
; ScratchSize: 208
; MemoryBound: 0
; FloatMode: 240
; IeeeMode: 1
; LDSByteSize: 13376 bytes/workgroup (compile time only)
; SGPRBlocks: 12
; VGPRBlocks: 31
; NumSGPRsForWavesPerEU: 102
; NumVGPRsForWavesPerEU: 128
; Occupancy: 2
; WaveLimiterHint : 1
; COMPUTE_PGM_RSRC2:SCRATCH_EN: 1
; COMPUTE_PGM_RSRC2:USER_SGPR: 8
; COMPUTE_PGM_RSRC2:TRAP_HANDLER: 0
; COMPUTE_PGM_RSRC2:TGID_X_EN: 1
; COMPUTE_PGM_RSRC2:TGID_Y_EN: 1
; COMPUTE_PGM_RSRC2:TGID_Z_EN: 1
; COMPUTE_PGM_RSRC2:TIDIG_COMP_CNT: 1
	.section	.text._ZL33flash_attn_stream_k_fixup_uniformILi112ELi32ELi1EEvPfPK15HIP_vector_typeIfLj2EEiiiiiiS1_IjLj3EES5_S5_,"axG",@progbits,_ZL33flash_attn_stream_k_fixup_uniformILi112ELi32ELi1EEvPfPK15HIP_vector_typeIfLj2EEiiiiiiS1_IjLj3EES5_S5_,comdat
	.globl	_ZL33flash_attn_stream_k_fixup_uniformILi112ELi32ELi1EEvPfPK15HIP_vector_typeIfLj2EEiiiiiiS1_IjLj3EES5_S5_ ; -- Begin function _ZL33flash_attn_stream_k_fixup_uniformILi112ELi32ELi1EEvPfPK15HIP_vector_typeIfLj2EEiiiiiiS1_IjLj3EES5_S5_
	.p2align	8
	.type	_ZL33flash_attn_stream_k_fixup_uniformILi112ELi32ELi1EEvPfPK15HIP_vector_typeIfLj2EEiiiiiiS1_IjLj3EES5_S5_,@function
_ZL33flash_attn_stream_k_fixup_uniformILi112ELi32ELi1EEvPfPK15HIP_vector_typeIfLj2EEiiiiiiS1_IjLj3EES5_S5_: ; @_ZL33flash_attn_stream_k_fixup_uniformILi112ELi32ELi1EEvPfPK15HIP_vector_typeIfLj2EEiiiiiiS1_IjLj3EES5_S5_
; %bb.0:
	s_load_dwordx8 s[12:19], s[4:5], 0x1c
	s_load_dwordx2 s[10:11], s[4:5], 0x10
	s_load_dwordx4 s[0:3], s[4:5], 0x3c
	s_waitcnt lgkmcnt(0)
	s_mul_hi_u32 s9, s15, s6
	s_add_i32 s9, s6, s9
	s_lshr_b32 s9, s9, s16
	s_mul_i32 s15, s9, s17
	s_sub_i32 s16, s6, s15
	s_mul_hi_u32 s15, s16, s18
	s_add_i32 s15, s16, s15
	s_lshr_b32 s15, s15, s19
	s_mul_i32 s0, s15, s0
	s_sub_i32 s0, s16, s0
	s_mul_hi_u32 s1, s0, s1
	s_add_i32 s1, s0, s1
	s_lshr_b32 s17, s1, s2
	s_mul_i32 s1, s17, s3
	s_sub_i32 s16, s0, s1
	s_lshl_b32 s0, s16, 5
	s_add_i32 s0, s0, s7
	s_cmp_lt_i32 s0, s10
	s_cselect_b64 s[0:1], -1, 0
	s_add_i32 s17, s17, s8
	s_cmp_lt_i32 s17, s13
	s_cselect_b64 s[2:3], -1, 0
	s_and_b64 s[0:1], s[0:1], s[2:3]
	s_andn2_b64 vcc, exec, s[0:1]
	s_cbranch_vccnz .LBB57_6
; %bb.1:
	s_load_dwordx4 s[0:3], s[4:5], 0x0
	s_mul_i32 s4, s9, s10
	s_mul_i32 s15, s15, s13
	s_add_i32 s4, s4, s7
	s_mul_i32 s4, s4, s11
	s_add_i32 s9, s17, s15
	;; [unrolled: 2-line block ×3, first 2 shown]
	s_mulk_i32 s5, 0xe00
	s_mulk_i32 s4, 0x70
	s_add_i32 s4, s4, s5
	v_add_u32_e32 v1, s4, v0
	v_ashrrev_i32_e32 v2, 31, v1
	v_lshlrev_b64 v[1:2], 2, v[1:2]
	s_waitcnt lgkmcnt(0)
	v_mov_b32_e32 v3, s1
	v_add_co_u32_e32 v1, vcc, s0, v1
	v_addc_co_u32_e32 v2, vcc, v3, v2, vcc
	global_load_dword v8, v[1:2], off
	s_add_i32 s4, s7, s8
	s_mul_i32 s7, s14, s6
	s_add_i32 s5, s7, s14
	s_lshl_b32 s0, s5, 5
	s_add_i32 s0, s4, s0
	s_sub_i32 s0, s0, 32
	s_ashr_i32 s1, s0, 31
	s_lshl_b64 s[0:1], s[0:1], 3
	s_add_u32 s0, s2, s0
	s_addc_u32 s1, s3, s1
	s_load_dword s10, s[0:1], 0x4
	s_add_i32 s8, s5, -2
	s_cmp_lt_i32 s8, s7
	s_cbranch_scc1 .LBB57_4
; %bb.2:
	s_lshl_b32 s8, s12, 7
	s_ashr_i32 s9, s8, 31
	s_lshl_b64 s[8:9], s[8:9], 2
	s_add_u32 s8, s2, s8
	s_addc_u32 s11, s3, s9
	s_load_dword s0, s[0:1], 0x0
	s_add_i32 s6, s6, 1
	s_add_i32 s9, s5, -1
	s_mul_i32 s5, s14, s6
	s_mul_i32 s1, s4, 0x70
	s_lshl_b32 s6, s5, 5
	s_mulk_i32 s5, 0xe00
	s_add_i32 s4, s4, s6
	s_lshl_b32 s6, s12, 5
	s_add_i32 s1, s1, s5
	s_add_i32 s4, s4, s6
	v_add_u32_e32 v0, s1, v0
	s_sub_i32 s4, s4, 64
	v_add_u32_e32 v3, 0xffffe400, v0
	s_waitcnt lgkmcnt(0)
	v_mov_b32_e32 v7, s10
	v_mov_b32_e32 v6, s0
	;; [unrolled: 1-line block ×3, first 2 shown]
	s_mov_b32 s6, 0x3fb8aa3b
	s_mov_b32 s10, 0xc2ce8ed0
	;; [unrolled: 1-line block ×3, first 2 shown]
	v_mov_b32_e32 v5, 0x7f800000
	s_mov_b32 s12, 0xc1a00000
.LBB57_3:                               ; =>This Inner Loop Header: Depth=1
	v_ashrrev_i32_e32 v4, 31, v3
	v_lshlrev_b64 v[9:10], 2, v[3:4]
	s_ashr_i32 s5, s4, 31
	v_add_co_u32_e32 v9, vcc, s8, v9
	v_addc_co_u32_e32 v10, vcc, v0, v10, vcc
	global_load_dword v4, v[9:10], off
	s_lshl_b64 s[0:1], s[4:5], 3
	s_add_u32 s0, s2, s0
	s_addc_u32 s1, s3, s1
	s_load_dwordx2 s[14:15], s[0:1], 0x0
	s_waitcnt vmcnt(1)
	v_mov_b32_e32 v9, v8
	v_max_f32_e32 v8, v6, v6
	v_mov_b32_e32 v10, v7
	s_add_i32 s9, s9, -1
	s_waitcnt lgkmcnt(0)
	v_max_f32_e64 v7, s14, s14
	v_max_f32_e32 v7, v8, v7
	v_sub_f32_e32 v11, s14, v7
	v_sub_f32_e32 v8, v6, v7
	v_mul_f32_e32 v12, 0x3fb8aa3b, v11
	v_mov_b32_e32 v6, v7
	v_mul_f32_e32 v7, 0x3fb8aa3b, v8
	v_fma_f32 v15, v11, s6, -v12
	v_rndne_f32_e32 v16, v12
	v_fma_f32 v13, v8, s6, -v7
	v_rndne_f32_e32 v14, v7
	v_fmac_f32_e32 v15, 0x32a5705f, v11
	v_sub_f32_e32 v12, v12, v16
	v_fmac_f32_e32 v13, 0x32a5705f, v8
	v_sub_f32_e32 v7, v7, v14
	v_add_f32_e32 v12, v12, v15
	v_cvt_i32_f32_e32 v16, v16
	v_add_f32_e32 v7, v7, v13
	v_exp_f32_e32 v12, v12
	v_cvt_i32_f32_e32 v14, v14
	v_exp_f32_e32 v7, v7
	v_cmp_ngt_f32_e32 vcc, s10, v11
	v_ldexp_f32 v12, v12, v16
	v_cmp_ngt_f32_e64 s[0:1], s10, v8
	v_ldexp_f32 v7, v7, v14
	v_cndmask_b32_e32 v12, 0, v12, vcc
	v_cmp_nlt_f32_e32 vcc, s11, v11
	v_cndmask_b32_e64 v7, 0, v7, s[0:1]
	v_cmp_nlt_f32_e64 s[0:1], s11, v8
	v_cndmask_b32_e32 v12, v5, v12, vcc
	v_cmp_le_f32_e32 vcc, s12, v11
	v_cndmask_b32_e64 v7, v5, v7, s[0:1]
	v_cmp_le_f32_e64 s[0:1], s12, v8
	v_cndmask_b32_e32 v8, 0, v12, vcc
	s_sub_i32 s4, s4, 32
	v_cndmask_b32_e64 v11, 0, v7, s[0:1]
	v_mul_f32_e32 v7, s15, v8
	v_add_u32_e32 v3, 0xfffff200, v3
	s_cmp_le_i32 s9, s7
	v_fmac_f32_e32 v7, v10, v11
	s_waitcnt vmcnt(0)
	v_mul_f32_e32 v8, v4, v8
	v_fmac_f32_e32 v8, v9, v11
	s_cbranch_scc0 .LBB57_3
	s_branch .LBB57_5
.LBB57_4:
	s_waitcnt lgkmcnt(0)
	v_mov_b32_e32 v7, s10
.LBB57_5:
	s_waitcnt vmcnt(0)
	v_div_scale_f32 v0, s[0:1], v7, v7, v8
	v_div_scale_f32 v3, vcc, v8, v7, v8
	v_rcp_f32_e32 v4, v0
	v_fma_f32 v5, -v0, v4, 1.0
	v_fmac_f32_e32 v4, v5, v4
	v_mul_f32_e32 v5, v3, v4
	v_fma_f32 v6, -v0, v5, v3
	v_fmac_f32_e32 v5, v6, v4
	v_fma_f32 v0, -v0, v5, v3
	v_div_fmas_f32 v0, v0, v4, v5
	v_div_fixup_f32 v0, v0, v7, v8
	global_store_dword v[1:2], v0, off
.LBB57_6:
	s_endpgm
	.section	.rodata,"a",@progbits
	.p2align	6, 0x0
	.amdhsa_kernel _ZL33flash_attn_stream_k_fixup_uniformILi112ELi32ELi1EEvPfPK15HIP_vector_typeIfLj2EEiiiiiiS1_IjLj3EES5_S5_
		.amdhsa_group_segment_fixed_size 0
		.amdhsa_private_segment_fixed_size 0
		.amdhsa_kernarg_size 76
		.amdhsa_user_sgpr_count 6
		.amdhsa_user_sgpr_private_segment_buffer 1
		.amdhsa_user_sgpr_dispatch_ptr 0
		.amdhsa_user_sgpr_queue_ptr 0
		.amdhsa_user_sgpr_kernarg_segment_ptr 1
		.amdhsa_user_sgpr_dispatch_id 0
		.amdhsa_user_sgpr_flat_scratch_init 0
		.amdhsa_user_sgpr_private_segment_size 0
		.amdhsa_uses_dynamic_stack 0
		.amdhsa_system_sgpr_private_segment_wavefront_offset 0
		.amdhsa_system_sgpr_workgroup_id_x 1
		.amdhsa_system_sgpr_workgroup_id_y 1
		.amdhsa_system_sgpr_workgroup_id_z 1
		.amdhsa_system_sgpr_workgroup_info 0
		.amdhsa_system_vgpr_workitem_id 0
		.amdhsa_next_free_vgpr 17
		.amdhsa_next_free_sgpr 20
		.amdhsa_reserve_vcc 1
		.amdhsa_reserve_flat_scratch 0
		.amdhsa_float_round_mode_32 0
		.amdhsa_float_round_mode_16_64 0
		.amdhsa_float_denorm_mode_32 3
		.amdhsa_float_denorm_mode_16_64 3
		.amdhsa_dx10_clamp 1
		.amdhsa_ieee_mode 1
		.amdhsa_fp16_overflow 0
		.amdhsa_exception_fp_ieee_invalid_op 0
		.amdhsa_exception_fp_denorm_src 0
		.amdhsa_exception_fp_ieee_div_zero 0
		.amdhsa_exception_fp_ieee_overflow 0
		.amdhsa_exception_fp_ieee_underflow 0
		.amdhsa_exception_fp_ieee_inexact 0
		.amdhsa_exception_int_div_zero 0
	.end_amdhsa_kernel
	.section	.text._ZL33flash_attn_stream_k_fixup_uniformILi112ELi32ELi1EEvPfPK15HIP_vector_typeIfLj2EEiiiiiiS1_IjLj3EES5_S5_,"axG",@progbits,_ZL33flash_attn_stream_k_fixup_uniformILi112ELi32ELi1EEvPfPK15HIP_vector_typeIfLj2EEiiiiiiS1_IjLj3EES5_S5_,comdat
.Lfunc_end57:
	.size	_ZL33flash_attn_stream_k_fixup_uniformILi112ELi32ELi1EEvPfPK15HIP_vector_typeIfLj2EEiiiiiiS1_IjLj3EES5_S5_, .Lfunc_end57-_ZL33flash_attn_stream_k_fixup_uniformILi112ELi32ELi1EEvPfPK15HIP_vector_typeIfLj2EEiiiiiiS1_IjLj3EES5_S5_
                                        ; -- End function
	.set _ZL33flash_attn_stream_k_fixup_uniformILi112ELi32ELi1EEvPfPK15HIP_vector_typeIfLj2EEiiiiiiS1_IjLj3EES5_S5_.num_vgpr, 17
	.set _ZL33flash_attn_stream_k_fixup_uniformILi112ELi32ELi1EEvPfPK15HIP_vector_typeIfLj2EEiiiiiiS1_IjLj3EES5_S5_.num_agpr, 0
	.set _ZL33flash_attn_stream_k_fixup_uniformILi112ELi32ELi1EEvPfPK15HIP_vector_typeIfLj2EEiiiiiiS1_IjLj3EES5_S5_.numbered_sgpr, 20
	.set _ZL33flash_attn_stream_k_fixup_uniformILi112ELi32ELi1EEvPfPK15HIP_vector_typeIfLj2EEiiiiiiS1_IjLj3EES5_S5_.num_named_barrier, 0
	.set _ZL33flash_attn_stream_k_fixup_uniformILi112ELi32ELi1EEvPfPK15HIP_vector_typeIfLj2EEiiiiiiS1_IjLj3EES5_S5_.private_seg_size, 0
	.set _ZL33flash_attn_stream_k_fixup_uniformILi112ELi32ELi1EEvPfPK15HIP_vector_typeIfLj2EEiiiiiiS1_IjLj3EES5_S5_.uses_vcc, 1
	.set _ZL33flash_attn_stream_k_fixup_uniformILi112ELi32ELi1EEvPfPK15HIP_vector_typeIfLj2EEiiiiiiS1_IjLj3EES5_S5_.uses_flat_scratch, 0
	.set _ZL33flash_attn_stream_k_fixup_uniformILi112ELi32ELi1EEvPfPK15HIP_vector_typeIfLj2EEiiiiiiS1_IjLj3EES5_S5_.has_dyn_sized_stack, 0
	.set _ZL33flash_attn_stream_k_fixup_uniformILi112ELi32ELi1EEvPfPK15HIP_vector_typeIfLj2EEiiiiiiS1_IjLj3EES5_S5_.has_recursion, 0
	.set _ZL33flash_attn_stream_k_fixup_uniformILi112ELi32ELi1EEvPfPK15HIP_vector_typeIfLj2EEiiiiiiS1_IjLj3EES5_S5_.has_indirect_call, 0
	.section	.AMDGPU.csdata,"",@progbits
; Kernel info:
; codeLenInByte = 836
; TotalNumSgprs: 24
; NumVgprs: 17
; ScratchSize: 0
; MemoryBound: 0
; FloatMode: 240
; IeeeMode: 1
; LDSByteSize: 0 bytes/workgroup (compile time only)
; SGPRBlocks: 2
; VGPRBlocks: 4
; NumSGPRsForWavesPerEU: 24
; NumVGPRsForWavesPerEU: 17
; Occupancy: 10
; WaveLimiterHint : 0
; COMPUTE_PGM_RSRC2:SCRATCH_EN: 0
; COMPUTE_PGM_RSRC2:USER_SGPR: 6
; COMPUTE_PGM_RSRC2:TRAP_HANDLER: 0
; COMPUTE_PGM_RSRC2:TGID_X_EN: 1
; COMPUTE_PGM_RSRC2:TGID_Y_EN: 1
; COMPUTE_PGM_RSRC2:TGID_Z_EN: 1
; COMPUTE_PGM_RSRC2:TIDIG_COMP_CNT: 0
	.section	.text._ZL33flash_attn_stream_k_fixup_generalILi112ELi32ELi1EEvPfPK15HIP_vector_typeIfLj2EEiiiiS1_IjLj3EES5_S5_S5_,"axG",@progbits,_ZL33flash_attn_stream_k_fixup_generalILi112ELi32ELi1EEvPfPK15HIP_vector_typeIfLj2EEiiiiS1_IjLj3EES5_S5_S5_,comdat
	.globl	_ZL33flash_attn_stream_k_fixup_generalILi112ELi32ELi1EEvPfPK15HIP_vector_typeIfLj2EEiiiiS1_IjLj3EES5_S5_S5_ ; -- Begin function _ZL33flash_attn_stream_k_fixup_generalILi112ELi32ELi1EEvPfPK15HIP_vector_typeIfLj2EEiiiiS1_IjLj3EES5_S5_S5_
	.p2align	8
	.type	_ZL33flash_attn_stream_k_fixup_generalILi112ELi32ELi1EEvPfPK15HIP_vector_typeIfLj2EEiiiiS1_IjLj3EES5_S5_S5_,@function
_ZL33flash_attn_stream_k_fixup_generalILi112ELi32ELi1EEvPfPK15HIP_vector_typeIfLj2EEiiiiS1_IjLj3EES5_S5_S5_: ; @_ZL33flash_attn_stream_k_fixup_generalILi112ELi32ELi1EEvPfPK15HIP_vector_typeIfLj2EEiiiiS1_IjLj3EES5_S5_S5_
; %bb.0:
	s_load_dwordx4 s[0:3], s[4:5], 0x10
	s_load_dword s22, s[4:5], 0x50
	s_mov_b32 s12, 0
	s_waitcnt lgkmcnt(0)
	s_mul_hi_i32 s13, s3, s6
	s_cmp_lg_u64 s[12:13], 0
	s_mul_i32 s9, s3, s6
	s_cbranch_scc0 .LBB58_20
; %bb.1:
	s_add_u32 s10, s22, 0
	s_addc_u32 s11, 0, 0
	s_xor_b64 s[10:11], s[10:11], 0
	v_cvt_f32_u32_e32 v1, s10
	v_cvt_f32_u32_e32 v2, s11
	s_sub_u32 s12, 0, s10
	s_subb_u32 s18, 0, s11
	v_madmk_f32 v1, v2, 0x4f800000, v1
	v_rcp_f32_e32 v1, v1
	v_mul_f32_e32 v1, 0x5f7ffffc, v1
	v_mul_f32_e32 v2, 0x2f800000, v1
	v_trunc_f32_e32 v2, v2
	v_madmk_f32 v1, v2, 0xcf800000, v1
	v_cvt_u32_f32_e32 v2, v2
	v_cvt_u32_f32_e32 v1, v1
	v_readfirstlane_b32 s19, v2
	v_readfirstlane_b32 s14, v1
	s_mul_i32 s15, s12, s19
	s_mul_hi_u32 s21, s12, s14
	s_mul_i32 s20, s18, s14
	s_add_i32 s15, s21, s15
	s_add_i32 s15, s15, s20
	s_mul_i32 s23, s12, s14
	s_mul_i32 s21, s14, s15
	s_mul_hi_u32 s24, s14, s23
	s_mul_hi_u32 s20, s14, s15
	s_add_u32 s21, s24, s21
	s_addc_u32 s20, 0, s20
	s_mul_hi_u32 s25, s19, s23
	s_mul_i32 s23, s19, s23
	s_add_u32 s21, s21, s23
	s_mul_hi_u32 s24, s19, s15
	s_addc_u32 s20, s20, s25
	s_addc_u32 s21, s24, 0
	s_mul_i32 s15, s19, s15
	s_add_u32 s15, s20, s15
	s_addc_u32 s20, 0, s21
	s_add_u32 s21, s14, s15
	s_cselect_b64 s[14:15], -1, 0
	s_cmp_lg_u64 s[14:15], 0
	s_addc_u32 s19, s19, s20
	s_mul_i32 s14, s12, s19
	s_mul_hi_u32 s15, s12, s21
	s_add_i32 s14, s15, s14
	s_mul_i32 s18, s18, s21
	s_add_i32 s14, s14, s18
	s_mul_i32 s12, s12, s21
	s_mul_hi_u32 s18, s19, s12
	s_mul_i32 s20, s19, s12
	s_mul_i32 s24, s21, s14
	s_mul_hi_u32 s12, s21, s12
	s_mul_hi_u32 s23, s21, s14
	s_add_u32 s12, s12, s24
	s_addc_u32 s23, 0, s23
	s_add_u32 s12, s12, s20
	s_mul_hi_u32 s15, s19, s14
	s_addc_u32 s12, s23, s18
	s_addc_u32 s15, s15, 0
	s_mul_i32 s14, s19, s14
	s_add_u32 s12, s12, s14
	s_addc_u32 s18, 0, s15
	s_add_u32 s20, s21, s12
	s_cselect_b64 s[14:15], -1, 0
	s_cmp_lg_u64 s[14:15], 0
	s_addc_u32 s18, s19, s18
	s_ashr_i32 s14, s13, 31
	s_add_u32 s12, s9, s14
	s_mov_b32 s15, s14
	s_addc_u32 s13, s13, s14
	s_xor_b64 s[12:13], s[12:13], s[14:15]
	s_mul_i32 s21, s12, s18
	s_mul_hi_u32 s23, s12, s20
	s_mul_hi_u32 s19, s12, s18
	s_add_u32 s21, s23, s21
	s_addc_u32 s19, 0, s19
	s_mul_hi_u32 s24, s13, s20
	s_mul_i32 s20, s13, s20
	s_add_u32 s20, s21, s20
	s_mul_hi_u32 s23, s13, s18
	s_addc_u32 s19, s19, s24
	s_addc_u32 s20, s23, 0
	s_mul_i32 s18, s13, s18
	s_add_u32 s23, s19, s18
	s_addc_u32 s24, 0, s20
	s_mul_i32 s18, s10, s24
	s_mul_hi_u32 s19, s10, s23
	s_add_i32 s18, s19, s18
	s_mul_i32 s19, s11, s23
	s_add_i32 s25, s18, s19
	s_sub_i32 s20, s13, s25
	s_mul_i32 s18, s10, s23
	s_sub_u32 s12, s12, s18
	s_cselect_b64 s[18:19], -1, 0
	s_cmp_lg_u64 s[18:19], 0
	s_subb_u32 s26, s20, s11
	s_sub_u32 s27, s12, s10
	s_cselect_b64 s[20:21], -1, 0
	s_cmp_lg_u64 s[20:21], 0
	s_subb_u32 s20, s26, 0
	s_cmp_ge_u32 s20, s11
	s_cselect_b32 s21, -1, 0
	s_cmp_ge_u32 s27, s10
	s_cselect_b32 s26, -1, 0
	s_cmp_eq_u32 s20, s11
	s_cselect_b32 s20, s26, s21
	s_add_u32 s21, s23, 1
	s_addc_u32 s26, s24, 0
	s_add_u32 s27, s23, 2
	s_addc_u32 s28, s24, 0
	s_cmp_lg_u32 s20, 0
	s_cselect_b32 s20, s27, s21
	s_cselect_b32 s21, s28, s26
	s_cmp_lg_u64 s[18:19], 0
	s_subb_u32 s13, s13, s25
	s_cmp_ge_u32 s13, s11
	s_cselect_b32 s18, -1, 0
	s_cmp_ge_u32 s12, s10
	s_cselect_b32 s10, -1, 0
	s_cmp_eq_u32 s13, s11
	s_cselect_b32 s10, s10, s18
	s_cmp_lg_u32 s10, 0
	s_cselect_b32 s11, s21, s24
	s_cselect_b32 s10, s20, s23
	s_xor_b64 s[12:13], s[14:15], 0
	s_xor_b64 s[10:11], s[10:11], s[12:13]
	s_sub_u32 s10, s10, s12
	s_load_dwordx4 s[12:15], s[4:5], 0x44
	s_cbranch_execnz .LBB58_3
.LBB58_2:
	v_cvt_f32_u32_e32 v1, s22
	s_sub_i32 s10, 0, s22
	v_rcp_iflag_f32_e32 v1, v1
	v_mul_f32_e32 v1, 0x4f7ffffe, v1
	v_cvt_u32_f32_e32 v1, v1
	v_readfirstlane_b32 s11, v1
	s_mul_i32 s10, s10, s11
	s_mul_hi_u32 s10, s11, s10
	s_add_i32 s11, s11, s10
	s_mul_hi_u32 s10, s9, s11
	s_waitcnt lgkmcnt(0)
	s_mul_i32 s15, s10, s22
	s_sub_i32 s9, s9, s15
	s_add_i32 s11, s10, 1
	s_sub_i32 s15, s9, s22
	s_cmp_ge_u32 s9, s22
	s_cselect_b32 s10, s11, s10
	s_cselect_b32 s9, s15, s9
	s_add_i32 s11, s10, 1
	s_cmp_ge_u32 s9, s22
	s_cselect_b32 s10, s11, s10
.LBB58_3:
	s_add_i32 s9, s6, 1
	s_mul_hi_i32 s21, s3, s9
	s_mov_b32 s20, 0
	s_cmp_lg_u64 s[20:21], 0
	s_mul_i32 s9, s3, s9
	s_cbranch_scc0 .LBB58_21
; %bb.4:
	s_add_u32 s16, s22, 0
	s_addc_u32 s17, 0, 0
	s_xor_b64 s[18:19], s[16:17], 0
	v_cvt_f32_u32_e32 v1, s18
	v_cvt_f32_u32_e32 v2, s19
	s_sub_u32 s11, 0, s18
	s_waitcnt lgkmcnt(0)
	s_subb_u32 s15, 0, s19
	v_madmk_f32 v1, v2, 0x4f800000, v1
	v_rcp_f32_e32 v1, v1
	v_mul_f32_e32 v1, 0x5f7ffffc, v1
	v_mul_f32_e32 v2, 0x2f800000, v1
	v_trunc_f32_e32 v2, v2
	v_madmk_f32 v1, v2, 0xcf800000, v1
	v_cvt_u32_f32_e32 v2, v2
	v_cvt_u32_f32_e32 v1, v1
	v_readfirstlane_b32 s20, v2
	v_readfirstlane_b32 s23, v1
	s_mul_i32 s24, s11, s20
	s_mul_hi_u32 s26, s11, s23
	s_mul_i32 s25, s15, s23
	s_add_i32 s24, s26, s24
	s_add_i32 s24, s24, s25
	s_mul_i32 s27, s11, s23
	s_mul_i32 s26, s23, s24
	s_mul_hi_u32 s28, s23, s27
	s_mul_hi_u32 s25, s23, s24
	s_add_u32 s26, s28, s26
	s_addc_u32 s25, 0, s25
	s_mul_hi_u32 s29, s20, s27
	s_mul_i32 s27, s20, s27
	s_add_u32 s26, s26, s27
	s_mul_hi_u32 s28, s20, s24
	s_addc_u32 s25, s25, s29
	s_addc_u32 s26, s28, 0
	s_mul_i32 s24, s20, s24
	s_add_u32 s24, s25, s24
	s_addc_u32 s26, 0, s26
	s_add_u32 s23, s23, s24
	s_cselect_b64 s[24:25], -1, 0
	s_cmp_lg_u64 s[24:25], 0
	s_addc_u32 s20, s20, s26
	s_mul_i32 s24, s11, s20
	s_mul_hi_u32 s25, s11, s23
	s_add_i32 s24, s25, s24
	s_mul_i32 s15, s15, s23
	s_add_i32 s24, s24, s15
	s_mul_i32 s11, s11, s23
	s_mul_hi_u32 s25, s20, s11
	s_mul_i32 s26, s20, s11
	s_mul_i32 s28, s23, s24
	s_mul_hi_u32 s11, s23, s11
	s_mul_hi_u32 s27, s23, s24
	s_add_u32 s11, s11, s28
	s_addc_u32 s27, 0, s27
	s_add_u32 s11, s11, s26
	s_mul_hi_u32 s15, s20, s24
	s_addc_u32 s11, s27, s25
	s_addc_u32 s15, s15, 0
	s_mul_i32 s24, s20, s24
	s_add_u32 s11, s11, s24
	s_addc_u32 s15, 0, s15
	s_add_u32 s11, s23, s11
	s_cselect_b64 s[24:25], -1, 0
	s_cmp_lg_u64 s[24:25], 0
	s_addc_u32 s15, s20, s15
	s_ashr_i32 s24, s21, 31
	s_add_u32 s20, s9, s24
	s_mov_b32 s25, s24
	s_addc_u32 s21, s21, s24
	s_xor_b64 s[20:21], s[20:21], s[24:25]
	s_mul_i32 s26, s20, s15
	s_mul_hi_u32 s27, s20, s11
	s_mul_hi_u32 s23, s20, s15
	s_add_u32 s26, s27, s26
	s_addc_u32 s23, 0, s23
	s_mul_hi_u32 s28, s21, s11
	s_mul_i32 s11, s21, s11
	s_add_u32 s11, s26, s11
	s_mul_hi_u32 s27, s21, s15
	s_addc_u32 s11, s23, s28
	s_addc_u32 s23, s27, 0
	s_mul_i32 s15, s21, s15
	s_add_u32 s11, s11, s15
	s_addc_u32 s15, 0, s23
	s_mul_i32 s23, s18, s15
	s_mul_hi_u32 s26, s18, s11
	s_add_i32 s23, s26, s23
	s_mul_i32 s26, s19, s11
	s_add_i32 s23, s23, s26
	s_sub_i32 s28, s21, s23
	s_mul_i32 s26, s18, s11
	s_sub_u32 s20, s20, s26
	s_cselect_b64 s[26:27], -1, 0
	s_cmp_lg_u64 s[26:27], 0
	s_subb_u32 s30, s28, s19
	s_sub_u32 s31, s20, s18
	s_cselect_b64 s[28:29], -1, 0
	s_cmp_lg_u64 s[28:29], 0
	s_subb_u32 s28, s30, 0
	s_cmp_ge_u32 s28, s19
	s_cselect_b32 s29, -1, 0
	s_cmp_ge_u32 s31, s18
	s_cselect_b32 s30, -1, 0
	s_cmp_eq_u32 s28, s19
	s_cselect_b32 s28, s30, s29
	s_add_u32 s29, s11, 1
	s_addc_u32 s30, s15, 0
	s_add_u32 s31, s11, 2
	s_addc_u32 s33, s15, 0
	s_cmp_lg_u32 s28, 0
	s_cselect_b32 s28, s31, s29
	s_cselect_b32 s29, s33, s30
	s_cmp_lg_u64 s[26:27], 0
	s_subb_u32 s21, s21, s23
	s_cmp_ge_u32 s21, s19
	s_cselect_b32 s23, -1, 0
	s_cmp_ge_u32 s20, s18
	s_cselect_b32 s18, -1, 0
	s_cmp_eq_u32 s21, s19
	s_cselect_b32 s18, s18, s23
	s_cmp_lg_u32 s18, 0
	s_cselect_b32 s19, s29, s15
	s_cselect_b32 s18, s28, s11
	s_xor_b64 s[20:21], s[24:25], 0
	s_xor_b64 s[18:19], s[18:19], s[20:21]
	s_sub_u32 s18, s18, s20
	s_cbranch_execnz .LBB58_6
.LBB58_5:
	v_cvt_f32_u32_e32 v1, s22
	s_sub_i32 s11, 0, s22
	v_rcp_iflag_f32_e32 v1, v1
	v_mul_f32_e32 v1, 0x4f7ffffe, v1
	v_cvt_u32_f32_e32 v1, v1
	s_waitcnt lgkmcnt(0)
	v_readfirstlane_b32 s15, v1
	s_mul_i32 s11, s11, s15
	s_mul_hi_u32 s11, s15, s11
	s_add_i32 s15, s15, s11
	s_mul_hi_u32 s11, s9, s15
	s_mul_i32 s16, s11, s22
	s_sub_i32 s9, s9, s16
	s_add_i32 s15, s11, 1
	s_sub_i32 s16, s9, s22
	s_cmp_ge_u32 s9, s22
	s_cselect_b32 s11, s15, s11
	s_cselect_b32 s9, s16, s9
	s_add_i32 s15, s11, 1
	s_cmp_ge_u32 s9, s22
	s_cselect_b32 s18, s15, s11
.LBB58_6:
	s_cmp_eq_u32 s10, s18
	s_waitcnt lgkmcnt(0)
	s_mul_hi_u32 s9, s10, s12
	s_cselect_b64 s[16:17], -1, 0
	s_add_i32 s9, s9, s10
	s_lshr_b32 s11, s9, s13
	s_mul_i32 s9, s11, s14
	s_cmp_eq_u32 s9, s10
	s_mul_hi_u32 s9, s18, s12
	s_cselect_b64 s[20:21], -1, 0
	s_add_i32 s9, s9, s18
	s_lshr_b32 s9, s9, s13
	s_cmp_eq_u32 s11, s9
	s_mul_i32 s9, s9, s14
	s_cselect_b64 s[24:25], -1, 0
	s_cmp_lg_u32 s9, s18
	s_cselect_b64 s[18:19], -1, 0
	s_and_b64 s[18:19], s[24:25], s[18:19]
	s_or_b64 s[16:17], s[16:17], s[20:21]
	s_or_b64 s[16:17], s[16:17], s[18:19]
	s_and_b64 vcc, exec, s[16:17]
	s_cbranch_vccnz .LBB58_23
; %bb.7:
	s_load_dwordx8 s[24:31], s[4:5], 0x20
	s_load_dword s15, s[4:5], 0x40
	s_waitcnt lgkmcnt(0)
	s_mul_hi_u32 s9, s10, s24
	s_add_i32 s9, s9, s10
	s_lshr_b32 s9, s9, s25
	s_mul_i32 s16, s9, s26
	s_sub_i32 s16, s10, s16
	s_mul_hi_u32 s17, s16, s27
	s_add_i32 s17, s16, s17
	s_lshr_b32 s23, s17, s28
	s_mul_i32 s17, s23, s29
	s_sub_i32 s16, s16, s17
	;; [unrolled: 5-line block ×3, first 2 shown]
	s_mul_hi_u32 s16, s15, s12
	s_add_i32 s15, s15, s16
	s_lshr_b32 s24, s15, s13
	s_lshl_b32 s15, s24, 5
	s_add_i32 s15, s15, s7
	s_cmp_lt_i32 s15, s0
	s_cselect_b64 s[16:17], -1, 0
	s_add_i32 s25, s25, s8
	s_cmp_lt_i32 s25, s2
	s_cselect_b64 s[18:19], -1, 0
	s_and_b64 s[16:17], s[16:17], s[18:19]
	s_andn2_b64 vcc, exec, s[16:17]
	s_cbranch_vccnz .LBB58_23
; %bb.8:
	s_load_dwordx4 s[16:19], s[4:5], 0x0
	s_mov_b32 s4, 0
	s_lshl_b32 s20, s22, 7
	s_mov_b32 s21, s4
	s_add_i32 s15, s7, s8
	s_lshl_b64 s[20:21], s[20:21], 2
	s_waitcnt lgkmcnt(0)
	s_add_u32 s20, s18, s20
	s_mul_i32 s0, s9, s0
	s_addc_u32 s21, s19, s21
	s_mul_i32 s23, s23, s2
	s_add_i32 s0, s0, s7
	s_mul_i32 s2, s1, s24
	s_mul_i32 s0, s0, s1
	s_add_i32 s1, s25, s23
	s_add_i32 s0, s1, s0
	s_mulk_i32 s2, 0xe00
	s_mulk_i32 s0, 0x70
	s_add_i32 s2, s2, s0
	v_add_u32_e32 v1, s2, v0
	v_ashrrev_i32_e32 v2, 31, v1
	v_lshlrev_b64 v[1:2], 2, v[1:2]
	v_mov_b32_e32 v3, s17
	v_add_co_u32_e32 v1, vcc, s16, v1
	v_addc_co_u32_e32 v2, vcc, v3, v2, vcc
	global_load_dword v3, v[1:2], off
	v_cvt_f32_u32_e32 v4, s22
	s_lshl_b32 s0, s6, 5
	s_add_i32 s0, s0, s15
	s_ashr_i32 s1, s0, 31
	s_lshl_b64 s[0:1], s[0:1], 3
	v_rcp_iflag_f32_e32 v4, v4
	s_add_u32 s0, s18, s0
	s_addc_u32 s1, s19, s1
	s_load_dwordx2 s[0:1], s[0:1], 0x0
	v_mul_f32_e32 v4, 0x4f7ffffe, v4
	v_cvt_u32_f32_e32 v4, v4
	s_mul_i32 s2, s15, 0x70
	s_add_i32 s24, s6, -1
	v_add_u32_e32 v0, s2, v0
	s_waitcnt lgkmcnt(0)
	v_mov_b32_e32 v6, s1
	v_mov_b32_e32 v7, s0
	s_mov_b32 s2, 0x3fb8aa3b
	s_mov_b32 s16, 0xc2ce8ed0
	;; [unrolled: 1-line block ×4, first 2 shown]
	v_mov_b32_e32 v5, 0x7f800000
	s_mul_hi_i32 s5, s24, s3
	s_cmp_lg_u64 s[4:5], 0
	s_mul_i32 s8, s24, s3
	s_cbranch_scc0 .LBB58_19
.LBB58_9:
	s_add_u32 s0, s22, 0
	s_addc_u32 s1, 0, 0
	s_xor_b64 s[0:1], s[0:1], 0
	v_cvt_f32_u32_e32 v8, s0
	v_cvt_f32_u32_e32 v9, s1
	s_sub_u32 s9, 0, s0
	s_subb_u32 s25, 0, s1
	v_mac_f32_e32 v8, 0x4f800000, v9
	v_rcp_f32_e32 v8, v8
	v_mul_f32_e32 v8, 0x5f7ffffc, v8
	v_mul_f32_e32 v9, 0x2f800000, v8
	v_trunc_f32_e32 v9, v9
	v_mac_f32_e32 v8, 0xcf800000, v9
	v_cvt_u32_f32_e32 v9, v9
	v_cvt_u32_f32_e32 v8, v8
	v_readfirstlane_b32 s26, v9
	v_readfirstlane_b32 s6, v8
	s_mul_i32 s7, s9, s26
	s_mul_hi_u32 s28, s9, s6
	s_mul_i32 s27, s25, s6
	s_add_i32 s7, s28, s7
	s_mul_i32 s29, s9, s6
	s_add_i32 s7, s7, s27
	s_mul_i32 s28, s6, s7
	s_mul_hi_u32 s30, s6, s29
	s_mul_hi_u32 s27, s6, s7
	s_add_u32 s28, s30, s28
	s_addc_u32 s27, 0, s27
	s_mul_hi_u32 s31, s26, s29
	s_mul_i32 s29, s26, s29
	s_add_u32 s28, s28, s29
	s_mul_hi_u32 s30, s26, s7
	s_addc_u32 s27, s27, s31
	s_addc_u32 s28, s30, 0
	s_mul_i32 s7, s26, s7
	s_add_u32 s7, s27, s7
	s_addc_u32 s27, 0, s28
	s_add_u32 s28, s6, s7
	s_cselect_b64 s[6:7], -1, 0
	s_cmp_lg_u64 s[6:7], 0
	s_addc_u32 s26, s26, s27
	s_mul_i32 s6, s9, s26
	s_mul_hi_u32 s7, s9, s28
	s_add_i32 s6, s7, s6
	s_mul_i32 s25, s25, s28
	s_add_i32 s6, s6, s25
	s_mul_i32 s9, s9, s28
	s_mul_hi_u32 s25, s26, s9
	s_mul_i32 s27, s26, s9
	s_mul_i32 s30, s28, s6
	s_mul_hi_u32 s9, s28, s9
	s_mul_hi_u32 s29, s28, s6
	s_add_u32 s9, s9, s30
	s_addc_u32 s29, 0, s29
	s_add_u32 s9, s9, s27
	s_mul_hi_u32 s7, s26, s6
	s_addc_u32 s9, s29, s25
	s_addc_u32 s7, s7, 0
	s_mul_i32 s6, s26, s6
	s_add_u32 s6, s9, s6
	s_addc_u32 s9, 0, s7
	s_add_u32 s25, s28, s6
	s_cselect_b64 s[6:7], -1, 0
	s_cmp_lg_u64 s[6:7], 0
	s_addc_u32 s9, s26, s9
	s_ashr_i32 s6, s5, 31
	s_add_u32 s26, s8, s6
	s_mov_b32 s7, s6
	s_addc_u32 s27, s5, s6
	s_xor_b64 s[26:27], s[26:27], s[6:7]
	s_mul_i32 s28, s26, s9
	s_mul_hi_u32 s29, s26, s25
	s_mul_hi_u32 s5, s26, s9
	s_add_u32 s28, s29, s28
	s_addc_u32 s5, 0, s5
	s_mul_hi_u32 s30, s27, s25
	s_mul_i32 s25, s27, s25
	s_add_u32 s25, s28, s25
	s_mul_hi_u32 s29, s27, s9
	s_addc_u32 s5, s5, s30
	s_addc_u32 s25, s29, 0
	s_mul_i32 s9, s27, s9
	s_add_u32 s5, s5, s9
	s_addc_u32 s9, 0, s25
	s_mul_i32 s25, s0, s9
	s_mul_hi_u32 s28, s0, s5
	s_add_i32 s25, s28, s25
	s_mul_i32 s28, s1, s5
	s_add_i32 s25, s25, s28
	s_sub_i32 s30, s27, s25
	s_mul_i32 s28, s0, s5
	s_sub_u32 s26, s26, s28
	s_cselect_b64 s[28:29], -1, 0
	s_cmp_lg_u64 s[28:29], 0
	s_subb_u32 s33, s30, s1
	s_sub_u32 s34, s26, s0
	s_cselect_b64 s[30:31], -1, 0
	s_cmp_lg_u64 s[30:31], 0
	s_subb_u32 s30, s33, 0
	s_cmp_ge_u32 s30, s1
	s_cselect_b32 s31, -1, 0
	s_cmp_ge_u32 s34, s0
	s_cselect_b32 s33, -1, 0
	s_cmp_eq_u32 s30, s1
	s_cselect_b32 s30, s33, s31
	s_add_u32 s31, s5, 1
	s_addc_u32 s33, s9, 0
	s_add_u32 s34, s5, 2
	s_addc_u32 s35, s9, 0
	s_cmp_lg_u32 s30, 0
	s_cselect_b32 s30, s34, s31
	s_cselect_b32 s31, s35, s33
	s_cmp_lg_u64 s[28:29], 0
	s_subb_u32 s25, s27, s25
	s_cmp_ge_u32 s25, s1
	s_cselect_b32 s27, -1, 0
	s_cmp_ge_u32 s26, s0
	s_cselect_b32 s0, -1, 0
	s_cmp_eq_u32 s25, s1
	s_cselect_b32 s0, s0, s27
	s_cmp_lg_u32 s0, 0
	s_cselect_b32 s1, s31, s9
	s_cselect_b32 s0, s30, s5
	s_xor_b64 s[6:7], s[6:7], 0
	s_xor_b64 s[0:1], s[0:1], s[6:7]
	s_sub_u32 s6, s0, s6
	s_cbranch_execnz .LBB58_11
.LBB58_10:
	s_sub_i32 s0, 0, s22
	v_readfirstlane_b32 s1, v4
	s_mul_i32 s0, s0, s1
	s_mul_hi_u32 s0, s1, s0
	s_add_i32 s1, s1, s0
	s_mul_hi_u32 s0, s8, s1
	s_mul_i32 s5, s0, s22
	s_sub_i32 s5, s8, s5
	s_add_i32 s1, s0, 1
	s_sub_i32 s6, s5, s22
	s_cmp_ge_u32 s5, s22
	s_cselect_b32 s0, s1, s0
	s_cselect_b32 s5, s6, s5
	s_add_i32 s1, s0, 1
	s_cmp_ge_u32 s5, s22
	s_cselect_b32 s6, s1, s0
.LBB58_11:
	s_cmp_lg_u32 s10, s6
	s_mov_b64 s[8:9], -1
                                        ; implicit-def: $sgpr0_sgpr1
                                        ; implicit-def: $vgpr10
                                        ; implicit-def: $vgpr8
                                        ; implicit-def: $vgpr9
                                        ; implicit-def: $sgpr5
                                        ; implicit-def: $sgpr7
	s_cbranch_scc1 .LBB58_14
; %bb.12:
	s_andn2_b64 vcc, exec, s[8:9]
	s_cbranch_vccz .LBB58_17
.LBB58_13:
	s_andn2_b64 vcc, exec, s[0:1]
	s_cbranch_vccnz .LBB58_18
	s_branch .LBB58_22
.LBB58_14:
	s_add_i32 s0, s24, s22
	s_lshl_b32 s0, s0, 5
	s_add_i32 s0, s0, s15
	s_mov_b32 s1, s4
	s_lshl_b64 s[0:1], s[0:1], 3
	s_add_u32 s8, s18, s0
	s_mul_hi_u32 s0, s6, s12
	s_addc_u32 s9, s19, s1
	s_add_i32 s0, s0, s6
	s_lshr_b32 s5, s0, s13
	s_mul_i32 s0, s5, s14
	s_cmp_eq_u32 s0, s6
	s_cselect_b64 s[0:1], -1, 0
	s_cmp_lt_u32 s5, s11
	s_cselect_b64 s[26:27], -1, 0
	s_or_b64 s[26:27], s[26:27], s[0:1]
	s_mov_b64 s[0:1], -1
	s_and_b64 vcc, exec, s[26:27]
	s_mov_b32 s5, s24
	s_mov_b32 s7, s10
	s_cbranch_vccnz .LBB58_16
; %bb.15:
	s_add_i32 s5, s24, -1
	s_mov_b64 s[0:1], 0
	s_mov_b32 s7, s6
.LBB58_16:
	s_mul_i32 s6, s24, 0xe00
	v_add_u32_e32 v8, s6, v0
	v_ashrrev_i32_e32 v9, 31, v8
	v_lshlrev_b64 v[8:9], 2, v[8:9]
	v_mov_b32_e32 v10, s21
	v_add_co_u32_e32 v8, vcc, s20, v8
	v_addc_co_u32_e32 v9, vcc, v10, v9, vcc
	global_load_dword v10, v[8:9], off
	s_load_dwordx2 s[8:9], s[8:9], 0x0
	v_max_f32_e32 v8, v7, v7
	s_waitcnt lgkmcnt(0)
	v_max_f32_e64 v9, s8, s8
	v_max_f32_e32 v8, v8, v9
	v_sub_f32_e32 v9, v7, v8
	v_sub_f32_e32 v11, s8, v8
	v_mul_f32_e32 v12, 0x3fb8aa3b, v9
	v_mul_f32_e32 v13, 0x3fb8aa3b, v11
	v_fma_f32 v14, v9, s2, -v12
	v_rndne_f32_e32 v15, v12
	v_fma_f32 v16, v11, s2, -v13
	v_rndne_f32_e32 v17, v13
	v_fmac_f32_e32 v14, 0x32a5705f, v9
	v_sub_f32_e32 v12, v12, v15
	v_fmac_f32_e32 v16, 0x32a5705f, v11
	v_sub_f32_e32 v13, v13, v17
	v_add_f32_e32 v12, v12, v14
	v_cvt_i32_f32_e32 v15, v15
	v_add_f32_e32 v13, v13, v16
	v_exp_f32_e32 v12, v12
	v_cvt_i32_f32_e32 v17, v17
	v_exp_f32_e32 v13, v13
	v_cmp_ngt_f32_e32 vcc, s16, v9
	v_ldexp_f32 v12, v12, v15
	v_cndmask_b32_e32 v12, 0, v12, vcc
	v_ldexp_f32 v13, v13, v17
	v_cmp_ngt_f32_e32 vcc, s16, v11
	v_cndmask_b32_e32 v13, 0, v13, vcc
	v_cmp_nlt_f32_e32 vcc, s17, v9
	v_cndmask_b32_e32 v12, v5, v12, vcc
	v_cmp_nlt_f32_e32 vcc, s17, v11
	v_cndmask_b32_e32 v13, v5, v13, vcc
	v_cmp_le_f32_e32 vcc, s23, v9
	v_cndmask_b32_e32 v12, 0, v12, vcc
	v_cmp_le_f32_e32 vcc, s23, v11
	v_cndmask_b32_e32 v11, 0, v13, vcc
	v_mul_f32_e32 v9, s9, v11
	v_fmac_f32_e32 v9, v6, v12
	s_waitcnt vmcnt(0)
	v_mul_f32_e32 v10, v10, v11
	v_fmac_f32_e32 v10, v3, v12
	s_cbranch_execnz .LBB58_13
.LBB58_17:
	s_add_i32 s5, s24, -1
	s_mov_b32 s7, s10
	v_mov_b32_e32 v9, v6
	v_mov_b32_e32 v8, v7
	s_waitcnt vmcnt(0)
	v_mov_b32_e32 v10, v3
	s_cbranch_execz .LBB58_22
.LBB58_18:
	s_mov_b32 s10, s7
	s_mov_b32 s24, s5
	v_mov_b32_e32 v6, v9
	v_mov_b32_e32 v7, v8
	s_waitcnt vmcnt(0)
	v_mov_b32_e32 v3, v10
	s_mul_hi_i32 s5, s24, s3
	s_cmp_lg_u64 s[4:5], 0
	s_mul_i32 s8, s24, s3
	s_cbranch_scc1 .LBB58_9
.LBB58_19:
                                        ; implicit-def: $sgpr6_sgpr7
	s_branch .LBB58_10
.LBB58_20:
                                        ; implicit-def: $sgpr10_sgpr11
	s_load_dwordx4 s[12:15], s[4:5], 0x44
	s_branch .LBB58_2
.LBB58_21:
                                        ; implicit-def: $sgpr18_sgpr19
	s_branch .LBB58_5
.LBB58_22:
	v_div_scale_f32 v0, s[0:1], v9, v9, v10
	s_waitcnt vmcnt(0)
	v_div_scale_f32 v3, vcc, v10, v9, v10
	v_rcp_f32_e32 v4, v0
	v_fma_f32 v5, -v0, v4, 1.0
	v_fmac_f32_e32 v4, v5, v4
	v_mul_f32_e32 v5, v3, v4
	v_fma_f32 v6, -v0, v5, v3
	v_fmac_f32_e32 v5, v6, v4
	v_fma_f32 v0, -v0, v5, v3
	v_div_fmas_f32 v0, v0, v4, v5
	v_div_fixup_f32 v0, v0, v9, v10
	global_store_dword v[1:2], v0, off
.LBB58_23:
	s_endpgm
	.section	.rodata,"a",@progbits
	.p2align	6, 0x0
	.amdhsa_kernel _ZL33flash_attn_stream_k_fixup_generalILi112ELi32ELi1EEvPfPK15HIP_vector_typeIfLj2EEiiiiS1_IjLj3EES5_S5_S5_
		.amdhsa_group_segment_fixed_size 0
		.amdhsa_private_segment_fixed_size 0
		.amdhsa_kernarg_size 336
		.amdhsa_user_sgpr_count 6
		.amdhsa_user_sgpr_private_segment_buffer 1
		.amdhsa_user_sgpr_dispatch_ptr 0
		.amdhsa_user_sgpr_queue_ptr 0
		.amdhsa_user_sgpr_kernarg_segment_ptr 1
		.amdhsa_user_sgpr_dispatch_id 0
		.amdhsa_user_sgpr_flat_scratch_init 0
		.amdhsa_user_sgpr_private_segment_size 0
		.amdhsa_uses_dynamic_stack 0
		.amdhsa_system_sgpr_private_segment_wavefront_offset 0
		.amdhsa_system_sgpr_workgroup_id_x 1
		.amdhsa_system_sgpr_workgroup_id_y 1
		.amdhsa_system_sgpr_workgroup_id_z 1
		.amdhsa_system_sgpr_workgroup_info 0
		.amdhsa_system_vgpr_workitem_id 0
		.amdhsa_next_free_vgpr 18
		.amdhsa_next_free_sgpr 36
		.amdhsa_reserve_vcc 1
		.amdhsa_reserve_flat_scratch 0
		.amdhsa_float_round_mode_32 0
		.amdhsa_float_round_mode_16_64 0
		.amdhsa_float_denorm_mode_32 3
		.amdhsa_float_denorm_mode_16_64 3
		.amdhsa_dx10_clamp 1
		.amdhsa_ieee_mode 1
		.amdhsa_fp16_overflow 0
		.amdhsa_exception_fp_ieee_invalid_op 0
		.amdhsa_exception_fp_denorm_src 0
		.amdhsa_exception_fp_ieee_div_zero 0
		.amdhsa_exception_fp_ieee_overflow 0
		.amdhsa_exception_fp_ieee_underflow 0
		.amdhsa_exception_fp_ieee_inexact 0
		.amdhsa_exception_int_div_zero 0
	.end_amdhsa_kernel
	.section	.text._ZL33flash_attn_stream_k_fixup_generalILi112ELi32ELi1EEvPfPK15HIP_vector_typeIfLj2EEiiiiS1_IjLj3EES5_S5_S5_,"axG",@progbits,_ZL33flash_attn_stream_k_fixup_generalILi112ELi32ELi1EEvPfPK15HIP_vector_typeIfLj2EEiiiiS1_IjLj3EES5_S5_S5_,comdat
.Lfunc_end58:
	.size	_ZL33flash_attn_stream_k_fixup_generalILi112ELi32ELi1EEvPfPK15HIP_vector_typeIfLj2EEiiiiS1_IjLj3EES5_S5_S5_, .Lfunc_end58-_ZL33flash_attn_stream_k_fixup_generalILi112ELi32ELi1EEvPfPK15HIP_vector_typeIfLj2EEiiiiS1_IjLj3EES5_S5_S5_
                                        ; -- End function
	.set _ZL33flash_attn_stream_k_fixup_generalILi112ELi32ELi1EEvPfPK15HIP_vector_typeIfLj2EEiiiiS1_IjLj3EES5_S5_S5_.num_vgpr, 18
	.set _ZL33flash_attn_stream_k_fixup_generalILi112ELi32ELi1EEvPfPK15HIP_vector_typeIfLj2EEiiiiS1_IjLj3EES5_S5_S5_.num_agpr, 0
	.set _ZL33flash_attn_stream_k_fixup_generalILi112ELi32ELi1EEvPfPK15HIP_vector_typeIfLj2EEiiiiS1_IjLj3EES5_S5_S5_.numbered_sgpr, 36
	.set _ZL33flash_attn_stream_k_fixup_generalILi112ELi32ELi1EEvPfPK15HIP_vector_typeIfLj2EEiiiiS1_IjLj3EES5_S5_S5_.num_named_barrier, 0
	.set _ZL33flash_attn_stream_k_fixup_generalILi112ELi32ELi1EEvPfPK15HIP_vector_typeIfLj2EEiiiiS1_IjLj3EES5_S5_S5_.private_seg_size, 0
	.set _ZL33flash_attn_stream_k_fixup_generalILi112ELi32ELi1EEvPfPK15HIP_vector_typeIfLj2EEiiiiS1_IjLj3EES5_S5_S5_.uses_vcc, 1
	.set _ZL33flash_attn_stream_k_fixup_generalILi112ELi32ELi1EEvPfPK15HIP_vector_typeIfLj2EEiiiiS1_IjLj3EES5_S5_S5_.uses_flat_scratch, 0
	.set _ZL33flash_attn_stream_k_fixup_generalILi112ELi32ELi1EEvPfPK15HIP_vector_typeIfLj2EEiiiiS1_IjLj3EES5_S5_S5_.has_dyn_sized_stack, 0
	.set _ZL33flash_attn_stream_k_fixup_generalILi112ELi32ELi1EEvPfPK15HIP_vector_typeIfLj2EEiiiiS1_IjLj3EES5_S5_S5_.has_recursion, 0
	.set _ZL33flash_attn_stream_k_fixup_generalILi112ELi32ELi1EEvPfPK15HIP_vector_typeIfLj2EEiiiiS1_IjLj3EES5_S5_S5_.has_indirect_call, 0
	.section	.AMDGPU.csdata,"",@progbits
; Kernel info:
; codeLenInByte = 2936
; TotalNumSgprs: 40
; NumVgprs: 18
; ScratchSize: 0
; MemoryBound: 0
; FloatMode: 240
; IeeeMode: 1
; LDSByteSize: 0 bytes/workgroup (compile time only)
; SGPRBlocks: 4
; VGPRBlocks: 4
; NumSGPRsForWavesPerEU: 40
; NumVGPRsForWavesPerEU: 18
; Occupancy: 10
; WaveLimiterHint : 0
; COMPUTE_PGM_RSRC2:SCRATCH_EN: 0
; COMPUTE_PGM_RSRC2:USER_SGPR: 6
; COMPUTE_PGM_RSRC2:TRAP_HANDLER: 0
; COMPUTE_PGM_RSRC2:TGID_X_EN: 1
; COMPUTE_PGM_RSRC2:TGID_Y_EN: 1
; COMPUTE_PGM_RSRC2:TGID_Z_EN: 1
; COMPUTE_PGM_RSRC2:TIDIG_COMP_CNT: 0
	.section	.text._ZL15flash_attn_tileILi112ELi112ELi16ELi1ELb0EEvPKcS1_S1_S1_S1_PKiPfP15HIP_vector_typeIfLj2EEffffjfiS5_IjLj3EEiiiiiiiiiiiliiliiiiil,"axG",@progbits,_ZL15flash_attn_tileILi112ELi112ELi16ELi1ELb0EEvPKcS1_S1_S1_S1_PKiPfP15HIP_vector_typeIfLj2EEffffjfiS5_IjLj3EEiiiiiiiiiiiliiliiiiil,comdat
	.globl	_ZL15flash_attn_tileILi112ELi112ELi16ELi1ELb0EEvPKcS1_S1_S1_S1_PKiPfP15HIP_vector_typeIfLj2EEffffjfiS5_IjLj3EEiiiiiiiiiiiliiliiiiil ; -- Begin function _ZL15flash_attn_tileILi112ELi112ELi16ELi1ELb0EEvPKcS1_S1_S1_S1_PKiPfP15HIP_vector_typeIfLj2EEffffjfiS5_IjLj3EEiiiiiiiiiiiliiliiiiil
	.p2align	8
	.type	_ZL15flash_attn_tileILi112ELi112ELi16ELi1ELb0EEvPKcS1_S1_S1_S1_PKiPfP15HIP_vector_typeIfLj2EEffffjfiS5_IjLj3EEiiiiiiiiiiiliiliiiiil,@function
_ZL15flash_attn_tileILi112ELi112ELi16ELi1ELb0EEvPKcS1_S1_S1_S1_PKiPfP15HIP_vector_typeIfLj2EEffffjfiS5_IjLj3EEiiiiiiiiiiiliiliiiiil: ; @_ZL15flash_attn_tileILi112ELi112ELi16ELi1ELb0EEvPKcS1_S1_S1_S1_PKiPfP15HIP_vector_typeIfLj2EEffffjfiS5_IjLj3EEiiiiiiiiiiiliiliiiiil
; %bb.0:
	s_load_dwordx4 s[52:55], s[4:5], 0x5c
	s_load_dwordx2 s[56:57], s[4:5], 0x80
	s_add_u32 flat_scratch_lo, s6, s11
	s_addc_u32 flat_scratch_hi, s7, 0
	s_add_u32 s0, s0, s11
	s_waitcnt lgkmcnt(0)
	v_cvt_f32_u32_e32 v2, s55
	s_addc_u32 s1, s1, 0
	s_sub_i32 s6, 0, s55
	s_load_dwordx16 s[36:51], s[4:5], 0x0
	s_load_dwordx2 s[16:17], s[4:5], 0xb8
	v_rcp_iflag_f32_e32 v2, v2
	s_mov_b64 s[34:35], 0
	v_mul_f32_e32 v2, 0x4f7ffffe, v2
	v_cvt_u32_f32_e32 v2, v2
	v_readfirstlane_b32 s7, v2
	s_mul_i32 s6, s6, s7
	s_mul_hi_u32 s6, s7, s6
	s_add_i32 s7, s7, s6
	s_mul_hi_u32 s6, s10, s7
	s_mul_i32 s7, s6, s55
	s_sub_i32 s7, s10, s7
	s_add_i32 s11, s6, 1
	s_sub_i32 s12, s7, s55
	s_cmp_ge_u32 s7, s55
	s_cselect_b32 s6, s11, s6
	s_cselect_b32 s7, s12, s7
	s_add_i32 s11, s6, 1
	s_cmp_ge_u32 s7, s55
	s_cselect_b32 s33, s11, s6
	s_abs_i32 s6, s57
	v_cvt_f32_u32_e32 v2, s6
	s_sub_i32 s12, 0, s6
	s_abs_i32 s11, s55
	s_xor_b32 s7, s55, s57
	v_rcp_iflag_f32_e32 v2, v2
	s_ashr_i32 s7, s7, 31
	v_mul_f32_e32 v2, 0x4f7ffffe, v2
	v_cvt_u32_f32_e32 v2, v2
	v_readfirstlane_b32 s13, v2
	s_mul_i32 s12, s12, s13
	s_mul_hi_u32 s12, s13, s12
	s_add_i32 s13, s13, s12
	s_mul_hi_u32 s12, s11, s13
	s_mul_i32 s13, s12, s6
	s_sub_i32 s11, s11, s13
	s_add_i32 s14, s12, 1
	s_sub_i32 s13, s11, s6
	s_cmp_ge_u32 s11, s6
	s_cselect_b32 s12, s14, s12
	s_cselect_b32 s11, s13, s11
	s_add_i32 s13, s12, 1
	s_cmp_ge_u32 s11, s6
	s_cselect_b32 s6, s13, s12
	s_xor_b32 s6, s6, s7
	s_sub_i32 s19, s6, s7
	s_abs_i32 s18, s19
	v_cvt_f32_u32_e32 v2, s18
	s_sub_i32 s7, 0, s18
	s_mul_i32 s6, s33, s55
	s_waitcnt lgkmcnt(0)
	s_cmp_eq_u64 s[42:43], 0
	v_rcp_iflag_f32_e32 v2, v2
	v_mul_f32_e32 v2, 0x4f7ffffe, v2
	v_cvt_u32_f32_e32 v2, v2
	v_readfirstlane_b32 s20, v2
	s_mul_i32 s7, s7, s20
	s_cbranch_scc1 .LBB59_2
; %bb.1:
	s_abs_i32 s11, s16
	v_cvt_f32_u32_e32 v2, s11
	s_sub_i32 s16, 0, s11
	s_abs_i32 s15, s33
	s_ashr_i32 s14, s33, 31
	v_rcp_iflag_f32_e32 v2, v2
	s_load_dwordx2 s[12:13], s[4:5], 0xc8
	v_mul_f32_e32 v2, 0x4f7ffffe, v2
	v_cvt_u32_f32_e32 v2, v2
	v_readfirstlane_b32 s21, v2
	s_mul_i32 s16, s16, s21
	s_mul_hi_u32 s16, s21, s16
	s_add_i32 s21, s21, s16
	s_mul_hi_u32 s16, s15, s21
	s_mul_i32 s16, s16, s11
	s_sub_i32 s15, s15, s16
	s_sub_i32 s16, s15, s11
	s_cmp_ge_u32 s15, s11
	s_cselect_b32 s15, s16, s15
	s_sub_i32 s16, s15, s11
	s_cmp_ge_u32 s15, s11
	s_cselect_b32 s11, s16, s15
	s_xor_b32 s11, s11, s14
	s_sub_i32 s11, s11, s14
	s_ashr_i32 s14, s11, 31
	s_waitcnt lgkmcnt(0)
	s_mul_hi_u32 s15, s12, s11
	s_mul_i32 s14, s12, s14
	s_mul_i32 s13, s13, s11
	s_add_i32 s14, s15, s14
	s_add_i32 s14, s14, s13
	s_mul_i32 s11, s12, s11
	s_add_u32 s34, s42, s11
	s_addc_u32 s35, s43, s14
.LBB59_2:
	s_load_dwordx4 s[12:15], s[4:5], 0x40
	s_sub_i32 s30, s10, s6
	s_load_dword s6, s[4:5], 0x50
	s_mul_hi_u32 s16, s20, s7
	v_mov_b32_e32 v75, 1.0
	s_waitcnt lgkmcnt(0)
	v_cmp_le_f32_e64 s[10:11], s13, 0
	s_and_b64 vcc, exec, s[10:11]
	s_cbranch_vccnz .LBB59_4
; %bb.3:
	v_mov_b32_e32 v2, s6
	v_sub_co_u32_e32 v2, vcc, s30, v2
	v_mov_b32_e32 v3, s15
	v_mov_b32_e32 v4, s14
	s_add_i32 s6, s30, 1
	v_lshlrev_b32_e32 v2, 1, v2
	v_cndmask_b32_e32 v3, v3, v4, vcc
	v_or_b32_e32 v2, 1, v2
	v_mov_b32_e32 v4, s6
	v_cndmask_b32_e32 v2, v2, v4, vcc
	v_cvt_f32_i32_e32 v2, v2
	v_cmp_neq_f32_e32 vcc, 1.0, v3
	s_mov_b32 s6, 0x3f2aaaab
	s_movk_i32 s10, 0x204
	v_cndmask_b32_e32 v4, 1.0, v2, vcc
	v_cmp_neq_f32_e32 vcc, 0, v4
	v_cndmask_b32_e32 v5, 1.0, v3, vcc
	v_frexp_mant_f32_e64 v2, |v5|
	v_cmp_gt_f32_e32 vcc, s6, v2
	v_cndmask_b32_e64 v3, 1.0, 2.0, vcc
	v_mul_f32_e32 v2, v2, v3
	v_add_f32_e32 v3, 1.0, v2
	v_rcp_f32_e32 v6, v3
	v_add_f32_e32 v7, -1.0, v2
	v_add_f32_e32 v8, -1.0, v3
	v_sub_f32_e32 v2, v2, v8
	v_mul_f32_e32 v8, v7, v6
	v_mul_f32_e32 v9, v3, v8
	v_fma_f32 v3, v8, v3, -v9
	v_fmac_f32_e32 v3, v8, v2
	v_add_f32_e32 v2, v9, v3
	v_sub_f32_e32 v10, v7, v2
	v_sub_f32_e32 v9, v2, v9
	;; [unrolled: 1-line block ×5, first 2 shown]
	v_add_f32_e32 v2, v3, v2
	v_add_f32_e32 v2, v10, v2
	v_mul_f32_e32 v2, v6, v2
	v_add_f32_e32 v6, v8, v2
	v_sub_f32_e32 v3, v6, v8
	v_sub_f32_e32 v7, v2, v3
	v_mul_f32_e32 v2, v6, v6
	v_fma_f32 v3, v6, v6, -v2
	v_add_f32_e32 v8, v7, v7
	v_fmac_f32_e32 v3, v6, v8
	v_add_f32_e32 v8, v2, v3
	v_mov_b32_e32 v9, 0x3e91f4c4
	v_sub_f32_e32 v2, v8, v2
	v_fmac_f32_e32 v9, 0x3e76c4e1, v8
	v_mov_b32_e32 v10, 0x3ecccdef
	v_sub_f32_e32 v2, v3, v2
	v_mul_f32_e32 v3, v6, v8
	v_fmac_f32_e32 v10, v8, v9
	v_fma_f32 v9, v8, v6, -v3
	v_fmac_f32_e32 v9, v8, v7
	v_fmac_f32_e32 v9, v2, v6
	v_add_f32_e32 v11, v3, v9
	v_sub_f32_e32 v3, v11, v3
	v_sub_f32_e32 v9, v9, v3
	v_mul_f32_e32 v3, v8, v10
	v_fma_f32 v8, v8, v10, -v3
	v_fmac_f32_e32 v8, v2, v10
	v_add_f32_e32 v10, v3, v8
	v_sub_f32_e32 v2, v10, v3
	v_sub_f32_e32 v8, v8, v2
	v_cvt_f64_f32_e64 v[2:3], |v5|
	v_add_f32_e32 v12, 0x3f2aaaaa, v10
	v_add_f32_e32 v13, 0xbf2aaaaa, v12
	;; [unrolled: 1-line block ×3, first 2 shown]
	v_frexp_exp_i32_f64_e32 v2, v[2:3]
	v_sub_f32_e32 v10, v10, v13
	v_add_f32_e32 v3, v8, v10
	v_add_f32_e32 v8, v12, v3
	v_sub_f32_e32 v10, v12, v8
	v_add_f32_e32 v3, v3, v10
	v_mul_f32_e32 v10, v11, v8
	v_fma_f32 v12, v11, v8, -v10
	v_subbrev_co_u32_e32 v2, vcc, 0, v2, vcc
	v_cvt_f32_i32_e32 v2, v2
	v_fmac_f32_e32 v12, v11, v3
	s_mov_b32 s6, 0x3f317218
	v_fmac_f32_e32 v12, v9, v8
	v_mul_f32_e32 v3, 0x3f317218, v2
	v_fma_f32 v8, v2, s6, -v3
	v_fmac_f32_e32 v8, 0xb102e308, v2
	v_ldexp_f32 v2, v7, 1
	v_add_f32_e32 v7, v3, v8
	v_sub_f32_e32 v3, v7, v3
	v_ldexp_f32 v6, v6, 1
	v_sub_f32_e32 v3, v8, v3
	v_add_f32_e32 v8, v10, v12
	v_sub_f32_e32 v9, v8, v10
	v_add_f32_e32 v10, v6, v8
	v_sub_f32_e32 v9, v12, v9
	v_sub_f32_e32 v6, v10, v6
	;; [unrolled: 1-line block ×3, first 2 shown]
	v_add_f32_e32 v2, v2, v9
	v_add_f32_e32 v2, v2, v6
	;; [unrolled: 1-line block ×3, first 2 shown]
	v_sub_f32_e32 v8, v6, v10
	v_sub_f32_e32 v2, v2, v8
	v_add_f32_e32 v8, v7, v6
	v_sub_f32_e32 v9, v8, v7
	v_sub_f32_e32 v10, v8, v9
	;; [unrolled: 1-line block ×4, first 2 shown]
	v_add_f32_e32 v6, v6, v7
	v_add_f32_e32 v7, v3, v2
	v_sub_f32_e32 v9, v7, v3
	v_sub_f32_e32 v10, v7, v9
	;; [unrolled: 1-line block ×4, first 2 shown]
	v_add_f32_e32 v2, v2, v3
	v_add_f32_e32 v3, v7, v6
	;; [unrolled: 1-line block ×3, first 2 shown]
	v_sub_f32_e32 v7, v6, v8
	v_sub_f32_e32 v3, v3, v7
	v_add_f32_e32 v2, v2, v3
	v_add_f32_e32 v3, v6, v2
	v_sub_f32_e32 v6, v3, v6
	v_sub_f32_e32 v2, v2, v6
	v_mul_f32_e32 v6, v4, v3
	v_fma_f32 v3, v4, v3, -v6
	v_fmac_f32_e32 v3, v4, v2
	v_add_f32_e32 v2, v6, v3
	v_cmp_class_f32_e64 vcc, v6, s10
	v_sub_f32_e32 v7, v2, v6
	v_cndmask_b32_e32 v2, v2, v6, vcc
	s_mov_b32 s7, 0x42b17218
	v_mov_b32_e32 v6, 0x37000000
	v_cmp_eq_f32_e32 vcc, s7, v2
	v_cndmask_b32_e32 v6, 0, v6, vcc
	v_sub_f32_e32 v3, v3, v7
	v_sub_f32_e32 v7, v2, v6
	s_mov_b32 s11, 0x3fb8aa3b
	v_mul_f32_e32 v8, 0x3fb8aa3b, v7
	v_fma_f32 v9, v7, s11, -v8
	v_rndne_f32_e32 v10, v8
	v_fmac_f32_e32 v9, 0x32a5705f, v7
	v_sub_f32_e32 v8, v8, v10
	v_add_f32_e32 v8, v8, v9
	v_exp_f32_e32 v8, v8
	v_cvt_i32_f32_e32 v9, v10
	s_mov_b32 s6, 0x7f800000
	v_cmp_neq_f32_e64 vcc, |v2|, s6
	s_mov_b32 s6, 0xc2ce8ed0
	v_cndmask_b32_e32 v2, 0, v3, vcc
	v_ldexp_f32 v3, v8, v9
	v_cmp_ngt_f32_e32 vcc, s6, v7
	v_add_f32_e32 v2, v6, v2
	v_cndmask_b32_e32 v3, 0, v3, vcc
	v_mov_b32_e32 v6, 0x7f800000
	v_cmp_nlt_f32_e32 vcc, s7, v7
	v_cndmask_b32_e32 v3, v6, v3, vcc
	v_fma_f32 v2, v3, v2, v3
	v_cmp_class_f32_e64 vcc, v3, s10
	v_cndmask_b32_e32 v2, v2, v3, vcc
	v_trunc_f32_e32 v3, v4
	v_cmp_eq_f32_e32 vcc, v3, v4
	v_mul_f32_e32 v3, 0.5, v4
	v_trunc_f32_e32 v8, v3
	v_cmp_neq_f32_e64 s[6:7], v8, v3
	s_and_b64 s[6:7], vcc, s[6:7]
	v_cndmask_b32_e64 v3, 1.0, v5, s[6:7]
	s_brev_b32 s13, -2
	v_mov_b32_e32 v7, 0x7fc00000
	v_bfi_b32 v2, s13, v2, v3
	v_cndmask_b32_e32 v3, v7, v2, vcc
	v_cmp_gt_f32_e32 vcc, 0, v5
	v_cndmask_b32_e32 v2, v2, v3, vcc
	v_cmp_class_f32_e64 s[14:15], v5, s10
	v_cmp_eq_f32_e32 vcc, 0, v5
	v_cmp_gt_f32_e64 s[10:11], 0, v4
	s_xor_b64 s[10:11], s[10:11], vcc
	v_cndmask_b32_e64 v3, v6, 0, s[10:11]
	v_cndmask_b32_e64 v4, 0, v5, s[6:7]
	v_bfi_b32 v3, s13, v3, v4
	s_or_b64 vcc, vcc, s[14:15]
	v_cndmask_b32_e32 v2, v2, v3, vcc
	v_cmp_o_f32_e32 vcc, v5, v5
	v_cndmask_b32_e32 v75, v7, v2, vcc
.LBB59_4:
	s_load_dwordx4 s[24:27], s[4:5], 0x70
	s_abs_i32 s13, s30
	s_add_i32 s20, s20, s16
	s_lshl_b32 s42, s8, 4
	v_lshlrev_b32_e32 v2, 4, v0
	s_waitcnt lgkmcnt(0)
	s_mul_i32 s6, s33, s26
	s_ashr_i32 s10, s6, 31
	s_mul_i32 s7, s30, s25
	s_add_u32 s6, s36, s6
	s_addc_u32 s10, s37, s10
	s_ashr_i32 s11, s7, 31
	s_add_u32 s14, s6, s7
	s_addc_u32 s15, s10, s11
	v_lshlrev_b32_e32 v67, 1, v1
	s_ashr_i32 s25, s24, 31
	v_mov_b32_e32 v4, s15
	v_add_co_u32_e32 v3, vcc, s14, v2
	v_lshlrev_b32_e32 v69, 3, v0
	v_cmp_gt_u32_e64 s[6:7], 28, v0
	s_lshr_b64 s[10:11], s[24:25], 2
	v_addc_co_u32_e32 v4, vcc, 0, v4, vcc
	v_add_u32_e32 v2, 0x1040, v69
	v_add_u32_e32 v68, s42, v67
	s_and_saveexec_b64 s[14:15], s[6:7]
	s_cbranch_execz .LBB59_6
; %bb.5:
	v_mul_hi_u32 v5, v68, s52
	s_movk_i32 s16, 0x1c0
	v_mad_u32_u24 v9, v1, s16, v2
	v_add_u32_e32 v5, v68, v5
	v_lshrrev_b32_e32 v5, s53, v5
	v_mul_lo_u32 v5, v5, s54
	v_sub_u32_e32 v7, v68, v5
	v_mad_u64_u32 v[5:6], s[22:23], s10, v7, 0
	v_mad_u64_u32 v[6:7], s[22:23], s11, v7, v[6:7]
	v_lshlrev_b64 v[5:6], 2, v[5:6]
	v_add_co_u32_e32 v5, vcc, v3, v5
	v_addc_co_u32_e32 v6, vcc, v4, v6, vcc
	global_load_dwordx4 v[5:8], v[5:6], off
	s_waitcnt vmcnt(0)
	v_fma_mixlo_f16 v5, s12, v5, 0
	v_fma_mixlo_f16 v6, s12, v6, 0
	;; [unrolled: 1-line block ×4, first 2 shown]
	v_lshlrev_b32_e32 v6, 16, v6
	v_and_b32_e32 v5, 0xffff, v5
	v_lshlrev_b32_e32 v8, 16, v8
	v_and_b32_e32 v7, 0xffff, v7
	v_or_b32_e32 v5, v6, v5
	v_or3_b32 v6, v8, v7, 0
	v_or3_b32 v5, 0, 0, v5
	ds_write_b64 v9, v[5:6]
.LBB59_6:
	s_or_b64 exec, exec, s[14:15]
	v_or_b32_e32 v65, 1, v67
	s_mul_hi_u32 s16, s13, s20
	v_add_u32_e32 v66, s42, v65
	s_and_saveexec_b64 s[14:15], s[6:7]
	s_cbranch_execz .LBB59_8
; %bb.7:
	v_mul_hi_u32 v5, v66, s52
	v_add_u32_e32 v5, v66, v5
	v_lshrrev_b32_e32 v5, s53, v5
	v_mul_lo_u32 v5, v5, s54
	v_sub_u32_e32 v7, v66, v5
	v_mad_u64_u32 v[5:6], s[20:21], s10, v7, 0
	v_mad_u64_u32 v[6:7], s[10:11], s11, v7, v[6:7]
	s_movk_i32 s10, 0xe0
	v_mad_u32_u24 v7, v65, s10, v2
	v_lshlrev_b64 v[5:6], 2, v[5:6]
	v_add_co_u32_e32 v3, vcc, v3, v5
	v_addc_co_u32_e32 v4, vcc, v4, v6, vcc
	global_load_dwordx4 v[3:6], v[3:4], off
	s_waitcnt vmcnt(0)
	v_fma_mixlo_f16 v2, s12, v3, 0
	v_fma_mixlo_f16 v3, s12, v4, 0
	;; [unrolled: 1-line block ×4, first 2 shown]
	v_lshlrev_b32_e32 v3, 16, v3
	v_and_b32_e32 v2, 0xffff, v2
	v_lshlrev_b32_e32 v5, 16, v5
	v_and_b32_e32 v4, 0xffff, v4
	v_or_b32_e32 v2, v3, v2
	v_or3_b32 v3, v5, v4, 0
	v_or3_b32 v2, 0, 0, v2
	ds_write_b64 v7, v[2:3]
.LBB59_8:
	s_or_b64 exec, exec, s[14:15]
	s_ashr_i32 s31, s30, 31
	s_ashr_i32 s10, s19, 31
	s_cmp_eq_u64 s[46:47], 0
	s_waitcnt lgkmcnt(0)
	s_barrier
	s_cbranch_scc1 .LBB59_10
; %bb.9:
	s_load_dword s11, s[4:5], 0xd0
	s_mov_b32 s15, 0
	s_waitcnt lgkmcnt(0)
	s_mul_i32 s11, s11, s33
	s_add_i32 s14, s11, s8
	s_lshl_b64 s[14:15], s[14:15], 2
	s_add_u32 s14, s46, s14
	s_addc_u32 s15, s47, s15
	s_load_dword s56, s[14:15], 0x0
.LBB59_10:
	s_nop 0
	s_load_dwordx2 s[14:15], s[4:5], 0x8c
	s_load_dwordx4 s[20:23], s[4:5], 0x98
	s_ashr_i32 s11, s33, 31
	s_ashr_i32 s57, s17, 1
	s_mul_i32 s17, s16, s18
	s_waitcnt lgkmcnt(0)
	s_ashr_i32 s58, s14, 2
	s_mul_hi_u32 s12, s20, s33
	s_mul_i32 s14, s20, s11
	s_add_i32 s12, s12, s14
	s_mul_i32 s14, s21, s33
	s_ashr_i32 s8, s22, 2
	s_add_i32 s12, s12, s14
	s_mul_i32 s14, s20, s33
	s_add_u32 s14, s38, s14
	s_addc_u32 s12, s39, s12
	s_sub_i32 s13, s13, s17
	s_xor_b32 s10, s31, s10
	s_add_i32 s17, s16, 1
	s_sub_i32 s19, s13, s18
	s_cmp_ge_u32 s13, s18
	s_cselect_b32 s16, s17, s16
	s_cselect_b32 s13, s19, s13
	s_add_i32 s17, s16, 1
	s_cmp_ge_u32 s13, s18
	s_cselect_b32 s13, s17, s16
	s_load_dwordx2 s[24:25], s[4:5], 0xa8
	s_xor_b32 s13, s13, s10
	s_sub_i32 s10, s13, s10
	s_mul_i32 s13, s10, s15
	s_ashr_i32 s15, s13, 31
	s_add_u32 s60, s14, s13
	s_addc_u32 s59, s12, s15
	s_waitcnt lgkmcnt(0)
	s_mul_hi_u32 s12, s24, s33
	s_mul_i32 s11, s24, s11
	s_add_i32 s11, s12, s11
	s_mul_i32 s12, s25, s33
	s_add_i32 s11, s11, s12
	s_mul_i32 s12, s24, s33
	s_add_u32 s12, s40, s12
	s_mul_i32 s10, s10, s23
	s_addc_u32 s11, s41, s11
	s_ashr_i32 s13, s10, 31
	s_add_u32 s43, s12, s10
	v_lshlrev_b32_e32 v50, 2, v0
	s_addc_u32 s46, s11, s13
	s_lshl_b32 s47, s9, 5
	s_sub_i32 s61, s56, 32
	s_cmp_ge_i32 s47, s61
	v_lshl_add_u32 v85, v1, 5, v0
	v_lshrrev_b32_e32 v84, 1, v0
	v_lshrrev_b32_e32 v83, 2, v0
	v_lshlrev_b32_e32 v79, 7, v0
	v_and_b32_e32 v77, 4, v50
	v_and_b32_e32 v82, 12, v50
	v_lshrrev_b32_e32 v76, 3, v0
	v_and_b32_e32 v74, 28, v50
	v_mbcnt_lo_u32_b32 v78, -1, 0
	s_cbranch_scc1 .LBB59_42
; %bb.11:
	s_movk_i32 s14, 0x1c0
	v_mov_b32_e32 v12, 0x1040
	v_mad_u32_u24 v88, v1, s14, v12
	v_mul_hi_u32 v12, s52, v68
	v_or_b32_e32 v13, 1, v68
	v_mul_hi_u32 v14, s52, v13
	v_lshl_add_u32 v8, v1, 4, v84
	v_add_u32_e32 v12, v68, v12
	v_lshrrev_b32_e32 v12, s53, v12
	v_add_u32_e32 v14, v13, v14
	v_mul_lo_u32 v12, v12, s54
	v_lshrrev_b32_e32 v14, s53, v14
	v_mul_lo_u32 v14, v14, s54
	v_lshl_add_u32 v9, v1, 3, v83
	v_sub_u32_e32 v12, v68, v12
	v_lshlrev_b32_e32 v5, 7, v8
	v_lshlrev_b32_e32 v10, 2, v77
	v_mul_lo_u32 v89, v12, s57
	v_sub_u32_e32 v12, v13, v14
	v_mul_u32_u24_e32 v13, 0xe0, v8
	v_or3_b32 v86, v5, v10, 64
	v_lshlrev_b32_e32 v11, 2, v82
	v_mul_lo_u32 v90, v12, s57
	v_mov_b32_e32 v12, 0x1e40
	v_or_b32_e32 v13, v13, v10
	v_mul_u32_u24_e32 v10, 0xe0, v9
	s_movk_i32 s21, 0x80
	v_cmp_gt_u32_e64 s[12:13], 32, v9
	v_mul_lo_u32 v6, s58, v9
	v_lshl_or_b32 v87, v9, 7, v11
	v_lshl_add_u32 v91, v1, 7, v12
	v_cmp_gt_u32_e64 s[16:17], 16, v9
	v_lshl_add_u32 v12, v1, 2, v76
	s_movk_i32 s20, 0xe0
	v_add3_u32 v92, v10, v11, s21
	v_mul_lo_u32 v10, s8, v9
	v_lshlrev_b32_e32 v9, 2, v74
	v_mul_lo_u32 v2, s58, v85
	v_cmp_gt_u32_e64 s[10:11], 32, v8
	v_mul_lo_u32 v4, s58, v8
	v_cmp_gt_u32_e64 s[14:15], 16, v8
	v_cmp_gt_u32_e64 s[18:19], 16, v12
	v_mul_lo_u32 v8, s8, v8
	v_mad_u32_u24 v93, v12, s20, v9
	v_mul_lo_u32 v12, s8, v12
	v_ashrrev_i32_e32 v3, 31, v2
	v_ashrrev_i32_e32 v5, 31, v4
	;; [unrolled: 1-line block ×3, first 2 shown]
	s_cmp_lg_u64 s[34:35], 0
	v_add_u32_e32 v94, 0xc0, v13
	v_ashrrev_i32_e32 v9, 31, v8
	v_ashrrev_i32_e32 v11, 31, v10
	;; [unrolled: 1-line block ×3, first 2 shown]
	s_cselect_b64 s[36:37], -1, 0
	s_add_u32 s38, s4, 0xd0
	v_lshlrev_b64 v[53:54], 2, v[2:3]
	v_lshlrev_b64 v[55:56], 2, v[4:5]
	;; [unrolled: 1-line block ×6, first 2 shown]
	v_cmp_gt_u32_e64 s[26:27], 32, v85
	s_addc_u32 s39, s5, 0
	s_mov_b32 s62, 0x3fb8aa3b
	s_mov_b32 s63, 0xc2ce8ed0
	;; [unrolled: 1-line block ×4, first 2 shown]
	v_or_b32_e32 v95, 0x60, v79
	v_mov_b32_e32 v71, 0
	v_mov_b32_e32 v3, 0xfeffffff
	v_lshlrev_b32_e32 v96, 2, v77
	v_lshlrev_b32_e32 v97, 2, v82
	v_mbcnt_hi_u32_b32 v98, -1, v78
	v_mov_b32_e32 v99, 0x7f800000
	v_mov_b32_e32 v70, 0
	;; [unrolled: 1-line block ×7, first 2 shown]
.LBB59_12:                              ; =>This Inner Loop Header: Depth=1
	s_mul_hi_i32 s21, s47, s58
	s_mul_i32 s20, s47, s58
	s_lshl_b64 s[20:21], s[20:21], 2
	s_add_u32 s22, s60, s20
	s_addc_u32 s23, s59, s21
	s_and_saveexec_b64 s[20:21], s[26:27]
	s_cbranch_execnz .LBB59_34
; %bb.13:                               ;   in Loop: Header=BB59_12 Depth=1
	s_or_b64 exec, exec, s[20:21]
	s_and_saveexec_b64 s[20:21], s[10:11]
	s_cbranch_execnz .LBB59_35
.LBB59_14:                              ;   in Loop: Header=BB59_12 Depth=1
	s_or_b64 exec, exec, s[20:21]
	s_and_saveexec_b64 s[20:21], s[12:13]
	s_cbranch_execz .LBB59_16
.LBB59_15:                              ;   in Loop: Header=BB59_12 Depth=1
	v_mov_b32_e32 v4, s23
	v_add_co_u32_e32 v5, vcc, s22, v57
	v_addc_co_u32_e32 v6, vcc, v4, v58, vcc
	v_add_co_u32_e32 v4, vcc, v5, v97
	v_addc_co_u32_e32 v5, vcc, 0, v6, vcc
	global_load_dwordx4 v[4:7], v[4:5], off
	s_waitcnt vmcnt(0)
	ds_write_b128 v87, v[4:7]
.LBB59_16:                              ;   in Loop: Header=BB59_12 Depth=1
	s_or_b64 exec, exec, s[20:21]
	s_waitcnt lgkmcnt(0)
	s_barrier
	ds_read_b128 v[6:9], v79
	ds_read_b128 v[10:13], v88
	ds_read_b128 v[14:17], v88 offset:224
	v_mov_b32_e32 v5, 0
	s_waitcnt lgkmcnt(1)
	;;#ASMSTART
	v_dot2_f32_f16 v5, v6, v10, v5
	;;#ASMEND
	;;#ASMSTART
	v_dot2_f32_f16 v5, v7, v11, v5
	;;#ASMEND
	;; [unrolled: 3-line block ×3, first 2 shown]
	v_mov_b32_e32 v4, 0
	;;#ASMSTART
	v_dot2_f32_f16 v5, v9, v13, v5
	;;#ASMEND
	s_waitcnt lgkmcnt(0)
	;;#ASMSTART
	v_dot2_f32_f16 v4, v6, v14, v4
	;;#ASMEND
	;;#ASMSTART
	v_dot2_f32_f16 v4, v7, v15, v4
	;;#ASMEND
	;;#ASMSTART
	v_dot2_f32_f16 v4, v8, v16, v4
	;;#ASMEND
	;;#ASMSTART
	v_dot2_f32_f16 v4, v9, v17, v4
	;;#ASMEND
	ds_read_b128 v[6:9], v79 offset:16
	ds_read_b128 v[10:13], v88 offset:16
	ds_read_b128 v[14:17], v88 offset:240
	s_waitcnt lgkmcnt(1)
	;;#ASMSTART
	v_dot2_f32_f16 v5, v6, v10, v5
	;;#ASMEND
	;;#ASMSTART
	v_dot2_f32_f16 v5, v7, v11, v5
	;;#ASMEND
	;;#ASMSTART
	v_dot2_f32_f16 v5, v8, v12, v5
	;;#ASMEND
	;;#ASMSTART
	v_dot2_f32_f16 v5, v9, v13, v5
	;;#ASMEND
	s_waitcnt lgkmcnt(0)
	;;#ASMSTART
	v_dot2_f32_f16 v4, v6, v14, v4
	;;#ASMEND
	;;#ASMSTART
	v_dot2_f32_f16 v4, v7, v15, v4
	;;#ASMEND
	;;#ASMSTART
	v_dot2_f32_f16 v4, v8, v16, v4
	;;#ASMEND
	;;#ASMSTART
	v_dot2_f32_f16 v4, v9, v17, v4
	;;#ASMEND
	ds_read_b128 v[6:9], v79 offset:32
	ds_read_b128 v[10:13], v88 offset:32
	ds_read_b128 v[14:17], v88 offset:256
	s_waitcnt lgkmcnt(1)
	;;#ASMSTART
	v_dot2_f32_f16 v5, v6, v10, v5
	;;#ASMEND
	;;#ASMSTART
	v_dot2_f32_f16 v5, v7, v11, v5
	;;#ASMEND
	;;#ASMSTART
	v_dot2_f32_f16 v5, v8, v12, v5
	;;#ASMEND
	;; [unrolled: 29-line block ×6, first 2 shown]
	;;#ASMSTART
	v_dot2_f32_f16 v5, v9, v13, v5
	;;#ASMEND
	s_waitcnt lgkmcnt(0)
	;;#ASMSTART
	v_dot2_f32_f16 v4, v6, v14, v4
	;;#ASMEND
	;;#ASMSTART
	v_dot2_f32_f16 v4, v7, v15, v4
	;;#ASMEND
	;; [unrolled: 3-line block ×4, first 2 shown]
	s_barrier
	s_and_saveexec_b64 s[20:21], s[26:27]
	s_cbranch_execnz .LBB59_36
; %bb.17:                               ;   in Loop: Header=BB59_12 Depth=1
	s_or_b64 exec, exec, s[20:21]
	s_and_saveexec_b64 s[20:21], s[10:11]
	s_cbranch_execnz .LBB59_37
.LBB59_18:                              ;   in Loop: Header=BB59_12 Depth=1
	s_or_b64 exec, exec, s[20:21]
	s_and_saveexec_b64 s[20:21], s[12:13]
	s_cbranch_execz .LBB59_20
.LBB59_19:                              ;   in Loop: Header=BB59_12 Depth=1
	v_mov_b32_e32 v6, s23
	v_add_co_u32_e32 v7, vcc, s22, v57
	v_addc_co_u32_e32 v8, vcc, v6, v58, vcc
	v_add_co_u32_e32 v6, vcc, v7, v97
	v_addc_co_u32_e32 v7, vcc, 0, v8, vcc
	global_load_dwordx4 v[6:9], v[6:7], off offset:112
	s_waitcnt vmcnt(0)
	ds_write_b128 v87, v[6:9]
.LBB59_20:                              ;   in Loop: Header=BB59_12 Depth=1
	s_or_b64 exec, exec, s[20:21]
	s_waitcnt lgkmcnt(0)
	s_barrier
	ds_read_b128 v[6:9], v79
	ds_read_b128 v[10:13], v88 offset:112
	ds_read_b128 v[14:17], v88 offset:336
	s_waitcnt lgkmcnt(1)
	;;#ASMSTART
	v_dot2_f32_f16 v5, v6, v10, v5
	;;#ASMEND
	;;#ASMSTART
	v_dot2_f32_f16 v5, v7, v11, v5
	;;#ASMEND
	;;#ASMSTART
	v_dot2_f32_f16 v5, v8, v12, v5
	;;#ASMEND
	;;#ASMSTART
	v_dot2_f32_f16 v5, v9, v13, v5
	;;#ASMEND
	s_waitcnt lgkmcnt(0)
	;;#ASMSTART
	v_dot2_f32_f16 v4, v6, v14, v4
	;;#ASMEND
	;;#ASMSTART
	v_dot2_f32_f16 v4, v7, v15, v4
	;;#ASMEND
	;;#ASMSTART
	v_dot2_f32_f16 v4, v8, v16, v4
	;;#ASMEND
	;;#ASMSTART
	v_dot2_f32_f16 v4, v9, v17, v4
	;;#ASMEND
	ds_read_b128 v[6:9], v79 offset:16
	ds_read_b128 v[10:13], v88 offset:128
	ds_read_b128 v[14:17], v88 offset:352
	s_waitcnt lgkmcnt(1)
	;;#ASMSTART
	v_dot2_f32_f16 v5, v6, v10, v5
	;;#ASMEND
	;;#ASMSTART
	v_dot2_f32_f16 v5, v7, v11, v5
	;;#ASMEND
	;;#ASMSTART
	v_dot2_f32_f16 v5, v8, v12, v5
	;;#ASMEND
	;;#ASMSTART
	v_dot2_f32_f16 v5, v9, v13, v5
	;;#ASMEND
	s_waitcnt lgkmcnt(0)
	;;#ASMSTART
	v_dot2_f32_f16 v4, v6, v14, v4
	;;#ASMEND
	;;#ASMSTART
	v_dot2_f32_f16 v4, v7, v15, v4
	;;#ASMEND
	;;#ASMSTART
	v_dot2_f32_f16 v4, v8, v16, v4
	;;#ASMEND
	;;#ASMSTART
	v_dot2_f32_f16 v4, v9, v17, v4
	;;#ASMEND
	ds_read_b128 v[6:9], v79 offset:32
	;; [unrolled: 29-line block ×6, first 2 shown]
	ds_read_b128 v[10:13], v88 offset:208
	ds_read_b128 v[14:17], v88 offset:432
	s_waitcnt lgkmcnt(1)
	;;#ASMSTART
	v_dot2_f32_f16 v5, v6, v10, v5
	;;#ASMEND
	;;#ASMSTART
	v_dot2_f32_f16 v5, v7, v11, v5
	;;#ASMEND
	;;#ASMSTART
	v_dot2_f32_f16 v5, v8, v12, v5
	;;#ASMEND
	;;#ASMSTART
	v_dot2_f32_f16 v5, v9, v13, v5
	;;#ASMEND
	s_waitcnt lgkmcnt(0)
	;;#ASMSTART
	v_dot2_f32_f16 v4, v6, v14, v4
	;;#ASMEND
	;;#ASMSTART
	v_dot2_f32_f16 v4, v7, v15, v4
	;;#ASMEND
	;; [unrolled: 3-line block ×3, first 2 shown]
	v_cndmask_b32_e64 v8, 0, 1, s[36:37]
	v_add_u32_e32 v7, s47, v0
	v_mov_b32_e32 v6, 0
	v_cmp_ne_u32_e64 s[20:21], 1, v8
	s_andn2_b64 vcc, exec, s[36:37]
	v_mov_b32_e32 v8, 0
	;;#ASMSTART
	v_dot2_f32_f16 v4, v9, v17, v4
	;;#ASMEND
	s_cbranch_vccnz .LBB59_22
; %bb.21:                               ;   in Loop: Header=BB59_12 Depth=1
	v_add_u32_e32 v8, v7, v89
	v_ashrrev_i32_e32 v9, 31, v8
	v_lshlrev_b64 v[8:9], 1, v[8:9]
	v_mov_b32_e32 v10, s35
	v_add_co_u32_e32 v8, vcc, s34, v8
	v_addc_co_u32_e32 v9, vcc, v10, v9, vcc
	global_load_ushort v8, v[8:9], off
	s_waitcnt vmcnt(0)
	v_cvt_f32_f16_e32 v8, v8
	v_mul_f32_e32 v8, v75, v8
.LBB59_22:                              ;   in Loop: Header=BB59_12 Depth=1
	v_and_b32_e32 v9, 0x60, v98
	v_add_u32_e32 v13, 32, v9
	v_xor_b32_e32 v9, 16, v98
	v_cmp_lt_i32_e32 vcc, v9, v13
	v_add_f32_e32 v5, v5, v8
	v_cndmask_b32_e32 v9, v98, v9, vcc
	v_add_f32_e32 v8, 0x40051340, v5
	v_max_f32_e32 v10, v3, v3
	v_lshlrev_b32_e32 v9, 2, v9
	v_max_f32_e32 v8, v10, v8
	ds_bpermute_b32 v10, v9, v8
	v_xor_b32_e32 v11, 8, v98
	v_cmp_lt_i32_e32 vcc, v11, v13
	v_cndmask_b32_e32 v11, v98, v11, vcc
	v_lshlrev_b32_e32 v12, 2, v11
	s_waitcnt lgkmcnt(0)
	v_max_f32_e32 v10, v10, v10
	v_max_f32_e32 v8, v8, v10
	ds_bpermute_b32 v10, v12, v8
	v_xor_b32_e32 v11, 4, v98
	v_cmp_lt_i32_e32 vcc, v11, v13
	v_cndmask_b32_e32 v11, v98, v11, vcc
	v_lshlrev_b32_e32 v11, 2, v11
	s_waitcnt lgkmcnt(0)
	v_max_f32_e32 v10, v10, v10
	;; [unrolled: 8-line block ×4, first 2 shown]
	v_max_f32_e32 v13, v14, v13
	ds_bpermute_b32 v14, v8, v13
	s_and_b64 vcc, exec, s[20:21]
	s_cbranch_vccnz .LBB59_24
; %bb.23:                               ;   in Loop: Header=BB59_12 Depth=1
	v_add_u32_e32 v6, v7, v90
	v_ashrrev_i32_e32 v7, 31, v6
	v_lshlrev_b64 v[6:7], 1, v[6:7]
	v_mov_b32_e32 v15, s35
	v_add_co_u32_e32 v6, vcc, s34, v6
	v_addc_co_u32_e32 v7, vcc, v15, v7, vcc
	global_load_ushort v6, v[6:7], off
	s_waitcnt vmcnt(0)
	v_cvt_f32_f16_e32 v6, v6
	v_mul_f32_e32 v6, v75, v6
.LBB59_24:                              ;   in Loop: Header=BB59_12 Depth=1
	v_add_f32_e32 v4, v4, v6
	v_add_f32_e32 v6, 0x40051340, v4
	v_max_f32_e32 v7, v2, v2
	v_max_f32_e32 v6, v7, v6
	ds_bpermute_b32 v7, v9, v6
	s_waitcnt lgkmcnt(1)
	v_max_f32_e32 v9, v14, v14
	v_max_f32_e32 v13, v13, v13
	v_max_f32_e32 v51, v13, v9
	v_sub_f32_e32 v5, v5, v51
	s_waitcnt lgkmcnt(0)
	v_max_f32_e32 v7, v7, v7
	v_max_f32_e32 v6, v6, v7
	ds_bpermute_b32 v7, v12, v6
	v_mul_f32_e32 v9, 0x3fb8aa3b, v5
	v_rndne_f32_e32 v12, v9
	v_sub_f32_e32 v103, v3, v51
	v_cmp_ngt_f32_e64 s[22:23], s63, v5
	s_waitcnt lgkmcnt(0)
	v_max_f32_e32 v7, v7, v7
	v_max_f32_e32 v6, v6, v7
	ds_bpermute_b32 v7, v11, v6
	v_fma_f32 v11, v5, s62, -v9
	v_fmac_f32_e32 v11, 0x32a5705f, v5
	v_sub_f32_e32 v9, v9, v12
	v_add_f32_e32 v9, v9, v11
	s_waitcnt lgkmcnt(0)
	v_max_f32_e32 v7, v7, v7
	v_max_f32_e32 v6, v6, v7
	ds_bpermute_b32 v7, v10, v6
	v_cvt_i32_f32_e32 v10, v12
	v_exp_f32_e32 v9, v9
	s_mul_hi_i32 s29, s47, s8
	s_mul_i32 s28, s47, s8
	s_waitcnt lgkmcnt(0)
	v_max_f32_e32 v7, v7, v7
	v_max_f32_e32 v6, v6, v7
	ds_bpermute_b32 v7, v8, v6
	v_ldexp_f32 v3, v9, v10
	v_cndmask_b32_e64 v3, 0, v3, s[22:23]
	v_cmp_nlt_f32_e64 s[22:23], s64, v5
	v_cndmask_b32_e64 v81, v99, v3, s[22:23]
	s_waitcnt lgkmcnt(0)
	v_max_f32_e32 v7, v7, v7
	v_max_f32_e32 v52, v6, v7
	v_sub_f32_e32 v4, v4, v52
	v_mul_f32_e32 v6, 0x3fb8aa3b, v4
	v_fma_f32 v7, v4, s62, -v6
	v_rndne_f32_e32 v8, v6
	v_fmac_f32_e32 v7, 0x32a5705f, v4
	v_sub_f32_e32 v6, v6, v8
	v_add_f32_e32 v6, v6, v7
	v_exp_f32_e32 v6, v6
	v_cvt_i32_f32_e32 v7, v8
	v_sub_f32_e32 v104, v2, v52
	v_cmp_ngt_f32_e64 s[22:23], s63, v4
	v_cvt_f16_f32_e32 v3, v81
	v_ldexp_f32 v2, v6, v7
	v_cndmask_b32_e64 v2, 0, v2, s[22:23]
	v_cmp_nlt_f32_e64 s[22:23], s64, v4
	v_cndmask_b32_e64 v80, v99, v2, s[22:23]
	v_cvt_f16_f32_e32 v2, v80
	s_lshl_b64 s[28:29], s[28:29], 2
	s_add_u32 s66, s43, s28
	v_cmp_ngt_f32_e32 vcc, s63, v103
	v_cmp_nlt_f32_e64 s[20:21], s64, v103
	v_cmp_ngt_f32_e64 s[22:23], s63, v104
	v_cmp_nlt_f32_e64 s[24:25], s64, v104
	v_add_u32_e32 v4, v91, v50
	v_pack_b32_f16 v2, v3, v2
	s_addc_u32 s67, s46, s29
	s_barrier
	ds_write_b32 v4, v2
	s_and_saveexec_b64 s[40:41], s[14:15]
	s_cbranch_execnz .LBB59_38
; %bb.25:                               ;   in Loop: Header=BB59_12 Depth=1
	s_or_b64 exec, exec, s[40:41]
	s_and_saveexec_b64 s[40:41], s[16:17]
	s_cbranch_execnz .LBB59_39
.LBB59_26:                              ;   in Loop: Header=BB59_12 Depth=1
	s_or_b64 exec, exec, s[40:41]
	v_lshlrev_b32_e32 v105, 2, v74
	s_and_saveexec_b64 s[40:41], s[18:19]
	s_cbranch_execz .LBB59_28
.LBB59_27:                              ;   in Loop: Header=BB59_12 Depth=1
	v_mov_b32_e32 v2, s67
	v_add_co_u32_e64 v3, s[28:29], s66, v63
	v_addc_co_u32_e64 v4, s[28:29], v2, v64, s[28:29]
	v_add_co_u32_e64 v2, s[28:29], v3, v105
	v_addc_co_u32_e64 v3, s[28:29], 0, v4, s[28:29]
	global_load_dwordx4 v[2:5], v[2:3], off
	s_waitcnt vmcnt(0)
	ds_write_b128 v93, v[2:5]
.LBB59_28:                              ;   in Loop: Header=BB59_12 Depth=1
	s_or_b64 exec, exec, s[40:41]
	s_waitcnt lgkmcnt(0)
	s_barrier
	ds_read2_b64 v[30:33], v69 offset1:28
	ds_read_b128 v[46:49], v91
	ds_read_b128 v[42:45], v91 offset:16
	ds_read_b128 v[38:41], v91 offset:32
	;; [unrolled: 1-line block ×3, first 2 shown]
	ds_read2_b64 v[26:29], v69 offset0:56 offset1:84
	ds_read2_b64 v[22:25], v69 offset0:112 offset1:140
	ds_read2_b64 v[18:21], v69 offset0:168 offset1:196
	ds_read2_b64 v[14:17], v69 offset0:224 offset1:252
	v_add_u32_e32 v102, 0x800, v69
	ds_read2_b64 v[10:13], v102 offset0:24 offset1:52
	ds_read2_b64 v[6:9], v102 offset0:80 offset1:108
	;; [unrolled: 1-line block ×3, first 2 shown]
	s_or_b32 s28, s47, 16
	s_mul_hi_i32 s29, s28, s8
	s_mul_i32 s28, s28, s8
	s_lshl_b64 s[28:29], s[28:29], 2
	s_add_u32 s66, s43, s28
	s_addc_u32 s67, s46, s29
	s_waitcnt lgkmcnt(0)
	s_barrier
	s_and_saveexec_b64 s[40:41], s[14:15]
	s_cbranch_execnz .LBB59_40
; %bb.29:                               ;   in Loop: Header=BB59_12 Depth=1
	s_or_b64 exec, exec, s[40:41]
	s_and_saveexec_b64 s[40:41], s[16:17]
	s_cbranch_execnz .LBB59_41
.LBB59_30:                              ;   in Loop: Header=BB59_12 Depth=1
	s_or_b64 exec, exec, s[40:41]
	s_and_saveexec_b64 s[40:41], s[18:19]
	s_cbranch_execz .LBB59_32
.LBB59_31:                              ;   in Loop: Header=BB59_12 Depth=1
	v_mov_b32_e32 v106, s67
	v_add_co_u32_e64 v107, s[28:29], s66, v63
	v_addc_co_u32_e64 v106, s[28:29], v106, v64, s[28:29]
	v_add_co_u32_e64 v105, s[28:29], v107, v105
	v_addc_co_u32_e64 v106, s[28:29], 0, v106, s[28:29]
	global_load_dwordx4 v[105:108], v[105:106], off
	s_waitcnt vmcnt(0)
	ds_write_b128 v93, v[105:108]
.LBB59_32:                              ;   in Loop: Header=BB59_12 Depth=1
	s_or_b64 exec, exec, s[40:41]
	v_mul_f32_e32 v105, 0x3fb8aa3b, v103
	v_fma_f32 v106, v103, s62, -v105
	v_fmac_f32_e32 v106, 0x32a5705f, v103
	v_rndne_f32_e32 v103, v105
	v_sub_f32_e32 v105, v105, v103
	v_add_f32_e32 v105, v105, v106
	v_mul_f32_e32 v106, 0x3fb8aa3b, v104
	v_fma_f32 v107, v104, s62, -v106
	v_fmac_f32_e32 v107, 0x32a5705f, v104
	v_rndne_f32_e32 v104, v106
	v_sub_f32_e32 v106, v106, v104
	v_add_f32_e32 v106, v106, v107
	v_exp_f32_e32 v105, v105
	v_cvt_i32_f32_e32 v103, v103
	v_exp_f32_e32 v106, v106
	v_cvt_i32_f32_e32 v104, v104
	v_mul_u32_u24_sdwa v107, v42, s65 dst_sel:DWORD dst_unused:UNUSED_PAD src0_sel:WORD_0 src1_sel:DWORD
	v_ldexp_f32 v103, v105, v103
	v_cndmask_b32_e32 v103, 0, v103, vcc
	v_ldexp_f32 v104, v106, v104
	v_cndmask_b32_e64 v104, 0, v104, s[22:23]
	v_cndmask_b32_e64 v103, v99, v103, s[20:21]
	;; [unrolled: 1-line block ×3, first 2 shown]
	v_cvt_f16_f32_e32 v105, v103
	v_cvt_f16_f32_e32 v106, v104
	v_fmac_f32_e32 v81, v100, v103
	v_fmac_f32_e32 v80, v101, v104
	v_mul_u32_u24_e32 v100, 0x10001, v105
	v_mul_u32_u24_e32 v101, 0x10001, v106
	v_mul_u32_u24_sdwa v103, v46, s65 dst_sel:DWORD dst_unused:UNUSED_PAD src0_sel:WORD_0 src1_sel:DWORD
	v_mul_u32_u24_sdwa v46, v46, s65 dst_sel:DWORD dst_unused:UNUSED_PAD src0_sel:WORD_1 src1_sel:DWORD
	v_pk_mul_f16 v73, v73, v100
	v_pk_mul_f16 v71, v71, v101
	;; [unrolled: 1-line block ×4, first 2 shown]
	v_mul_u32_u24_sdwa v104, v47, s65 dst_sel:DWORD dst_unused:UNUSED_PAD src0_sel:WORD_0 src1_sel:DWORD
	v_mul_u32_u24_sdwa v47, v47, s65 dst_sel:DWORD dst_unused:UNUSED_PAD src0_sel:WORD_1 src1_sel:DWORD
	v_pk_fma_f16 v72, v72, v100, v119
	v_pk_fma_f16 v30, v70, v101, v30
	v_pk_fma_f16 v70, v31, v103, v73
	v_pk_fma_f16 v31, v31, v46, v71
	v_mul_u32_u24_sdwa v105, v48, s65 dst_sel:DWORD dst_unused:UNUSED_PAD src0_sel:WORD_0 src1_sel:DWORD
	v_mul_u32_u24_sdwa v48, v48, s65 dst_sel:DWORD dst_unused:UNUSED_PAD src0_sel:WORD_1 src1_sel:DWORD
	v_pk_fma_f16 v46, v32, v104, v72
	v_pk_fma_f16 v30, v32, v47, v30
	v_pk_fma_f16 v32, v33, v104, v70
	v_pk_fma_f16 v31, v33, v47, v31
	;; [unrolled: 6-line block ×3, first 2 shown]
	v_mul_u32_u24_sdwa v42, v42, s65 dst_sel:DWORD dst_unused:UNUSED_PAD src0_sel:WORD_1 src1_sel:DWORD
	v_pk_fma_f16 v31, v28, v106, v33
	v_pk_fma_f16 v26, v28, v49, v26
	v_pk_fma_f16 v28, v29, v106, v30
	v_pk_fma_f16 v27, v29, v49, v27
	v_mul_u32_u24_sdwa v108, v43, s65 dst_sel:DWORD dst_unused:UNUSED_PAD src0_sel:WORD_0 src1_sel:DWORD
	v_mul_u32_u24_sdwa v43, v43, s65 dst_sel:DWORD dst_unused:UNUSED_PAD src0_sel:WORD_1 src1_sel:DWORD
	v_pk_fma_f16 v29, v22, v107, v31
	v_pk_fma_f16 v22, v22, v42, v26
	v_pk_fma_f16 v26, v23, v107, v28
	v_pk_fma_f16 v23, v23, v42, v27
	v_mul_u32_u24_sdwa v109, v44, s65 dst_sel:DWORD dst_unused:UNUSED_PAD src0_sel:WORD_0 src1_sel:DWORD
	;; [unrolled: 6-line block ×11, first 2 shown]
	v_mul_u32_u24_sdwa v37, v37, s65 dst_sel:DWORD dst_unused:UNUSED_PAD src0_sel:WORD_1 src1_sel:DWORD
	v_pk_fma_f16 v9, v2, v117, v11
	v_pk_fma_f16 v2, v2, v36, v6
	;; [unrolled: 1-line block ×8, first 2 shown]
	s_waitcnt lgkmcnt(0)
	s_barrier
	ds_read_b128 v[2:5], v91 offset:64
	ds_read2_b64 v[6:9], v69 offset1:28
	ds_read_b128 v[10:13], v91 offset:80
	ds_read_b128 v[14:17], v91 offset:96
	;; [unrolled: 1-line block ×3, first 2 shown]
	s_waitcnt lgkmcnt(4)
	v_mul_u32_u24_sdwa v26, v2, s65 dst_sel:DWORD dst_unused:UNUSED_PAD src0_sel:WORD_0 src1_sel:DWORD
	v_mul_u32_u24_sdwa v2, v2, s65 dst_sel:DWORD dst_unused:UNUSED_PAD src0_sel:WORD_1 src1_sel:DWORD
	s_waitcnt lgkmcnt(3)
	v_pk_fma_f16 v22, v6, v26, v22
	v_pk_fma_f16 v6, v6, v2, v23
	;; [unrolled: 1-line block ×4, first 2 shown]
	v_mul_u32_u24_sdwa v7, v3, s65 dst_sel:DWORD dst_unused:UNUSED_PAD src0_sel:WORD_0 src1_sel:DWORD
	v_pk_fma_f16 v27, v8, v7, v22
	ds_read2_b64 v[22:25], v69 offset0:56 offset1:84
	v_mul_u32_u24_sdwa v3, v3, s65 dst_sel:DWORD dst_unused:UNUSED_PAD src0_sel:WORD_1 src1_sel:DWORD
	v_pk_fma_f16 v6, v8, v3, v6
	v_pk_fma_f16 v7, v9, v7, v26
	;; [unrolled: 1-line block ×3, first 2 shown]
	v_mul_u32_u24_sdwa v3, v4, s65 dst_sel:DWORD dst_unused:UNUSED_PAD src0_sel:WORD_0 src1_sel:DWORD
	v_mul_u32_u24_sdwa v4, v4, s65 dst_sel:DWORD dst_unused:UNUSED_PAD src0_sel:WORD_1 src1_sel:DWORD
	s_waitcnt lgkmcnt(0)
	v_pk_fma_f16 v8, v22, v3, v27
	v_pk_fma_f16 v6, v22, v4, v6
	;; [unrolled: 1-line block ×4, first 2 shown]
	v_mul_u32_u24_sdwa v22, v5, s65 dst_sel:DWORD dst_unused:UNUSED_PAD src0_sel:WORD_0 src1_sel:DWORD
	v_mul_u32_u24_sdwa v23, v5, s65 dst_sel:DWORD dst_unused:UNUSED_PAD src0_sel:WORD_1 src1_sel:DWORD
	ds_read2_b64 v[2:5], v69 offset0:112 offset1:140
	v_pk_fma_f16 v8, v24, v22, v8
	v_pk_fma_f16 v6, v24, v23, v6
	;; [unrolled: 1-line block ×4, first 2 shown]
	v_mul_u32_u24_sdwa v22, v10, s65 dst_sel:DWORD dst_unused:UNUSED_PAD src0_sel:WORD_0 src1_sel:DWORD
	v_mul_u32_u24_sdwa v10, v10, s65 dst_sel:DWORD dst_unused:UNUSED_PAD src0_sel:WORD_1 src1_sel:DWORD
	s_waitcnt lgkmcnt(0)
	v_pk_fma_f16 v8, v2, v22, v8
	v_pk_fma_f16 v2, v2, v10, v6
	;; [unrolled: 1-line block ×4, first 2 shown]
	v_mul_u32_u24_sdwa v10, v11, s65 dst_sel:DWORD dst_unused:UNUSED_PAD src0_sel:WORD_0 src1_sel:DWORD
	v_pk_fma_f16 v23, v4, v10, v8
	ds_read2_b64 v[6:9], v69 offset0:168 offset1:196
	v_mul_u32_u24_sdwa v11, v11, s65 dst_sel:DWORD dst_unused:UNUSED_PAD src0_sel:WORD_1 src1_sel:DWORD
	v_pk_fma_f16 v2, v4, v11, v2
	v_pk_fma_f16 v4, v5, v10, v22
	;; [unrolled: 1-line block ×3, first 2 shown]
	v_mul_u32_u24_sdwa v5, v12, s65 dst_sel:DWORD dst_unused:UNUSED_PAD src0_sel:WORD_0 src1_sel:DWORD
	v_mul_u32_u24_sdwa v10, v12, s65 dst_sel:DWORD dst_unused:UNUSED_PAD src0_sel:WORD_1 src1_sel:DWORD
	s_waitcnt lgkmcnt(0)
	v_pk_fma_f16 v11, v6, v5, v23
	v_pk_fma_f16 v2, v6, v10, v2
	;; [unrolled: 1-line block ×4, first 2 shown]
	v_mul_u32_u24_sdwa v10, v13, s65 dst_sel:DWORD dst_unused:UNUSED_PAD src0_sel:WORD_0 src1_sel:DWORD
	v_mul_u32_u24_sdwa v12, v13, s65 dst_sel:DWORD dst_unused:UNUSED_PAD src0_sel:WORD_1 src1_sel:DWORD
	v_pk_fma_f16 v11, v8, v10, v11
	v_pk_fma_f16 v8, v8, v12, v2
	ds_read2_b64 v[2:5], v69 offset0:224 offset1:252
	v_pk_fma_f16 v6, v9, v10, v6
	v_pk_fma_f16 v7, v9, v12, v7
	v_mul_u32_u24_sdwa v9, v14, s65 dst_sel:DWORD dst_unused:UNUSED_PAD src0_sel:WORD_0 src1_sel:DWORD
	v_mul_u32_u24_sdwa v10, v14, s65 dst_sel:DWORD dst_unused:UNUSED_PAD src0_sel:WORD_1 src1_sel:DWORD
	s_waitcnt lgkmcnt(0)
	v_pk_fma_f16 v11, v2, v9, v11
	v_pk_fma_f16 v2, v2, v10, v8
	;; [unrolled: 1-line block ×4, first 2 shown]
	ds_read2_b64 v[6:9], v102 offset0:24 offset1:52
	v_mul_u32_u24_sdwa v10, v15, s65 dst_sel:DWORD dst_unused:UNUSED_PAD src0_sel:WORD_0 src1_sel:DWORD
	v_mul_u32_u24_sdwa v13, v15, s65 dst_sel:DWORD dst_unused:UNUSED_PAD src0_sel:WORD_1 src1_sel:DWORD
	v_pk_fma_f16 v11, v4, v10, v11
	v_pk_fma_f16 v2, v4, v13, v2
	;; [unrolled: 1-line block ×4, first 2 shown]
	v_mul_u32_u24_sdwa v5, v16, s65 dst_sel:DWORD dst_unused:UNUSED_PAD src0_sel:WORD_0 src1_sel:DWORD
	v_mul_u32_u24_sdwa v10, v16, s65 dst_sel:DWORD dst_unused:UNUSED_PAD src0_sel:WORD_1 src1_sel:DWORD
	s_waitcnt lgkmcnt(0)
	v_pk_fma_f16 v11, v6, v5, v11
	v_pk_fma_f16 v2, v6, v10, v2
	;; [unrolled: 1-line block ×4, first 2 shown]
	v_mul_u32_u24_sdwa v10, v17, s65 dst_sel:DWORD dst_unused:UNUSED_PAD src0_sel:WORD_0 src1_sel:DWORD
	v_mul_u32_u24_sdwa v12, v17, s65 dst_sel:DWORD dst_unused:UNUSED_PAD src0_sel:WORD_1 src1_sel:DWORD
	v_pk_fma_f16 v11, v8, v10, v11
	v_pk_fma_f16 v8, v8, v12, v2
	ds_read2_b64 v[2:5], v102 offset0:80 offset1:108
	v_pk_fma_f16 v6, v9, v10, v6
	v_pk_fma_f16 v7, v9, v12, v7
	v_mul_u32_u24_sdwa v9, v18, s65 dst_sel:DWORD dst_unused:UNUSED_PAD src0_sel:WORD_0 src1_sel:DWORD
	v_mul_u32_u24_sdwa v10, v18, s65 dst_sel:DWORD dst_unused:UNUSED_PAD src0_sel:WORD_1 src1_sel:DWORD
	s_waitcnt lgkmcnt(0)
	v_pk_fma_f16 v11, v2, v9, v11
	v_pk_fma_f16 v2, v2, v10, v8
	;; [unrolled: 1-line block ×4, first 2 shown]
	ds_read2_b64 v[6:9], v102 offset0:136 offset1:164
	s_waitcnt lgkmcnt(0)
	s_barrier
	s_load_dword s20, s[38:39], 0x4
	v_mul_u32_u24_sdwa v10, v19, s65 dst_sel:DWORD dst_unused:UNUSED_PAD src0_sel:WORD_0 src1_sel:DWORD
	v_mul_u32_u24_sdwa v13, v19, s65 dst_sel:DWORD dst_unused:UNUSED_PAD src0_sel:WORD_1 src1_sel:DWORD
	v_pk_fma_f16 v11, v4, v10, v11
	v_pk_fma_f16 v2, v4, v13, v2
	;; [unrolled: 1-line block ×4, first 2 shown]
	v_mul_u32_u24_sdwa v5, v20, s65 dst_sel:DWORD dst_unused:UNUSED_PAD src0_sel:WORD_0 src1_sel:DWORD
	v_mul_u32_u24_sdwa v10, v20, s65 dst_sel:DWORD dst_unused:UNUSED_PAD src0_sel:WORD_1 src1_sel:DWORD
	s_waitcnt lgkmcnt(0)
	s_lshl_b32 s20, s20, 5
	v_pk_fma_f16 v11, v6, v5, v11
	v_pk_fma_f16 v2, v6, v10, v2
	;; [unrolled: 1-line block ×4, first 2 shown]
	v_mul_u32_u24_sdwa v5, v21, s65 dst_sel:DWORD dst_unused:UNUSED_PAD src0_sel:WORD_0 src1_sel:DWORD
	v_mul_u32_u24_sdwa v6, v21, s65 dst_sel:DWORD dst_unused:UNUSED_PAD src0_sel:WORD_1 src1_sel:DWORD
	s_add_i32 s47, s20, s47
	v_pk_fma_f16 v72, v8, v5, v11
	v_pk_fma_f16 v70, v8, v6, v2
	;; [unrolled: 1-line block ×3, first 2 shown]
	s_cmp_lt_i32 s47, s61
	v_pk_fma_f16 v71, v9, v6, v3
	s_cbranch_scc0 .LBB59_43
; %bb.33:                               ;   in Loop: Header=BB59_12 Depth=1
	v_mov_b32_e32 v3, v51
	v_mov_b32_e32 v2, v52
	;; [unrolled: 1-line block ×4, first 2 shown]
	s_branch .LBB59_12
.LBB59_34:                              ;   in Loop: Header=BB59_12 Depth=1
	v_mov_b32_e32 v5, s23
	v_add_co_u32_e32 v4, vcc, s22, v53
	v_addc_co_u32_e32 v5, vcc, v5, v54, vcc
	global_load_dwordx4 v[4:7], v[4:5], off offset:96
	s_waitcnt vmcnt(0)
	ds_write_b128 v95, v[4:7]
	s_or_b64 exec, exec, s[20:21]
	s_and_saveexec_b64 s[20:21], s[10:11]
	s_cbranch_execz .LBB59_14
.LBB59_35:                              ;   in Loop: Header=BB59_12 Depth=1
	v_mov_b32_e32 v4, s23
	v_add_co_u32_e32 v5, vcc, s22, v55
	v_addc_co_u32_e32 v6, vcc, v4, v56, vcc
	v_add_co_u32_e32 v4, vcc, v5, v96
	v_addc_co_u32_e32 v5, vcc, 0, v6, vcc
	global_load_dwordx4 v[4:7], v[4:5], off offset:64
	s_waitcnt vmcnt(0)
	ds_write_b128 v86, v[4:7]
	s_or_b64 exec, exec, s[20:21]
	s_and_saveexec_b64 s[20:21], s[12:13]
	s_cbranch_execnz .LBB59_15
	s_branch .LBB59_16
.LBB59_36:                              ;   in Loop: Header=BB59_12 Depth=1
	v_mov_b32_e32 v7, s23
	v_add_co_u32_e32 v6, vcc, s22, v53
	v_addc_co_u32_e32 v7, vcc, v7, v54, vcc
	global_load_dwordx4 v[6:9], v[6:7], off offset:208
	s_waitcnt vmcnt(0)
	ds_write_b128 v95, v[6:9]
	s_or_b64 exec, exec, s[20:21]
	s_and_saveexec_b64 s[20:21], s[10:11]
	s_cbranch_execz .LBB59_18
.LBB59_37:                              ;   in Loop: Header=BB59_12 Depth=1
	v_mov_b32_e32 v6, s23
	v_add_co_u32_e32 v7, vcc, s22, v55
	v_addc_co_u32_e32 v8, vcc, v6, v56, vcc
	v_add_co_u32_e32 v6, vcc, v7, v96
	v_addc_co_u32_e32 v7, vcc, 0, v8, vcc
	global_load_dwordx4 v[6:9], v[6:7], off offset:176
	s_waitcnt vmcnt(0)
	ds_write_b128 v86, v[6:9]
	s_or_b64 exec, exec, s[20:21]
	s_and_saveexec_b64 s[20:21], s[12:13]
	s_cbranch_execnz .LBB59_19
	s_branch .LBB59_20
.LBB59_38:                              ;   in Loop: Header=BB59_12 Depth=1
	v_mov_b32_e32 v2, s67
	v_add_co_u32_e64 v3, s[28:29], s66, v59
	v_addc_co_u32_e64 v4, s[28:29], v2, v60, s[28:29]
	v_add_co_u32_e64 v2, s[28:29], v3, v96
	v_addc_co_u32_e64 v3, s[28:29], 0, v4, s[28:29]
	global_load_dwordx4 v[2:5], v[2:3], off offset:192
	s_waitcnt vmcnt(0)
	ds_write_b128 v94, v[2:5]
	s_or_b64 exec, exec, s[40:41]
	s_and_saveexec_b64 s[40:41], s[16:17]
	s_cbranch_execz .LBB59_26
.LBB59_39:                              ;   in Loop: Header=BB59_12 Depth=1
	v_mov_b32_e32 v2, s67
	v_add_co_u32_e64 v3, s[28:29], s66, v61
	v_addc_co_u32_e64 v4, s[28:29], v2, v62, s[28:29]
	v_add_co_u32_e64 v2, s[28:29], v3, v97
	v_addc_co_u32_e64 v3, s[28:29], 0, v4, s[28:29]
	global_load_dwordx4 v[2:5], v[2:3], off offset:128
	s_waitcnt vmcnt(0)
	ds_write_b128 v92, v[2:5]
	s_or_b64 exec, exec, s[40:41]
	v_lshlrev_b32_e32 v105, 2, v74
	s_and_saveexec_b64 s[40:41], s[18:19]
	s_cbranch_execnz .LBB59_27
	s_branch .LBB59_28
.LBB59_40:                              ;   in Loop: Header=BB59_12 Depth=1
	v_mov_b32_e32 v106, s67
	v_add_co_u32_e64 v107, s[28:29], s66, v59
	v_addc_co_u32_e64 v108, s[28:29], v106, v60, s[28:29]
	v_add_co_u32_e64 v106, s[28:29], v107, v96
	v_addc_co_u32_e64 v107, s[28:29], 0, v108, s[28:29]
	global_load_dwordx4 v[106:109], v[106:107], off offset:192
	s_waitcnt vmcnt(0)
	ds_write_b128 v94, v[106:109]
	s_or_b64 exec, exec, s[40:41]
	s_and_saveexec_b64 s[40:41], s[16:17]
	s_cbranch_execz .LBB59_30
.LBB59_41:                              ;   in Loop: Header=BB59_12 Depth=1
	v_mov_b32_e32 v106, s67
	v_add_co_u32_e64 v107, s[28:29], s66, v61
	v_addc_co_u32_e64 v108, s[28:29], v106, v62, s[28:29]
	v_add_co_u32_e64 v106, s[28:29], v107, v97
	v_addc_co_u32_e64 v107, s[28:29], 0, v108, s[28:29]
	global_load_dwordx4 v[106:109], v[106:107], off offset:128
	s_waitcnt vmcnt(0)
	ds_write_b128 v92, v[106:109]
	s_or_b64 exec, exec, s[40:41]
	s_and_saveexec_b64 s[40:41], s[18:19]
	s_cbranch_execnz .LBB59_31
	s_branch .LBB59_32
.LBB59_42:
	v_mov_b32_e32 v51, 0xfeffffff
	v_mov_b32_e32 v52, v51
	v_mov_b32_e32 v72, 0
	v_mov_b32_e32 v80, 0
	v_mov_b32_e32 v81, 0
	v_mov_b32_e32 v73, 0
	v_mov_b32_e32 v70, 0
	v_mov_b32_e32 v71, 0
.LBB59_43:
	s_cmp_gt_i32 s56, s47
	s_cbranch_scc1 .LBB59_45
; %bb.44:
	v_mbcnt_hi_u32_b32 v64, -1, v78
	v_and_b32_e32 v2, 0x60, v64
	v_add_u32_e32 v86, 32, v2
	v_xor_b32_e32 v88, 16, v64
	v_xor_b32_e32 v87, 8, v64
	;; [unrolled: 1-line block ×5, first 2 shown]
	s_cbranch_execz .LBB59_46
	s_branch .LBB59_81
.LBB59_45:
                                        ; implicit-def: $vgpr64
                                        ; implicit-def: $vgpr86
                                        ; implicit-def: $vgpr88
                                        ; implicit-def: $vgpr87
                                        ; implicit-def: $vgpr89
                                        ; implicit-def: $vgpr90
                                        ; implicit-def: $vgpr91
.LBB59_46:
	v_mul_lo_u32 v2, s58, v85
	s_mul_hi_i32 s11, s47, s58
	s_mul_i32 s10, s47, s58
	s_mov_b64 s[22:23], src_private_base
	s_sub_i32 s36, s56, s47
	s_lshl_b64 s[10:11], s[10:11], 2
	v_ashrrev_i32_e32 v3, 31, v2
	s_add_u32 s22, s60, s10
	v_lshlrev_b64 v[2:3], 2, v[2:3]
	s_addc_u32 s37, s59, s11
	v_cmp_gt_u32_e64 s[14:15], 32, v85
	v_or_b32_e32 v10, 0x60, v79
	v_cmp_gt_i32_e64 s[12:13], s36, v85
	s_and_saveexec_b64 s[10:11], s[14:15]
	s_cbranch_execz .LBB59_48
; %bb.47:
	v_mov_b32_e32 v4, 0
	buffer_store_dword v4, off, s[0:3], 0
	buffer_store_dword v4, off, s[0:3], 0 offset:4
	buffer_store_dword v4, off, s[0:3], 0 offset:8
	;; [unrolled: 1-line block ×3, first 2 shown]
	v_mov_b32_e32 v4, s37
	v_add_co_u32_e32 v5, vcc, s22, v2
	v_addc_co_u32_e32 v4, vcc, v4, v3, vcc
	v_add_co_u32_e32 v6, vcc, 0x60, v5
	v_addc_co_u32_e32 v4, vcc, 0, v4, vcc
	v_mov_b32_e32 v5, s23
	v_cndmask_b32_e64 v5, v5, v4, s[12:13]
	v_mov_b32_e32 v4, 0
	v_cndmask_b32_e64 v4, v4, v6, s[12:13]
	flat_load_dwordx4 v[4:7], v[4:5]
	s_waitcnt vmcnt(0) lgkmcnt(0)
	ds_write_b128 v10, v[4:7]
.LBB59_48:
	s_or_b64 exec, exec, s[10:11]
	v_lshl_add_u32 v49, v1, 4, v84
	v_mul_lo_u32 v4, s58, v49
	v_lshlrev_b32_e32 v5, 7, v49
	v_lshlrev_b32_e32 v62, 2, v77
	v_or3_b32 v11, v5, v62, 64
	v_ashrrev_i32_e32 v5, 31, v4
	v_lshlrev_b64 v[4:5], 2, v[4:5]
	s_mov_b64 s[24:25], src_private_base
	v_cmp_gt_u32_e64 s[16:17], 32, v49
	v_cmp_gt_i32_e64 s[20:21], s36, v49
	s_and_saveexec_b64 s[10:11], s[16:17]
	s_cbranch_execz .LBB59_50
; %bb.49:
	v_mov_b32_e32 v6, 0
	buffer_store_dword v6, off, s[0:3], 0
	buffer_store_dword v6, off, s[0:3], 0 offset:4
	buffer_store_dword v6, off, s[0:3], 0 offset:8
	;; [unrolled: 1-line block ×3, first 2 shown]
	v_mov_b32_e32 v6, s37
	v_add_co_u32_e32 v7, vcc, s22, v4
	v_addc_co_u32_e32 v6, vcc, v6, v5, vcc
	v_add_co_u32_e32 v7, vcc, v7, v62
	v_addc_co_u32_e32 v6, vcc, 0, v6, vcc
	;; [unrolled: 2-line block ×3, first 2 shown]
	v_mov_b32_e32 v7, s25
	v_cndmask_b32_e64 v7, v7, v6, s[20:21]
	v_mov_b32_e32 v6, 0
	v_cndmask_b32_e64 v6, v6, v8, s[20:21]
	flat_load_dwordx4 v[6:9], v[6:7]
	s_waitcnt vmcnt(0) lgkmcnt(0)
	ds_write_b128 v11, v[6:9]
.LBB59_50:
	s_or_b64 exec, exec, s[10:11]
	v_lshl_add_u32 v61, v1, 3, v83
	v_mul_lo_u32 v6, s58, v61
	v_lshlrev_b32_e32 v63, 2, v82
	s_mov_b64 s[26:27], src_private_base
	v_cmp_gt_u32_e64 s[18:19], 32, v61
	v_ashrrev_i32_e32 v7, 31, v6
	v_lshlrev_b64 v[6:7], 2, v[6:7]
	v_mov_b32_e32 v8, 0
	v_lshl_or_b32 v12, v61, 7, v63
	v_cmp_gt_i32_e64 s[10:11], s36, v61
	s_and_saveexec_b64 s[28:29], s[18:19]
	s_cbranch_execz .LBB59_52
; %bb.51:
	v_mov_b32_e32 v9, s37
	v_add_co_u32_e32 v13, vcc, s22, v6
	v_addc_co_u32_e32 v9, vcc, v9, v7, vcc
	v_add_co_u32_e32 v13, vcc, v13, v63
	v_addc_co_u32_e32 v9, vcc, 0, v9, vcc
	v_mov_b32_e32 v14, s27
	v_cndmask_b32_e64 v14, v14, v9, s[10:11]
	v_mov_b32_e32 v9, 0
	buffer_store_dword v8, off, s[0:3], 0
	buffer_store_dword v8, off, s[0:3], 0 offset:4
	buffer_store_dword v8, off, s[0:3], 0 offset:8
	;; [unrolled: 1-line block ×3, first 2 shown]
	v_cndmask_b32_e64 v13, v9, v13, s[10:11]
	flat_load_dwordx4 v[13:16], v[13:14]
	s_waitcnt vmcnt(0) lgkmcnt(0)
	ds_write_b128 v12, v[13:16]
.LBB59_52:
	s_or_b64 exec, exec, s[28:29]
	v_mul_u32_u24_e32 v25, 0x1c0, v1
	s_waitcnt lgkmcnt(0)
	s_barrier
	ds_read_b128 v[13:16], v79
	ds_read_b128 v[17:20], v25 offset:4160
	ds_read_b128 v[21:24], v25 offset:4384
	v_mov_b32_e32 v9, 0
	s_waitcnt lgkmcnt(1)
	;;#ASMSTART
	v_dot2_f32_f16 v9, v13, v17, v9
	;;#ASMEND
	;;#ASMSTART
	v_dot2_f32_f16 v9, v14, v18, v9
	;;#ASMEND
	;;#ASMSTART
	v_dot2_f32_f16 v9, v15, v19, v9
	;;#ASMEND
	;;#ASMSTART
	v_dot2_f32_f16 v9, v16, v20, v9
	;;#ASMEND
	s_waitcnt lgkmcnt(0)
	;;#ASMSTART
	v_dot2_f32_f16 v8, v13, v21, v8
	;;#ASMEND
	;;#ASMSTART
	v_dot2_f32_f16 v8, v14, v22, v8
	;;#ASMEND
	;;#ASMSTART
	v_dot2_f32_f16 v8, v15, v23, v8
	;;#ASMEND
	;;#ASMSTART
	v_dot2_f32_f16 v8, v16, v24, v8
	;;#ASMEND
	ds_read_b128 v[13:16], v79 offset:16
	ds_read_b128 v[17:20], v25 offset:4176
	ds_read_b128 v[21:24], v25 offset:4400
	s_waitcnt lgkmcnt(1)
	;;#ASMSTART
	v_dot2_f32_f16 v9, v13, v17, v9
	;;#ASMEND
	;;#ASMSTART
	v_dot2_f32_f16 v9, v14, v18, v9
	;;#ASMEND
	;;#ASMSTART
	v_dot2_f32_f16 v9, v15, v19, v9
	;;#ASMEND
	;;#ASMSTART
	v_dot2_f32_f16 v9, v16, v20, v9
	;;#ASMEND
	s_waitcnt lgkmcnt(0)
	;;#ASMSTART
	v_dot2_f32_f16 v8, v13, v21, v8
	;;#ASMEND
	;;#ASMSTART
	v_dot2_f32_f16 v8, v14, v22, v8
	;;#ASMEND
	;;#ASMSTART
	v_dot2_f32_f16 v8, v15, v23, v8
	;;#ASMEND
	;;#ASMSTART
	v_dot2_f32_f16 v8, v16, v24, v8
	;;#ASMEND
	ds_read_b128 v[13:16], v79 offset:32
	ds_read_b128 v[17:20], v25 offset:4192
	ds_read_b128 v[21:24], v25 offset:4416
	;; [unrolled: 29-line block ×6, first 2 shown]
	s_waitcnt lgkmcnt(1)
	;;#ASMSTART
	v_dot2_f32_f16 v9, v13, v17, v9
	;;#ASMEND
	;;#ASMSTART
	v_dot2_f32_f16 v9, v14, v18, v9
	;;#ASMEND
	;; [unrolled: 3-line block ×4, first 2 shown]
	s_waitcnt lgkmcnt(0)
	;;#ASMSTART
	v_dot2_f32_f16 v8, v13, v21, v8
	;;#ASMEND
	;;#ASMSTART
	v_dot2_f32_f16 v8, v14, v22, v8
	;;#ASMEND
	s_movk_i32 s24, 0x1c0
	;;#ASMSTART
	v_dot2_f32_f16 v8, v15, v23, v8
	;;#ASMEND
	;;#ASMSTART
	v_dot2_f32_f16 v8, v16, v24, v8
	;;#ASMEND
	s_barrier
	s_and_saveexec_b64 s[28:29], s[14:15]
	s_cbranch_execnz .LBB59_59
; %bb.53:
	s_or_b64 exec, exec, s[28:29]
	v_mov_b32_e32 v2, 0x1040
	s_and_saveexec_b64 s[12:13], s[16:17]
	s_cbranch_execnz .LBB59_60
.LBB59_54:
	s_or_b64 exec, exec, s[12:13]
	v_mad_u32_u24 v2, v1, s24, v2
	s_and_saveexec_b64 s[12:13], s[18:19]
	s_cbranch_execz .LBB59_56
.LBB59_55:
	v_mov_b32_e32 v3, 0
	buffer_store_dword v3, off, s[0:3], 0
	buffer_store_dword v3, off, s[0:3], 0 offset:4
	buffer_store_dword v3, off, s[0:3], 0 offset:8
	buffer_store_dword v3, off, s[0:3], 0 offset:12
	v_mov_b32_e32 v3, s37
	v_add_co_u32_e32 v4, vcc, s22, v6
	v_addc_co_u32_e32 v3, vcc, v3, v7, vcc
	v_add_co_u32_e32 v4, vcc, v4, v63
	v_addc_co_u32_e32 v3, vcc, 0, v3, vcc
	;; [unrolled: 2-line block ×3, first 2 shown]
	v_mov_b32_e32 v4, s27
	v_cndmask_b32_e64 v4, v4, v3, s[10:11]
	v_mov_b32_e32 v3, 0
	v_cndmask_b32_e64 v3, v3, v5, s[10:11]
	flat_load_dwordx4 v[3:6], v[3:4]
	s_waitcnt vmcnt(0) lgkmcnt(0)
	ds_write_b128 v12, v[3:6]
.LBB59_56:
	s_or_b64 exec, exec, s[12:13]
	s_waitcnt lgkmcnt(0)
	s_barrier
	ds_read_b128 v[3:6], v79
	ds_read_b128 v[10:13], v2 offset:112
	ds_read_b128 v[14:17], v2 offset:336
	s_waitcnt lgkmcnt(1)
	;;#ASMSTART
	v_dot2_f32_f16 v9, v3, v10, v9
	;;#ASMEND
	;;#ASMSTART
	v_dot2_f32_f16 v9, v4, v11, v9
	;;#ASMEND
	;;#ASMSTART
	v_dot2_f32_f16 v9, v5, v12, v9
	;;#ASMEND
	;;#ASMSTART
	v_dot2_f32_f16 v9, v6, v13, v9
	;;#ASMEND
	s_waitcnt lgkmcnt(0)
	;;#ASMSTART
	v_dot2_f32_f16 v8, v3, v14, v8
	;;#ASMEND
	;;#ASMSTART
	v_dot2_f32_f16 v8, v4, v15, v8
	;;#ASMEND
	;;#ASMSTART
	v_dot2_f32_f16 v8, v5, v16, v8
	;;#ASMEND
	;;#ASMSTART
	v_dot2_f32_f16 v8, v6, v17, v8
	;;#ASMEND
	ds_read_b128 v[3:6], v79 offset:16
	ds_read_b128 v[10:13], v2 offset:128
	ds_read_b128 v[14:17], v2 offset:352
	s_waitcnt lgkmcnt(1)
	;;#ASMSTART
	v_dot2_f32_f16 v9, v3, v10, v9
	;;#ASMEND
	;;#ASMSTART
	v_dot2_f32_f16 v9, v4, v11, v9
	;;#ASMEND
	;;#ASMSTART
	v_dot2_f32_f16 v9, v5, v12, v9
	;;#ASMEND
	;;#ASMSTART
	v_dot2_f32_f16 v9, v6, v13, v9
	;;#ASMEND
	s_waitcnt lgkmcnt(0)
	;;#ASMSTART
	v_dot2_f32_f16 v8, v3, v14, v8
	;;#ASMEND
	;;#ASMSTART
	v_dot2_f32_f16 v8, v4, v15, v8
	;;#ASMEND
	;;#ASMSTART
	v_dot2_f32_f16 v8, v5, v16, v8
	;;#ASMEND
	;;#ASMSTART
	v_dot2_f32_f16 v8, v6, v17, v8
	;;#ASMEND
	ds_read_b128 v[3:6], v79 offset:32
	;; [unrolled: 29-line block ×6, first 2 shown]
	ds_read_b128 v[10:13], v2 offset:208
	ds_read_b128 v[14:17], v2 offset:432
	s_waitcnt lgkmcnt(1)
	;;#ASMSTART
	v_dot2_f32_f16 v9, v3, v10, v9
	;;#ASMEND
	;;#ASMSTART
	v_dot2_f32_f16 v9, v4, v11, v9
	;;#ASMEND
	;; [unrolled: 3-line block ×3, first 2 shown]
	s_cmp_lg_u64 s[34:35], 0
	;;#ASMSTART
	v_dot2_f32_f16 v9, v6, v13, v9
	;;#ASMEND
	s_waitcnt lgkmcnt(0)
	;;#ASMSTART
	v_dot2_f32_f16 v8, v3, v14, v8
	;;#ASMEND
	s_cselect_b64 s[14:15], -1, 0
	;;#ASMSTART
	v_dot2_f32_f16 v8, v4, v15, v8
	;;#ASMEND
	v_cndmask_b32_e64 v3, 0, 1, s[14:15]
	;;#ASMSTART
	v_dot2_f32_f16 v8, v5, v16, v8
	;;#ASMEND
	v_cmp_gt_i32_e64 s[12:13], s36, v0
	v_add_u32_e32 v2, s47, v0
	v_cmp_ne_u32_e64 s[14:15], 1, v3
	v_mov_b32_e32 v3, v51
	;;#ASMSTART
	v_dot2_f32_f16 v8, v6, v17, v8
	;;#ASMEND
	s_and_saveexec_b64 s[16:17], s[12:13]
	s_cbranch_execz .LBB59_63
; %bb.57:
	s_and_b64 vcc, exec, s[14:15]
	s_cbranch_vccnz .LBB59_61
; %bb.58:
	v_mul_hi_u32 v3, s52, v68
	v_mov_b32_e32 v5, s35
	v_add_u32_e32 v3, v68, v3
	v_lshrrev_b32_e32 v3, s53, v3
	v_mul_lo_u32 v3, v3, s54
	v_sub_u32_e32 v3, v68, v3
	v_mad_u64_u32 v[3:4], s[18:19], v3, s57, v[2:3]
	v_ashrrev_i32_e32 v4, 31, v3
	v_lshlrev_b64 v[3:4], 1, v[3:4]
	v_add_co_u32_e32 v3, vcc, s34, v3
	v_addc_co_u32_e32 v4, vcc, v5, v4, vcc
	global_load_ushort v3, v[3:4], off
	s_waitcnt vmcnt(0)
	v_cvt_f32_f16_e32 v3, v3
	v_mul_f32_e32 v3, v75, v3
	s_branch .LBB59_62
.LBB59_59:
	v_mov_b32_e32 v13, 0
	buffer_store_dword v13, off, s[0:3], 0
	buffer_store_dword v13, off, s[0:3], 0 offset:4
	buffer_store_dword v13, off, s[0:3], 0 offset:8
	;; [unrolled: 1-line block ×3, first 2 shown]
	v_mov_b32_e32 v13, s37
	v_add_co_u32_e32 v2, vcc, s22, v2
	v_addc_co_u32_e32 v3, vcc, v13, v3, vcc
	v_add_co_u32_e32 v2, vcc, 0xd0, v2
	v_addc_co_u32_e32 v3, vcc, 0, v3, vcc
	v_mov_b32_e32 v13, s23
	v_cndmask_b32_e64 v3, v13, v3, s[12:13]
	v_mov_b32_e32 v13, 0
	v_cndmask_b32_e64 v2, v13, v2, s[12:13]
	flat_load_dwordx4 v[13:16], v[2:3]
	s_waitcnt vmcnt(0) lgkmcnt(0)
	ds_write_b128 v10, v[13:16]
	s_or_b64 exec, exec, s[28:29]
	v_mov_b32_e32 v2, 0x1040
	s_and_saveexec_b64 s[12:13], s[16:17]
	s_cbranch_execz .LBB59_54
.LBB59_60:
	v_mov_b32_e32 v3, 0
	buffer_store_dword v3, off, s[0:3], 0
	buffer_store_dword v3, off, s[0:3], 0 offset:4
	buffer_store_dword v3, off, s[0:3], 0 offset:8
	;; [unrolled: 1-line block ×3, first 2 shown]
	v_mov_b32_e32 v3, s37
	v_add_co_u32_e32 v4, vcc, s22, v4
	v_addc_co_u32_e32 v3, vcc, v3, v5, vcc
	v_add_co_u32_e32 v4, vcc, v4, v62
	v_addc_co_u32_e32 v3, vcc, 0, v3, vcc
	;; [unrolled: 2-line block ×3, first 2 shown]
	v_mov_b32_e32 v4, s25
	v_cndmask_b32_e64 v4, v4, v3, s[20:21]
	v_mov_b32_e32 v3, 0
	v_cndmask_b32_e64 v3, v3, v5, s[20:21]
	flat_load_dwordx4 v[13:16], v[3:4]
	s_waitcnt vmcnt(0) lgkmcnt(0)
	ds_write_b128 v11, v[13:16]
	s_or_b64 exec, exec, s[12:13]
	v_mad_u32_u24 v2, v1, s24, v2
	s_and_saveexec_b64 s[12:13], s[18:19]
	s_cbranch_execnz .LBB59_55
	s_branch .LBB59_56
.LBB59_61:
	v_mov_b32_e32 v3, 0
.LBB59_62:
	v_add_f32_e32 v9, v9, v3
	v_add_f32_e32 v3, 0x40051340, v9
	v_max_f32_e32 v4, v51, v51
	v_max_f32_e32 v3, v4, v3
.LBB59_63:
	s_or_b64 exec, exec, s[16:17]
	v_mbcnt_hi_u32_b32 v64, -1, v78
	v_and_b32_e32 v4, 0x60, v64
	v_add_u32_e32 v86, 32, v4
	v_xor_b32_e32 v88, 16, v64
	v_cmp_lt_i32_e32 vcc, v88, v86
	v_cndmask_b32_e32 v4, v64, v88, vcc
	v_lshlrev_b32_e32 v6, 2, v4
	ds_bpermute_b32 v4, v6, v3
	v_xor_b32_e32 v87, 8, v64
	v_cmp_lt_i32_e32 vcc, v87, v86
	v_cndmask_b32_e32 v5, v64, v87, vcc
	v_max_f32_e32 v3, v3, v3
	s_waitcnt lgkmcnt(0)
	v_max_f32_e32 v4, v4, v4
	v_lshlrev_b32_e32 v7, 2, v5
	v_max_f32_e32 v4, v3, v4
	ds_bpermute_b32 v5, v7, v4
	v_xor_b32_e32 v89, 4, v64
	v_cmp_lt_i32_e32 vcc, v89, v86
	v_cndmask_b32_e32 v3, v64, v89, vcc
	v_lshlrev_b32_e32 v3, 2, v3
	s_waitcnt lgkmcnt(0)
	v_max_f32_e32 v5, v5, v5
	v_max_f32_e32 v5, v4, v5
	ds_bpermute_b32 v10, v3, v5
	v_xor_b32_e32 v90, 2, v64
	v_cmp_lt_i32_e32 vcc, v90, v86
	v_cndmask_b32_e32 v4, v64, v90, vcc
	v_lshlrev_b32_e32 v4, 2, v4
	s_waitcnt lgkmcnt(0)
	v_max_f32_e32 v10, v10, v10
	;; [unrolled: 8-line block ×3, first 2 shown]
	v_max_f32_e32 v10, v10, v11
	ds_bpermute_b32 v11, v5, v10
	s_waitcnt lgkmcnt(0)
	v_max_f32_e32 v11, v11, v11
	v_max_f32_e32 v53, v10, v11
	v_mov_b32_e32 v10, v52
	s_and_saveexec_b64 s[16:17], s[12:13]
	s_cbranch_execz .LBB59_68
; %bb.64:
	s_and_b64 vcc, exec, s[14:15]
	s_cbranch_vccnz .LBB59_66
; %bb.65:
	v_or_b32_e32 v10, 1, v68
	v_mul_hi_u32 v11, s52, v10
	v_add_u32_e32 v11, v10, v11
	v_lshrrev_b32_e32 v11, s53, v11
	v_mul_lo_u32 v11, v11, s54
	v_sub_u32_e32 v10, v10, v11
	v_mad_u64_u32 v[10:11], s[12:13], v10, s57, v[2:3]
	v_mov_b32_e32 v2, s35
	v_ashrrev_i32_e32 v11, 31, v10
	v_lshlrev_b64 v[10:11], 1, v[10:11]
	v_add_co_u32_e32 v10, vcc, s34, v10
	v_addc_co_u32_e32 v11, vcc, v2, v11, vcc
	global_load_ushort v2, v[10:11], off
	s_waitcnt vmcnt(0)
	v_cvt_f32_f16_e32 v2, v2
	v_mul_f32_e32 v2, v75, v2
	s_branch .LBB59_67
.LBB59_66:
	v_mov_b32_e32 v2, 0
.LBB59_67:
	v_add_f32_e32 v8, v8, v2
	v_add_f32_e32 v2, 0x40051340, v8
	v_max_f32_e32 v10, v52, v52
	v_max_f32_e32 v10, v10, v2
.LBB59_68:
	s_or_b64 exec, exec, s[16:17]
	ds_bpermute_b32 v2, v6, v10
	v_max_f32_e32 v6, v10, v10
	s_mov_b32 s12, 0x3fb8aa3b
	s_mov_b32 s13, 0xc2ce8ed0
	;; [unrolled: 1-line block ×3, first 2 shown]
	s_waitcnt lgkmcnt(0)
	v_max_f32_e32 v2, v2, v2
	v_max_f32_e32 v2, v6, v2
	ds_bpermute_b32 v6, v7, v2
	v_sub_f32_e32 v7, v9, v53
	v_cmp_ngt_f32_e32 vcc, s13, v7
	s_waitcnt lgkmcnt(0)
	s_barrier
	v_max_f32_e32 v6, v6, v6
	v_max_f32_e32 v2, v2, v6
	ds_bpermute_b32 v3, v3, v2
	v_mul_f32_e32 v6, 0x3fb8aa3b, v7
	v_fma_f32 v9, v7, s12, -v6
	v_rndne_f32_e32 v10, v6
	v_fmac_f32_e32 v9, 0x32a5705f, v7
	s_waitcnt lgkmcnt(0)
	v_max_f32_e32 v3, v3, v3
	v_max_f32_e32 v2, v2, v3
	ds_bpermute_b32 v3, v4, v2
	v_sub_f32_e32 v4, v6, v10
	v_add_f32_e32 v4, v4, v9
	v_cvt_i32_f32_e32 v6, v10
	v_exp_f32_e32 v4, v4
	s_waitcnt lgkmcnt(0)
	v_max_f32_e32 v3, v3, v3
	v_max_f32_e32 v2, v2, v3
	ds_bpermute_b32 v3, v5, v2
	v_ldexp_f32 v4, v4, v6
	v_cndmask_b32_e32 v4, 0, v4, vcc
	v_cmp_nlt_f32_e32 vcc, s14, v7
	s_waitcnt lgkmcnt(0)
	v_max_f32_e32 v3, v3, v3
	v_max_f32_e32 v54, v2, v3
	v_mov_b32_e32 v2, 0x7f800000
	v_cndmask_b32_e32 v3, v2, v4, vcc
	v_sub_f32_e32 v4, v8, v54
	v_mul_f32_e32 v5, 0x3fb8aa3b, v4
	v_fma_f32 v6, v4, s12, -v5
	v_rndne_f32_e32 v7, v5
	v_fmac_f32_e32 v6, 0x32a5705f, v4
	v_sub_f32_e32 v5, v5, v7
	v_add_f32_e32 v5, v5, v6
	v_exp_f32_e32 v5, v5
	v_cvt_i32_f32_e32 v6, v7
	v_cmp_ngt_f32_e64 s[12:13], s13, v4
	v_cmp_gt_u32_e32 vcc, s36, v0
	v_cndmask_b32_e32 v75, 0, v3, vcc
	v_ldexp_f32 v5, v5, v6
	v_cndmask_b32_e64 v5, 0, v5, s[12:13]
	v_cmp_nlt_f32_e64 s[12:13], s14, v4
	v_cndmask_b32_e64 v2, v2, v5, s[12:13]
	v_cndmask_b32_e32 v78, 0, v2, vcc
	v_cvt_f16_f32_e32 v3, v75
	v_cvt_f16_f32_e32 v2, v78
	v_mov_b32_e32 v4, 0x1e40
	v_lshl_add_u32 v79, v1, 7, v4
	v_add_u32_e32 v4, v79, v50
	v_pack_b32_f16 v2, v3, v2
	ds_write_b32 v4, v2
	v_mul_lo_u32 v2, s8, v49
	v_mul_u32_u24_e32 v3, 0xe0, v49
	v_lshl_or_b32 v3, v77, 2, v3
	s_mul_hi_i32 s15, s47, s8
	s_mul_i32 s14, s47, s8
	s_mov_b64 s[16:17], src_private_base
	v_add_u32_e32 v77, 0xc0, v3
	v_ashrrev_i32_e32 v3, 31, v2
	s_lshl_b64 s[14:15], s[14:15], 2
	s_add_u32 s16, s43, s14
	v_lshlrev_b64 v[57:58], 2, v[2:3]
	v_cmp_gt_u32_e64 s[12:13], 16, v49
	s_addc_u32 s24, s46, s15
	s_and_saveexec_b64 s[14:15], s[12:13]
	s_cbranch_execz .LBB59_70
; %bb.69:
	v_mov_b32_e32 v2, 0
	buffer_store_dword v2, off, s[0:3], 0
	buffer_store_dword v2, off, s[0:3], 0 offset:4
	buffer_store_dword v2, off, s[0:3], 0 offset:8
	;; [unrolled: 1-line block ×3, first 2 shown]
	v_mov_b32_e32 v2, s24
	v_add_co_u32_e32 v3, vcc, s16, v57
	v_addc_co_u32_e32 v2, vcc, v2, v58, vcc
	v_add_co_u32_e32 v3, vcc, v3, v62
	v_addc_co_u32_e32 v2, vcc, 0, v2, vcc
	;; [unrolled: 2-line block ×3, first 2 shown]
	v_mov_b32_e32 v3, s17
	v_cndmask_b32_e64 v3, v3, v2, s[20:21]
	v_mov_b32_e32 v2, 0
	v_cndmask_b32_e64 v2, v2, v4, s[20:21]
	flat_load_dwordx4 v[2:5], v[2:3]
	s_waitcnt vmcnt(0) lgkmcnt(0)
	ds_write_b128 v77, v[2:5]
.LBB59_70:
	s_or_b64 exec, exec, s[14:15]
	v_mul_lo_u32 v2, s8, v61
	v_mul_u32_u24_e32 v4, 0xe0, v61
	s_movk_i32 s18, 0x80
	s_mov_b64 s[20:21], src_private_base
	v_ashrrev_i32_e32 v3, 31, v2
	v_lshlrev_b64 v[59:60], 2, v[2:3]
	v_cmp_gt_u32_e64 s[14:15], 16, v61
	v_add3_u32 v83, v4, v63, s18
	s_and_saveexec_b64 s[18:19], s[14:15]
	s_cbranch_execz .LBB59_72
; %bb.71:
	v_mov_b32_e32 v2, 0
	buffer_store_dword v2, off, s[0:3], 0
	buffer_store_dword v2, off, s[0:3], 0 offset:4
	buffer_store_dword v2, off, s[0:3], 0 offset:8
	;; [unrolled: 1-line block ×3, first 2 shown]
	v_mov_b32_e32 v2, s24
	v_add_co_u32_e32 v3, vcc, s16, v59
	v_addc_co_u32_e32 v2, vcc, v2, v60, vcc
	v_add_co_u32_e32 v3, vcc, v3, v63
	v_addc_co_u32_e32 v2, vcc, 0, v2, vcc
	;; [unrolled: 2-line block ×3, first 2 shown]
	v_mov_b32_e32 v3, s21
	v_cndmask_b32_e64 v3, v3, v2, s[10:11]
	v_mov_b32_e32 v2, 0
	v_cndmask_b32_e64 v2, v2, v4, s[10:11]
	flat_load_dwordx4 v[2:5], v[2:3]
	s_waitcnt vmcnt(0) lgkmcnt(0)
	ds_write_b128 v83, v[2:5]
.LBB59_72:
	s_or_b64 exec, exec, s[18:19]
	v_lshl_add_u32 v76, v1, 2, v76
	v_mul_lo_u32 v2, s8, v76
	s_mov_b64 s[18:19], src_private_base
	v_lshlrev_b32_e32 v82, 2, v74
	s_movk_i32 s18, 0xe0
	v_ashrrev_i32_e32 v3, 31, v2
	v_lshlrev_b64 v[55:56], 2, v[2:3]
	v_cmp_gt_u32_e64 s[10:11], 16, v76
	v_mov_b32_e32 v1, 0
	v_mad_u32_u24 v74, v76, s18, v82
	s_and_saveexec_b64 s[22:23], s[10:11]
	s_cbranch_execz .LBB59_74
; %bb.73:
	buffer_store_dword v1, off, s[0:3], 0
	buffer_store_dword v1, off, s[0:3], 0 offset:4
	buffer_store_dword v1, off, s[0:3], 0 offset:8
	;; [unrolled: 1-line block ×3, first 2 shown]
	v_mov_b32_e32 v1, s24
	v_add_co_u32_e32 v2, vcc, s16, v55
	v_addc_co_u32_e32 v1, vcc, v1, v56, vcc
	v_add_co_u32_e32 v3, vcc, v2, v82
	v_addc_co_u32_e32 v1, vcc, 0, v1, vcc
	v_mov_b32_e32 v2, s19
	v_cmp_gt_i32_e32 vcc, s36, v76
	v_cndmask_b32_e32 v2, v2, v1, vcc
	v_mov_b32_e32 v1, 0
	v_cndmask_b32_e32 v1, v1, v3, vcc
	flat_load_dwordx4 v[1:4], v[1:2]
	s_waitcnt vmcnt(0) lgkmcnt(0)
	ds_write_b128 v74, v[1:4]
.LBB59_74:
	s_or_b64 exec, exec, s[22:23]
	v_sub_f32_e32 v1, v51, v53
	s_mov_b32 s16, 0x3fb8aa3b
	v_mul_f32_e32 v2, 0x3fb8aa3b, v1
	v_fma_f32 v3, v1, s16, -v2
	v_rndne_f32_e32 v4, v2
	v_fmac_f32_e32 v3, 0x32a5705f, v1
	v_sub_f32_e32 v2, v2, v4
	v_add_f32_e32 v2, v2, v3
	v_cvt_i32_f32_e32 v3, v4
	v_sub_f32_e32 v4, v52, v54
	v_mul_f32_e32 v5, 0x3fb8aa3b, v4
	v_fma_f32 v6, v4, s16, -v5
	v_rndne_f32_e32 v7, v5
	v_exp_f32_e32 v2, v2
	v_fmac_f32_e32 v6, 0x32a5705f, v4
	v_sub_f32_e32 v5, v5, v7
	v_add_f32_e32 v5, v5, v6
	v_exp_f32_e32 v5, v5
	v_cvt_i32_f32_e32 v6, v7
	s_mov_b32 s18, 0xc2ce8ed0
	s_waitcnt lgkmcnt(0)
	s_barrier
	ds_read2_b64 v[29:32], v69 offset1:28
	ds_read_b128 v[45:48], v79
	ds_read_b128 v[41:44], v79 offset:16
	ds_read_b128 v[37:40], v79 offset:32
	;; [unrolled: 1-line block ×3, first 2 shown]
	ds_read2_b64 v[25:28], v69 offset0:56 offset1:84
	ds_read2_b64 v[21:24], v69 offset0:112 offset1:140
	;; [unrolled: 1-line block ×4, first 2 shown]
	v_ldexp_f32 v2, v2, v3
	v_cmp_ngt_f32_e32 vcc, s18, v1
	s_mov_b32 s20, 0x42b17218
	v_cndmask_b32_e32 v2, 0, v2, vcc
	v_mov_b32_e32 v3, 0x7f800000
	v_cmp_nlt_f32_e32 vcc, s20, v1
	v_cndmask_b32_e32 v51, v3, v2, vcc
	v_ldexp_f32 v1, v5, v6
	v_cmp_ngt_f32_e32 vcc, s18, v4
	v_cndmask_b32_e32 v1, 0, v1, vcc
	v_cmp_nlt_f32_e32 vcc, s20, v4
	v_cndmask_b32_e32 v52, v3, v1, vcc
	v_add_u32_e32 v1, 0x800, v69
	ds_read2_b64 v[9:12], v1 offset0:24 offset1:52
	ds_read2_b64 v[5:8], v1 offset0:80 offset1:108
	;; [unrolled: 1-line block ×3, first 2 shown]
	s_or_b32 s16, s47, 16
	v_cvt_f16_f32_e32 v84, v51
	v_cvt_f16_f32_e32 v85, v52
	s_mul_hi_i32 s23, s16, s8
	s_mul_i32 s22, s16, s8
	s_lshl_b64 s[22:23], s[22:23], 2
	s_add_u32 s8, s43, s22
	s_addc_u32 s16, s46, s23
	s_add_i32 s36, s36, -16
	s_waitcnt lgkmcnt(0)
	s_barrier
	s_and_saveexec_b64 s[22:23], s[12:13]
	s_cbranch_execz .LBB59_76
; %bb.75:
	v_mov_b32_e32 v92, 0
	buffer_store_dword v92, off, s[0:3], 0
	buffer_store_dword v92, off, s[0:3], 0 offset:4
	buffer_store_dword v92, off, s[0:3], 0 offset:8
	;; [unrolled: 1-line block ×3, first 2 shown]
	v_mov_b32_e32 v92, s16
	v_add_co_u32_e32 v57, vcc, s8, v57
	v_addc_co_u32_e32 v58, vcc, v92, v58, vcc
	v_add_co_u32_e32 v57, vcc, v57, v62
	v_addc_co_u32_e32 v58, vcc, 0, v58, vcc
	;; [unrolled: 2-line block ×3, first 2 shown]
	v_mov_b32_e32 v62, s17
	v_cmp_gt_i32_e32 vcc, s36, v49
	v_mov_b32_e32 v49, 0
	v_cndmask_b32_e32 v58, v62, v58, vcc
	v_cndmask_b32_e32 v57, v49, v57, vcc
	flat_load_dwordx4 v[92:95], v[57:58]
	s_waitcnt vmcnt(0) lgkmcnt(0)
	ds_write_b128 v77, v[92:95]
.LBB59_76:
	s_or_b64 exec, exec, s[22:23]
	s_mov_b32 s17, 0x10001
	s_and_saveexec_b64 s[12:13], s[14:15]
	s_cbranch_execz .LBB59_78
; %bb.77:
	v_mov_b32_e32 v49, 0
	buffer_store_dword v49, off, s[0:3], 0
	buffer_store_dword v49, off, s[0:3], 0 offset:4
	buffer_store_dword v49, off, s[0:3], 0 offset:8
	;; [unrolled: 1-line block ×3, first 2 shown]
	v_mov_b32_e32 v49, s16
	v_add_co_u32_e32 v57, vcc, s8, v59
	v_addc_co_u32_e32 v49, vcc, v49, v60, vcc
	v_add_co_u32_e32 v57, vcc, v57, v63
	v_addc_co_u32_e32 v49, vcc, 0, v49, vcc
	;; [unrolled: 2-line block ×3, first 2 shown]
	v_mov_b32_e32 v58, s21
	v_cmp_gt_i32_e32 vcc, s36, v61
	v_cndmask_b32_e32 v58, v58, v49, vcc
	v_mov_b32_e32 v49, 0
	v_cndmask_b32_e32 v57, v49, v57, vcc
	flat_load_dwordx4 v[57:60], v[57:58]
	s_waitcnt vmcnt(0) lgkmcnt(0)
	ds_write_b128 v83, v[57:60]
.LBB59_78:
	s_or_b64 exec, exec, s[12:13]
	v_mul_u32_u24_e32 v98, 0x10001, v84
	v_mul_u32_u24_e32 v95, 0x10001, v85
	v_mul_u32_u24_sdwa v96, v45, s17 dst_sel:DWORD dst_unused:UNUSED_PAD src0_sel:WORD_0 src1_sel:DWORD
	v_mul_u32_u24_sdwa v97, v45, s17 dst_sel:DWORD dst_unused:UNUSED_PAD src0_sel:WORD_1 src1_sel:DWORD
	v_mul_u32_u24_sdwa v93, v46, s17 dst_sel:DWORD dst_unused:UNUSED_PAD src0_sel:WORD_0 src1_sel:DWORD
	v_mul_u32_u24_sdwa v94, v46, s17 dst_sel:DWORD dst_unused:UNUSED_PAD src0_sel:WORD_1 src1_sel:DWORD
	;; [unrolled: 2-line block ×16, first 2 shown]
	s_and_saveexec_b64 s[12:13], s[10:11]
	s_cbranch_execz .LBB59_80
; %bb.79:
	v_mov_b32_e32 v36, 0
	buffer_store_dword v36, off, s[0:3], 0
	buffer_store_dword v36, off, s[0:3], 0 offset:4
	buffer_store_dword v36, off, s[0:3], 0 offset:8
	;; [unrolled: 1-line block ×3, first 2 shown]
	v_mov_b32_e32 v36, s16
	v_add_co_u32_e32 v55, vcc, s8, v55
	v_addc_co_u32_e32 v36, vcc, v36, v56, vcc
	v_add_co_u32_e32 v55, vcc, v55, v82
	v_addc_co_u32_e32 v36, vcc, 0, v36, vcc
	v_mov_b32_e32 v56, s19
	v_cmp_gt_i32_e32 vcc, s36, v76
	v_cndmask_b32_e32 v56, v56, v36, vcc
	v_mov_b32_e32 v36, 0
	v_cndmask_b32_e32 v55, v36, v55, vcc
	flat_load_dwordx4 v[99:102], v[55:56]
	s_waitcnt vmcnt(0) lgkmcnt(0)
	ds_write_b128 v74, v[99:102]
.LBB59_80:
	s_or_b64 exec, exec, s[12:13]
	v_pk_mul_f16 v36, v73, v98
	v_pk_mul_f16 v55, v71, v95
	;; [unrolled: 1-line block ×4, first 2 shown]
	v_pk_fma_f16 v56, v72, v98, v56
	v_pk_fma_f16 v29, v70, v95, v29
	;; [unrolled: 1-line block ×64, first 2 shown]
	s_waitcnt lgkmcnt(0)
	s_barrier
	ds_read2_b64 v[1:4], v69 offset1:28
	ds_read_b128 v[5:8], v79 offset:64
	ds_read_b128 v[9:12], v79 offset:80
	;; [unrolled: 1-line block ×4, first 2 shown]
	s_mov_b32 s8, 0x10001
	s_waitcnt lgkmcnt(3)
	v_mul_u32_u24_sdwa v25, v5, s8 dst_sel:DWORD dst_unused:UNUSED_PAD src0_sel:WORD_0 src1_sel:DWORD
	v_mul_u32_u24_sdwa v5, v5, s8 dst_sel:DWORD dst_unused:UNUSED_PAD src0_sel:WORD_1 src1_sel:DWORD
	v_pk_fma_f16 v21, v1, v25, v21
	v_pk_fma_f16 v1, v1, v5, v22
	;; [unrolled: 1-line block ×4, first 2 shown]
	v_mul_u32_u24_sdwa v5, v6, s8 dst_sel:DWORD dst_unused:UNUSED_PAD src0_sel:WORD_0 src1_sel:DWORD
	v_pk_fma_f16 v26, v3, v5, v21
	ds_read2_b64 v[21:24], v69 offset0:56 offset1:84
	v_mul_u32_u24_sdwa v6, v6, s8 dst_sel:DWORD dst_unused:UNUSED_PAD src0_sel:WORD_1 src1_sel:DWORD
	v_pk_fma_f16 v1, v3, v6, v1
	v_pk_fma_f16 v3, v4, v5, v25
	;; [unrolled: 1-line block ×3, first 2 shown]
	v_mul_u32_u24_sdwa v4, v7, s8 dst_sel:DWORD dst_unused:UNUSED_PAD src0_sel:WORD_0 src1_sel:DWORD
	v_mul_u32_u24_sdwa v5, v7, s8 dst_sel:DWORD dst_unused:UNUSED_PAD src0_sel:WORD_1 src1_sel:DWORD
	s_waitcnt lgkmcnt(0)
	v_pk_fma_f16 v6, v21, v4, v26
	v_pk_fma_f16 v1, v21, v5, v1
	v_mul_u32_u24_sdwa v21, v8, s8 dst_sel:DWORD dst_unused:UNUSED_PAD src0_sel:WORD_0 src1_sel:DWORD
	v_mul_u32_u24_sdwa v8, v8, s8 dst_sel:DWORD dst_unused:UNUSED_PAD src0_sel:WORD_1 src1_sel:DWORD
	v_pk_fma_f16 v7, v22, v4, v3
	v_pk_fma_f16 v5, v22, v5, v2
	;; [unrolled: 1-line block ×3, first 2 shown]
	ds_read2_b64 v[1:4], v69 offset0:112 offset1:140
	v_pk_fma_f16 v6, v23, v21, v6
	v_pk_fma_f16 v7, v24, v21, v7
	;; [unrolled: 1-line block ×3, first 2 shown]
	v_mul_u32_u24_sdwa v8, v9, s8 dst_sel:DWORD dst_unused:UNUSED_PAD src0_sel:WORD_0 src1_sel:DWORD
	v_mul_u32_u24_sdwa v9, v9, s8 dst_sel:DWORD dst_unused:UNUSED_PAD src0_sel:WORD_1 src1_sel:DWORD
	s_waitcnt lgkmcnt(0)
	v_pk_fma_f16 v6, v1, v8, v6
	v_pk_fma_f16 v1, v1, v9, v22
	;; [unrolled: 1-line block ×4, first 2 shown]
	v_mul_u32_u24_sdwa v9, v10, s8 dst_sel:DWORD dst_unused:UNUSED_PAD src0_sel:WORD_0 src1_sel:DWORD
	v_pk_fma_f16 v22, v3, v9, v6
	ds_read2_b64 v[5:8], v69 offset0:168 offset1:196
	v_mul_u32_u24_sdwa v10, v10, s8 dst_sel:DWORD dst_unused:UNUSED_PAD src0_sel:WORD_1 src1_sel:DWORD
	v_pk_fma_f16 v1, v3, v10, v1
	v_pk_fma_f16 v3, v4, v9, v21
	;; [unrolled: 1-line block ×3, first 2 shown]
	v_mul_u32_u24_sdwa v4, v11, s8 dst_sel:DWORD dst_unused:UNUSED_PAD src0_sel:WORD_0 src1_sel:DWORD
	v_mul_u32_u24_sdwa v9, v11, s8 dst_sel:DWORD dst_unused:UNUSED_PAD src0_sel:WORD_1 src1_sel:DWORD
	s_waitcnt lgkmcnt(0)
	v_pk_fma_f16 v10, v5, v4, v22
	v_pk_fma_f16 v1, v5, v9, v1
	;; [unrolled: 1-line block ×4, first 2 shown]
	v_mul_u32_u24_sdwa v9, v12, s8 dst_sel:DWORD dst_unused:UNUSED_PAD src0_sel:WORD_0 src1_sel:DWORD
	v_mul_u32_u24_sdwa v11, v12, s8 dst_sel:DWORD dst_unused:UNUSED_PAD src0_sel:WORD_1 src1_sel:DWORD
	v_pk_fma_f16 v10, v7, v9, v10
	v_pk_fma_f16 v7, v7, v11, v1
	ds_read2_b64 v[1:4], v69 offset0:224 offset1:252
	v_pk_fma_f16 v5, v8, v9, v5
	v_pk_fma_f16 v6, v8, v11, v6
	v_mul_u32_u24_sdwa v8, v13, s8 dst_sel:DWORD dst_unused:UNUSED_PAD src0_sel:WORD_0 src1_sel:DWORD
	v_mul_u32_u24_sdwa v9, v13, s8 dst_sel:DWORD dst_unused:UNUSED_PAD src0_sel:WORD_1 src1_sel:DWORD
	v_add_u32_e32 v13, 0x800, v69
	s_waitcnt lgkmcnt(0)
	v_pk_fma_f16 v10, v1, v8, v10
	v_pk_fma_f16 v1, v1, v9, v7
	v_pk_fma_f16 v11, v2, v8, v5
	v_pk_fma_f16 v2, v2, v9, v6
	ds_read2_b64 v[5:8], v13 offset0:24 offset1:52
	v_mul_u32_u24_sdwa v9, v14, s8 dst_sel:DWORD dst_unused:UNUSED_PAD src0_sel:WORD_0 src1_sel:DWORD
	v_mul_u32_u24_sdwa v12, v14, s8 dst_sel:DWORD dst_unused:UNUSED_PAD src0_sel:WORD_1 src1_sel:DWORD
	v_pk_fma_f16 v10, v3, v9, v10
	v_pk_fma_f16 v1, v3, v12, v1
	;; [unrolled: 1-line block ×4, first 2 shown]
	v_mul_u32_u24_sdwa v4, v15, s8 dst_sel:DWORD dst_unused:UNUSED_PAD src0_sel:WORD_0 src1_sel:DWORD
	v_mul_u32_u24_sdwa v9, v15, s8 dst_sel:DWORD dst_unused:UNUSED_PAD src0_sel:WORD_1 src1_sel:DWORD
	s_waitcnt lgkmcnt(0)
	v_pk_fma_f16 v10, v5, v4, v10
	v_pk_fma_f16 v1, v5, v9, v1
	;; [unrolled: 1-line block ×4, first 2 shown]
	v_mul_u32_u24_sdwa v9, v16, s8 dst_sel:DWORD dst_unused:UNUSED_PAD src0_sel:WORD_0 src1_sel:DWORD
	v_mul_u32_u24_sdwa v11, v16, s8 dst_sel:DWORD dst_unused:UNUSED_PAD src0_sel:WORD_1 src1_sel:DWORD
	v_pk_fma_f16 v10, v7, v9, v10
	v_pk_fma_f16 v7, v7, v11, v1
	ds_read2_b64 v[1:4], v13 offset0:80 offset1:108
	v_pk_fma_f16 v5, v8, v9, v5
	v_pk_fma_f16 v6, v8, v11, v6
	v_mul_u32_u24_sdwa v8, v17, s8 dst_sel:DWORD dst_unused:UNUSED_PAD src0_sel:WORD_0 src1_sel:DWORD
	v_mul_u32_u24_sdwa v9, v17, s8 dst_sel:DWORD dst_unused:UNUSED_PAD src0_sel:WORD_1 src1_sel:DWORD
	s_waitcnt lgkmcnt(0)
	v_pk_fma_f16 v10, v1, v8, v10
	v_pk_fma_f16 v1, v1, v9, v7
	;; [unrolled: 1-line block ×4, first 2 shown]
	ds_read2_b64 v[5:8], v13 offset0:136 offset1:164
	v_mul_u32_u24_sdwa v9, v18, s8 dst_sel:DWORD dst_unused:UNUSED_PAD src0_sel:WORD_0 src1_sel:DWORD
	v_mul_u32_u24_sdwa v12, v18, s8 dst_sel:DWORD dst_unused:UNUSED_PAD src0_sel:WORD_1 src1_sel:DWORD
	v_pk_fma_f16 v10, v3, v9, v10
	v_pk_fma_f16 v1, v3, v12, v1
	v_pk_fma_f16 v3, v4, v9, v11
	v_pk_fma_f16 v2, v4, v12, v2
	v_mul_u32_u24_sdwa v4, v19, s8 dst_sel:DWORD dst_unused:UNUSED_PAD src0_sel:WORD_0 src1_sel:DWORD
	v_mul_u32_u24_sdwa v9, v19, s8 dst_sel:DWORD dst_unused:UNUSED_PAD src0_sel:WORD_1 src1_sel:DWORD
	v_fmac_f32_e32 v75, v81, v51
	v_fmac_f32_e32 v78, v80, v52
	s_waitcnt lgkmcnt(0)
	v_pk_fma_f16 v10, v5, v4, v10
	v_pk_fma_f16 v1, v5, v9, v1
	;; [unrolled: 1-line block ×4, first 2 shown]
	v_mul_u32_u24_sdwa v4, v20, s8 dst_sel:DWORD dst_unused:UNUSED_PAD src0_sel:WORD_0 src1_sel:DWORD
	v_mul_u32_u24_sdwa v5, v20, s8 dst_sel:DWORD dst_unused:UNUSED_PAD src0_sel:WORD_1 src1_sel:DWORD
	v_mov_b32_e32 v51, v53
	v_pk_fma_f16 v72, v7, v4, v10
	v_pk_fma_f16 v70, v7, v5, v1
	;; [unrolled: 1-line block ×4, first 2 shown]
	v_mov_b32_e32 v80, v78
	v_mov_b32_e32 v81, v75
	;; [unrolled: 1-line block ×3, first 2 shown]
	s_barrier
.LBB59_81:
	v_cmp_lt_i32_e32 vcc, v88, v86
	v_cndmask_b32_e32 v1, v64, v88, vcc
	v_lshlrev_b32_e32 v1, 2, v1
	ds_bpermute_b32 v2, v1, v81
	ds_bpermute_b32 v1, v1, v80
	v_cmp_lt_i32_e32 vcc, v87, v86
	v_cndmask_b32_e32 v3, v64, v87, vcc
	v_lshlrev_b32_e32 v3, 2, v3
	s_waitcnt lgkmcnt(1)
	v_add_f32_e32 v2, v81, v2
	s_waitcnt lgkmcnt(0)
	v_add_f32_e32 v1, v80, v1
	ds_bpermute_b32 v4, v3, v2
	ds_bpermute_b32 v3, v3, v1
	v_cmp_lt_i32_e32 vcc, v89, v86
	v_cndmask_b32_e32 v5, v64, v89, vcc
	v_lshlrev_b32_e32 v5, 2, v5
	s_waitcnt lgkmcnt(1)
	v_add_f32_e32 v2, v2, v4
	s_waitcnt lgkmcnt(0)
	v_add_f32_e32 v1, v1, v3
	;; [unrolled: 9-line block ×4, first 2 shown]
	ds_bpermute_b32 v4, v5, v2
	ds_bpermute_b32 v5, v5, v3
	s_cmp_eq_u64 s[44:45], 0
	s_cselect_b64 s[10:11], -1, 0
	s_cmp_lg_u32 s9, 0
	s_cselect_b64 s[12:13], -1, 0
	s_or_b64 s[10:11], s[12:13], s[10:11]
	s_waitcnt lgkmcnt(1)
	v_add_f32_e32 v1, v2, v4
	s_waitcnt lgkmcnt(0)
	v_add_f32_e32 v2, v3, v5
	s_and_b64 vcc, exec, s[10:11]
	s_cbranch_vccnz .LBB59_84
; %bb.82:
	s_lshl_b64 s[10:11], s[30:31], 2
	s_add_u32 s10, s44, s10
	s_addc_u32 s11, s45, s11
	v_mov_b32_e32 v3, 0
	global_load_dword v3, v3, s[10:11]
	v_max_f32_e32 v4, v51, v51
	v_max_f32_e32 v6, v52, v52
	s_mov_b32 s8, 0x3fb8aa3b
	s_mov_b32 s10, 0xc2ce8ed0
	;; [unrolled: 1-line block ×3, first 2 shown]
	v_mov_b32_e32 v7, 0x7f800000
	s_waitcnt vmcnt(0)
	v_max_f32_e32 v8, v3, v3
	v_max_f32_e32 v5, v4, v8
	;; [unrolled: 1-line block ×3, first 2 shown]
	v_sub_f32_e32 v4, v51, v5
	v_sub_f32_e32 v8, v3, v5
	;; [unrolled: 1-line block ×3, first 2 shown]
	v_mul_f32_e32 v3, 0x3fb8aa3b, v4
	v_sub_f32_e32 v9, v52, v6
	v_mul_f32_e32 v11, 0x3fb8aa3b, v8
	v_fma_f32 v14, v4, s8, -v3
	v_rndne_f32_e32 v15, v3
	v_mul_f32_e32 v12, 0x3fb8aa3b, v9
	v_fma_f32 v16, v8, s8, -v11
	v_rndne_f32_e32 v17, v11
	v_fmac_f32_e32 v14, 0x32a5705f, v4
	v_sub_f32_e32 v3, v3, v15
	v_mul_f32_e32 v13, 0x3fb8aa3b, v10
	v_fma_f32 v18, v9, s8, -v12
	v_rndne_f32_e32 v19, v12
	v_fmac_f32_e32 v16, 0x32a5705f, v8
	v_sub_f32_e32 v11, v11, v17
	v_add_f32_e32 v3, v3, v14
	v_fma_f32 v20, v10, s8, -v13
	v_rndne_f32_e32 v21, v13
	v_cvt_i32_f32_e32 v15, v15
	v_fmac_f32_e32 v18, 0x32a5705f, v9
	v_sub_f32_e32 v12, v12, v19
	v_add_f32_e32 v11, v11, v16
	v_exp_f32_e32 v3, v3
	v_cvt_i32_f32_e32 v17, v17
	v_fmac_f32_e32 v20, 0x32a5705f, v10
	v_sub_f32_e32 v13, v13, v21
	v_add_f32_e32 v12, v12, v18
	v_exp_f32_e32 v11, v11
	v_cvt_i32_f32_e32 v19, v19
	v_add_f32_e32 v13, v13, v20
	v_exp_f32_e32 v12, v12
	v_cvt_i32_f32_e32 v21, v21
	v_exp_f32_e32 v13, v13
	v_ldexp_f32 v3, v3, v15
	v_cmp_ngt_f32_e32 vcc, s10, v4
	v_ldexp_f32 v11, v11, v17
	v_cndmask_b32_e32 v3, 0, v3, vcc
	v_cmp_ngt_f32_e32 vcc, s10, v8
	v_ldexp_f32 v12, v12, v19
	v_cndmask_b32_e32 v11, 0, v11, vcc
	;; [unrolled: 3-line block ×3, first 2 shown]
	v_cmp_ngt_f32_e32 vcc, s10, v10
	v_cndmask_b32_e32 v13, 0, v13, vcc
	v_cmp_nlt_f32_e32 vcc, s11, v4
	v_cndmask_b32_e32 v14, v7, v3, vcc
	v_cmp_nlt_f32_e32 vcc, s11, v8
	;; [unrolled: 2-line block ×4, first 2 shown]
	v_cndmask_b32_e32 v4, v7, v13, vcc
	v_cvt_f16_f32_e32 v7, v14
	v_cvt_f16_f32_e32 v9, v8
	v_fmac_f32_e32 v3, v1, v14
	v_fmac_f32_e32 v4, v2, v8
	v_mov_b32_e32 v1, v3
	v_mul_u32_u24_e32 v7, 0x10001, v7
	v_mul_u32_u24_e32 v8, 0x10001, v9
	v_mov_b32_e32 v52, v6
	v_mov_b32_e32 v2, v4
	v_pk_mul_f16 v72, v72, v7
	v_pk_mul_f16 v73, v73, v7
	v_pk_mul_f16 v70, v70, v8
	v_pk_mul_f16 v71, v71, v8
	v_mov_b32_e32 v51, v5
	v_cmp_gt_i32_e32 vcc, s54, v68
	s_and_saveexec_b64 s[10:11], vcc
	s_cbranch_execnz .LBB59_85
.LBB59_83:
	s_endpgm
.LBB59_84:
	v_mov_b32_e32 v3, v1
	v_mov_b32_e32 v4, v2
	v_cmp_gt_i32_e32 vcc, s54, v68
	s_and_saveexec_b64 s[10:11], vcc
	s_cbranch_execz .LBB59_83
.LBB59_85:
	s_load_dword s8, s[4:5], 0xd4
	v_mov_b32_e32 v6, 1.0
	s_waitcnt lgkmcnt(0)
	s_cmp_lg_u32 s8, 1
	s_cselect_b64 s[10:11], -1, 0
	s_cmp_eq_u32 s8, 1
	s_cselect_b64 s[4:5], -1, 0
	s_and_b64 vcc, exec, s[10:11]
	s_cbranch_vccnz .LBB59_87
; %bb.86:
	v_div_scale_f32 v5, s[12:13], v3, v3, 1.0
	v_div_scale_f32 v6, vcc, 1.0, v3, 1.0
	v_rcp_f32_e32 v7, v5
	v_fma_f32 v8, -v5, v7, 1.0
	v_fmac_f32_e32 v7, v8, v7
	v_mul_f32_e32 v8, v6, v7
	v_fma_f32 v9, -v5, v8, v6
	v_fmac_f32_e32 v8, v9, v7
	v_fma_f32 v5, -v5, v8, v6
	v_div_fmas_f32 v5, v5, v7, v8
	v_div_fixup_f32 v6, v5, v3, 1.0
.LBB59_87:
	s_mul_i32 s14, s33, s54
	s_add_i32 s14, s14, s42
	v_add_u32_e32 v3, s14, v67
	v_mul_lo_u32 v3, v3, s55
	v_add_u32_e32 v3, s30, v3
	v_mul_lo_u32 v3, s8, v3
	v_add_u32_e32 v5, s9, v3
	s_and_saveexec_b64 s[12:13], s[6:7]
	s_cbranch_execz .LBB59_89
; %bb.88:
	s_movk_i32 s15, 0x70
	v_mad_u64_u32 v[7:8], s[16:17], v5, s15, v[50:51]
	v_mov_b32_e32 v8, 0
	v_mov_b32_e32 v3, s49
	v_lshlrev_b64 v[7:8], 2, v[7:8]
	v_cvt_f32_f16_sdwa v12, v72 dst_sel:DWORD dst_unused:UNUSED_PAD src0_sel:WORD_1
	v_add_co_u32_e32 v10, vcc, s48, v7
	v_addc_co_u32_e32 v11, vcc, v3, v8, vcc
	v_cvt_f32_f16_sdwa v3, v73 dst_sel:DWORD dst_unused:UNUSED_PAD src0_sel:WORD_1
	v_cvt_f32_f16_e32 v7, v73
	v_cvt_f32_f16_e32 v13, v72
	v_mul_f32_e32 v9, v6, v3
	v_mul_f32_e32 v8, v6, v7
	;; [unrolled: 1-line block ×4, first 2 shown]
	global_store_dwordx4 v[10:11], v[6:9], off
.LBB59_89:
	s_or_b64 exec, exec, s[12:13]
	v_cmp_eq_u32_e32 vcc, 0, v0
	s_and_b64 s[10:11], vcc, s[10:11]
	s_and_saveexec_b64 s[12:13], s[10:11]
	s_cbranch_execz .LBB59_91
; %bb.90:
	v_ashrrev_i32_e32 v6, 31, v5
	v_lshlrev_b64 v[5:6], 3, v[5:6]
	v_mov_b32_e32 v0, s51
	v_add_co_u32_e32 v5, vcc, s50, v5
	v_addc_co_u32_e32 v6, vcc, v0, v6, vcc
	v_mov_b32_e32 v0, v51
	global_store_dwordx2 v[5:6], v[0:1], off
.LBB59_91:
	s_or_b64 exec, exec, s[12:13]
	v_cmp_gt_i32_e32 vcc, s54, v66
	s_and_b64 exec, exec, vcc
	s_cbranch_execz .LBB59_83
; %bb.92:
	s_andn2_b64 vcc, exec, s[4:5]
	v_mov_b32_e32 v1, 1.0
	s_cbranch_vccnz .LBB59_94
; %bb.93:
	v_div_scale_f32 v0, s[4:5], v4, v4, 1.0
	v_div_scale_f32 v1, vcc, 1.0, v4, 1.0
	v_rcp_f32_e32 v3, v0
	v_fma_f32 v5, -v0, v3, 1.0
	v_fmac_f32_e32 v3, v5, v3
	v_mul_f32_e32 v5, v1, v3
	v_fma_f32 v6, -v0, v5, v1
	v_fmac_f32_e32 v5, v6, v3
	v_fma_f32 v0, -v0, v5, v1
	v_div_fmas_f32 v0, v0, v3, v5
	v_div_fixup_f32 v1, v0, v4, 1.0
.LBB59_94:
	v_add_u32_e32 v0, s14, v65
	v_mul_lo_u32 v0, v0, s55
	v_add_u32_e32 v0, s30, v0
	v_mul_lo_u32 v0, s8, v0
	v_add_u32_e32 v0, s9, v0
	s_and_saveexec_b64 s[4:5], s[6:7]
	s_cbranch_execz .LBB59_96
; %bb.95:
	s_movk_i32 s6, 0x70
	v_mad_u64_u32 v[3:4], s[6:7], v0, s6, v[50:51]
	v_mov_b32_e32 v4, 0
	v_mov_b32_e32 v5, s49
	v_lshlrev_b64 v[3:4], 2, v[3:4]
	v_cvt_f32_f16_sdwa v9, v70 dst_sel:DWORD dst_unused:UNUSED_PAD src0_sel:WORD_1
	v_add_co_u32_e32 v7, vcc, s48, v3
	v_addc_co_u32_e32 v8, vcc, v5, v4, vcc
	v_cvt_f32_f16_sdwa v3, v71 dst_sel:DWORD dst_unused:UNUSED_PAD src0_sel:WORD_1
	v_cvt_f32_f16_e32 v4, v71
	v_cvt_f32_f16_e32 v10, v70
	v_mul_f32_e32 v6, v1, v3
	v_mul_f32_e32 v5, v1, v4
	v_mul_f32_e32 v4, v1, v9
	v_mul_f32_e32 v3, v1, v10
	global_store_dwordx4 v[7:8], v[3:6], off
.LBB59_96:
	s_or_b64 exec, exec, s[4:5]
	s_and_b64 exec, exec, s[10:11]
	s_cbranch_execz .LBB59_83
; %bb.97:
	v_ashrrev_i32_e32 v1, 31, v0
	v_lshlrev_b64 v[0:1], 3, v[0:1]
	v_mov_b32_e32 v4, s51
	v_add_co_u32_e32 v3, vcc, s50, v0
	v_addc_co_u32_e32 v4, vcc, v4, v1, vcc
	v_mov_b32_e32 v1, v52
	global_store_dwordx2 v[3:4], v[1:2], off
	s_endpgm
	.section	.rodata,"a",@progbits
	.p2align	6, 0x0
	.amdhsa_kernel _ZL15flash_attn_tileILi112ELi112ELi16ELi1ELb0EEvPKcS1_S1_S1_S1_PKiPfP15HIP_vector_typeIfLj2EEffffjfiS5_IjLj3EEiiiiiiiiiiiliiliiiiil
		.amdhsa_group_segment_fixed_size 8768
		.amdhsa_private_segment_fixed_size 32
		.amdhsa_kernarg_size 464
		.amdhsa_user_sgpr_count 8
		.amdhsa_user_sgpr_private_segment_buffer 1
		.amdhsa_user_sgpr_dispatch_ptr 0
		.amdhsa_user_sgpr_queue_ptr 0
		.amdhsa_user_sgpr_kernarg_segment_ptr 1
		.amdhsa_user_sgpr_dispatch_id 0
		.amdhsa_user_sgpr_flat_scratch_init 1
		.amdhsa_user_sgpr_private_segment_size 0
		.amdhsa_uses_dynamic_stack 0
		.amdhsa_system_sgpr_private_segment_wavefront_offset 1
		.amdhsa_system_sgpr_workgroup_id_x 1
		.amdhsa_system_sgpr_workgroup_id_y 1
		.amdhsa_system_sgpr_workgroup_id_z 1
		.amdhsa_system_sgpr_workgroup_info 0
		.amdhsa_system_vgpr_workitem_id 1
		.amdhsa_next_free_vgpr 120
		.amdhsa_next_free_sgpr 75
		.amdhsa_reserve_vcc 1
		.amdhsa_reserve_flat_scratch 1
		.amdhsa_float_round_mode_32 0
		.amdhsa_float_round_mode_16_64 0
		.amdhsa_float_denorm_mode_32 3
		.amdhsa_float_denorm_mode_16_64 3
		.amdhsa_dx10_clamp 1
		.amdhsa_ieee_mode 1
		.amdhsa_fp16_overflow 0
		.amdhsa_exception_fp_ieee_invalid_op 0
		.amdhsa_exception_fp_denorm_src 0
		.amdhsa_exception_fp_ieee_div_zero 0
		.amdhsa_exception_fp_ieee_overflow 0
		.amdhsa_exception_fp_ieee_underflow 0
		.amdhsa_exception_fp_ieee_inexact 0
		.amdhsa_exception_int_div_zero 0
	.end_amdhsa_kernel
	.section	.text._ZL15flash_attn_tileILi112ELi112ELi16ELi1ELb0EEvPKcS1_S1_S1_S1_PKiPfP15HIP_vector_typeIfLj2EEffffjfiS5_IjLj3EEiiiiiiiiiiiliiliiiiil,"axG",@progbits,_ZL15flash_attn_tileILi112ELi112ELi16ELi1ELb0EEvPKcS1_S1_S1_S1_PKiPfP15HIP_vector_typeIfLj2EEffffjfiS5_IjLj3EEiiiiiiiiiiiliiliiiiil,comdat
.Lfunc_end59:
	.size	_ZL15flash_attn_tileILi112ELi112ELi16ELi1ELb0EEvPKcS1_S1_S1_S1_PKiPfP15HIP_vector_typeIfLj2EEffffjfiS5_IjLj3EEiiiiiiiiiiiliiliiiiil, .Lfunc_end59-_ZL15flash_attn_tileILi112ELi112ELi16ELi1ELb0EEvPKcS1_S1_S1_S1_PKiPfP15HIP_vector_typeIfLj2EEffffjfiS5_IjLj3EEiiiiiiiiiiiliiliiiiil
                                        ; -- End function
	.set _ZL15flash_attn_tileILi112ELi112ELi16ELi1ELb0EEvPKcS1_S1_S1_S1_PKiPfP15HIP_vector_typeIfLj2EEffffjfiS5_IjLj3EEiiiiiiiiiiiliiliiiiil.num_vgpr, 120
	.set _ZL15flash_attn_tileILi112ELi112ELi16ELi1ELb0EEvPKcS1_S1_S1_S1_PKiPfP15HIP_vector_typeIfLj2EEffffjfiS5_IjLj3EEiiiiiiiiiiiliiliiiiil.num_agpr, 0
	.set _ZL15flash_attn_tileILi112ELi112ELi16ELi1ELb0EEvPKcS1_S1_S1_S1_PKiPfP15HIP_vector_typeIfLj2EEffffjfiS5_IjLj3EEiiiiiiiiiiiliiliiiiil.numbered_sgpr, 68
	.set _ZL15flash_attn_tileILi112ELi112ELi16ELi1ELb0EEvPKcS1_S1_S1_S1_PKiPfP15HIP_vector_typeIfLj2EEffffjfiS5_IjLj3EEiiiiiiiiiiiliiliiiiil.num_named_barrier, 0
	.set _ZL15flash_attn_tileILi112ELi112ELi16ELi1ELb0EEvPKcS1_S1_S1_S1_PKiPfP15HIP_vector_typeIfLj2EEffffjfiS5_IjLj3EEiiiiiiiiiiiliiliiiiil.private_seg_size, 32
	.set _ZL15flash_attn_tileILi112ELi112ELi16ELi1ELb0EEvPKcS1_S1_S1_S1_PKiPfP15HIP_vector_typeIfLj2EEffffjfiS5_IjLj3EEiiiiiiiiiiiliiliiiiil.uses_vcc, 1
	.set _ZL15flash_attn_tileILi112ELi112ELi16ELi1ELb0EEvPKcS1_S1_S1_S1_PKiPfP15HIP_vector_typeIfLj2EEffffjfiS5_IjLj3EEiiiiiiiiiiiliiliiiiil.uses_flat_scratch, 1
	.set _ZL15flash_attn_tileILi112ELi112ELi16ELi1ELb0EEvPKcS1_S1_S1_S1_PKiPfP15HIP_vector_typeIfLj2EEffffjfiS5_IjLj3EEiiiiiiiiiiiliiliiiiil.has_dyn_sized_stack, 0
	.set _ZL15flash_attn_tileILi112ELi112ELi16ELi1ELb0EEvPKcS1_S1_S1_S1_PKiPfP15HIP_vector_typeIfLj2EEffffjfiS5_IjLj3EEiiiiiiiiiiiliiliiiiil.has_recursion, 0
	.set _ZL15flash_attn_tileILi112ELi112ELi16ELi1ELb0EEvPKcS1_S1_S1_S1_PKiPfP15HIP_vector_typeIfLj2EEffffjfiS5_IjLj3EEiiiiiiiiiiiliiliiiiil.has_indirect_call, 0
	.section	.AMDGPU.csdata,"",@progbits
; Kernel info:
; codeLenInByte = 15344
; TotalNumSgprs: 74
; NumVgprs: 120
; ScratchSize: 32
; MemoryBound: 0
; FloatMode: 240
; IeeeMode: 1
; LDSByteSize: 8768 bytes/workgroup (compile time only)
; SGPRBlocks: 10
; VGPRBlocks: 29
; NumSGPRsForWavesPerEU: 81
; NumVGPRsForWavesPerEU: 120
; Occupancy: 2
; WaveLimiterHint : 1
; COMPUTE_PGM_RSRC2:SCRATCH_EN: 1
; COMPUTE_PGM_RSRC2:USER_SGPR: 8
; COMPUTE_PGM_RSRC2:TRAP_HANDLER: 0
; COMPUTE_PGM_RSRC2:TGID_X_EN: 1
; COMPUTE_PGM_RSRC2:TGID_Y_EN: 1
; COMPUTE_PGM_RSRC2:TGID_Z_EN: 1
; COMPUTE_PGM_RSRC2:TIDIG_COMP_CNT: 1
	.section	.text._ZL33flash_attn_stream_k_fixup_uniformILi112ELi16ELi1EEvPfPK15HIP_vector_typeIfLj2EEiiiiiiS1_IjLj3EES5_S5_,"axG",@progbits,_ZL33flash_attn_stream_k_fixup_uniformILi112ELi16ELi1EEvPfPK15HIP_vector_typeIfLj2EEiiiiiiS1_IjLj3EES5_S5_,comdat
	.globl	_ZL33flash_attn_stream_k_fixup_uniformILi112ELi16ELi1EEvPfPK15HIP_vector_typeIfLj2EEiiiiiiS1_IjLj3EES5_S5_ ; -- Begin function _ZL33flash_attn_stream_k_fixup_uniformILi112ELi16ELi1EEvPfPK15HIP_vector_typeIfLj2EEiiiiiiS1_IjLj3EES5_S5_
	.p2align	8
	.type	_ZL33flash_attn_stream_k_fixup_uniformILi112ELi16ELi1EEvPfPK15HIP_vector_typeIfLj2EEiiiiiiS1_IjLj3EES5_S5_,@function
_ZL33flash_attn_stream_k_fixup_uniformILi112ELi16ELi1EEvPfPK15HIP_vector_typeIfLj2EEiiiiiiS1_IjLj3EES5_S5_: ; @_ZL33flash_attn_stream_k_fixup_uniformILi112ELi16ELi1EEvPfPK15HIP_vector_typeIfLj2EEiiiiiiS1_IjLj3EES5_S5_
; %bb.0:
	s_load_dwordx8 s[12:19], s[4:5], 0x1c
	s_load_dwordx2 s[10:11], s[4:5], 0x10
	s_load_dwordx4 s[0:3], s[4:5], 0x3c
	s_waitcnt lgkmcnt(0)
	s_mul_hi_u32 s9, s15, s6
	s_add_i32 s9, s6, s9
	s_lshr_b32 s9, s9, s16
	s_mul_i32 s15, s9, s17
	s_sub_i32 s16, s6, s15
	s_mul_hi_u32 s15, s16, s18
	s_add_i32 s15, s16, s15
	s_lshr_b32 s15, s15, s19
	s_mul_i32 s0, s15, s0
	s_sub_i32 s0, s16, s0
	;; [unrolled: 5-line block ×3, first 2 shown]
	s_lshl_b32 s0, s16, 4
	s_add_i32 s0, s0, s7
	s_cmp_lt_i32 s0, s10
	s_cselect_b64 s[0:1], -1, 0
	s_add_i32 s17, s17, s8
	s_cmp_lt_i32 s17, s13
	s_cselect_b64 s[2:3], -1, 0
	s_and_b64 s[0:1], s[0:1], s[2:3]
	s_andn2_b64 vcc, exec, s[0:1]
	s_cbranch_vccnz .LBB60_6
; %bb.1:
	s_load_dwordx4 s[0:3], s[4:5], 0x0
	s_mul_i32 s4, s9, s10
	s_mul_i32 s15, s15, s13
	s_add_i32 s4, s4, s7
	s_mul_i32 s4, s4, s11
	s_add_i32 s9, s17, s15
	;; [unrolled: 2-line block ×3, first 2 shown]
	s_mulk_i32 s5, 0x700
	s_mulk_i32 s4, 0x70
	s_add_i32 s4, s4, s5
	v_add_u32_e32 v1, s4, v0
	v_ashrrev_i32_e32 v2, 31, v1
	v_lshlrev_b64 v[1:2], 2, v[1:2]
	s_waitcnt lgkmcnt(0)
	v_mov_b32_e32 v3, s1
	v_add_co_u32_e32 v1, vcc, s0, v1
	v_addc_co_u32_e32 v2, vcc, v3, v2, vcc
	global_load_dword v8, v[1:2], off
	s_add_i32 s4, s7, s8
	s_mul_i32 s7, s14, s6
	s_add_i32 s5, s7, s14
	s_lshl_b32 s0, s5, 4
	s_add_i32 s0, s4, s0
	s_add_i32 s0, s0, -16
	s_ashr_i32 s1, s0, 31
	s_lshl_b64 s[0:1], s[0:1], 3
	s_add_u32 s0, s2, s0
	s_addc_u32 s1, s3, s1
	s_load_dword s10, s[0:1], 0x4
	s_add_i32 s8, s5, -2
	s_cmp_lt_i32 s8, s7
	s_cbranch_scc1 .LBB60_4
; %bb.2:
	s_lshl_b32 s8, s12, 6
	s_ashr_i32 s9, s8, 31
	s_lshl_b64 s[8:9], s[8:9], 2
	s_add_u32 s8, s2, s8
	s_addc_u32 s11, s3, s9
	s_load_dword s0, s[0:1], 0x0
	s_add_i32 s6, s6, 1
	s_add_i32 s9, s5, -1
	s_mul_i32 s5, s14, s6
	s_mul_i32 s1, s4, 0x70
	s_lshl_b32 s6, s5, 4
	s_mulk_i32 s5, 0x700
	s_add_i32 s4, s4, s6
	s_lshl_b32 s6, s12, 4
	s_add_i32 s1, s1, s5
	s_add_i32 s4, s4, s6
	v_add_u32_e32 v0, s1, v0
	s_sub_i32 s4, s4, 32
	v_add_u32_e32 v3, 0xfffff200, v0
	s_waitcnt lgkmcnt(0)
	v_mov_b32_e32 v7, s10
	v_mov_b32_e32 v6, s0
	;; [unrolled: 1-line block ×3, first 2 shown]
	s_mov_b32 s6, 0x3fb8aa3b
	s_mov_b32 s10, 0xc2ce8ed0
	;; [unrolled: 1-line block ×3, first 2 shown]
	v_mov_b32_e32 v5, 0x7f800000
	s_mov_b32 s12, 0xc1a00000
.LBB60_3:                               ; =>This Inner Loop Header: Depth=1
	v_ashrrev_i32_e32 v4, 31, v3
	v_lshlrev_b64 v[9:10], 2, v[3:4]
	s_ashr_i32 s5, s4, 31
	v_add_co_u32_e32 v9, vcc, s8, v9
	v_addc_co_u32_e32 v10, vcc, v0, v10, vcc
	global_load_dword v4, v[9:10], off
	s_lshl_b64 s[0:1], s[4:5], 3
	s_add_u32 s0, s2, s0
	s_addc_u32 s1, s3, s1
	s_load_dwordx2 s[14:15], s[0:1], 0x0
	s_waitcnt vmcnt(1)
	v_mov_b32_e32 v9, v8
	v_max_f32_e32 v8, v6, v6
	v_mov_b32_e32 v10, v7
	s_add_i32 s9, s9, -1
	s_waitcnt lgkmcnt(0)
	v_max_f32_e64 v7, s14, s14
	v_max_f32_e32 v7, v8, v7
	v_sub_f32_e32 v11, s14, v7
	v_sub_f32_e32 v8, v6, v7
	v_mul_f32_e32 v12, 0x3fb8aa3b, v11
	v_mov_b32_e32 v6, v7
	v_mul_f32_e32 v7, 0x3fb8aa3b, v8
	v_fma_f32 v15, v11, s6, -v12
	v_rndne_f32_e32 v16, v12
	v_fma_f32 v13, v8, s6, -v7
	v_rndne_f32_e32 v14, v7
	v_fmac_f32_e32 v15, 0x32a5705f, v11
	v_sub_f32_e32 v12, v12, v16
	v_fmac_f32_e32 v13, 0x32a5705f, v8
	v_sub_f32_e32 v7, v7, v14
	v_add_f32_e32 v12, v12, v15
	v_cvt_i32_f32_e32 v16, v16
	v_add_f32_e32 v7, v7, v13
	v_exp_f32_e32 v12, v12
	v_cvt_i32_f32_e32 v14, v14
	v_exp_f32_e32 v7, v7
	v_cmp_ngt_f32_e32 vcc, s10, v11
	v_ldexp_f32 v12, v12, v16
	v_cmp_ngt_f32_e64 s[0:1], s10, v8
	v_ldexp_f32 v7, v7, v14
	v_cndmask_b32_e32 v12, 0, v12, vcc
	v_cmp_nlt_f32_e32 vcc, s11, v11
	v_cndmask_b32_e64 v7, 0, v7, s[0:1]
	v_cmp_nlt_f32_e64 s[0:1], s11, v8
	v_cndmask_b32_e32 v12, v5, v12, vcc
	v_cmp_le_f32_e32 vcc, s12, v11
	v_cndmask_b32_e64 v7, v5, v7, s[0:1]
	v_cmp_le_f32_e64 s[0:1], s12, v8
	v_cndmask_b32_e32 v8, 0, v12, vcc
	s_add_i32 s4, s4, -16
	v_cndmask_b32_e64 v11, 0, v7, s[0:1]
	v_mul_f32_e32 v7, s15, v8
	v_add_u32_e32 v3, 0xfffff900, v3
	s_cmp_le_i32 s9, s7
	v_fmac_f32_e32 v7, v10, v11
	s_waitcnt vmcnt(0)
	v_mul_f32_e32 v8, v4, v8
	v_fmac_f32_e32 v8, v9, v11
	s_cbranch_scc0 .LBB60_3
	s_branch .LBB60_5
.LBB60_4:
	s_waitcnt lgkmcnt(0)
	v_mov_b32_e32 v7, s10
.LBB60_5:
	s_waitcnt vmcnt(0)
	v_div_scale_f32 v0, s[0:1], v7, v7, v8
	v_div_scale_f32 v3, vcc, v8, v7, v8
	v_rcp_f32_e32 v4, v0
	v_fma_f32 v5, -v0, v4, 1.0
	v_fmac_f32_e32 v4, v5, v4
	v_mul_f32_e32 v5, v3, v4
	v_fma_f32 v6, -v0, v5, v3
	v_fmac_f32_e32 v5, v6, v4
	v_fma_f32 v0, -v0, v5, v3
	v_div_fmas_f32 v0, v0, v4, v5
	v_div_fixup_f32 v0, v0, v7, v8
	global_store_dword v[1:2], v0, off
.LBB60_6:
	s_endpgm
	.section	.rodata,"a",@progbits
	.p2align	6, 0x0
	.amdhsa_kernel _ZL33flash_attn_stream_k_fixup_uniformILi112ELi16ELi1EEvPfPK15HIP_vector_typeIfLj2EEiiiiiiS1_IjLj3EES5_S5_
		.amdhsa_group_segment_fixed_size 0
		.amdhsa_private_segment_fixed_size 0
		.amdhsa_kernarg_size 76
		.amdhsa_user_sgpr_count 6
		.amdhsa_user_sgpr_private_segment_buffer 1
		.amdhsa_user_sgpr_dispatch_ptr 0
		.amdhsa_user_sgpr_queue_ptr 0
		.amdhsa_user_sgpr_kernarg_segment_ptr 1
		.amdhsa_user_sgpr_dispatch_id 0
		.amdhsa_user_sgpr_flat_scratch_init 0
		.amdhsa_user_sgpr_private_segment_size 0
		.amdhsa_uses_dynamic_stack 0
		.amdhsa_system_sgpr_private_segment_wavefront_offset 0
		.amdhsa_system_sgpr_workgroup_id_x 1
		.amdhsa_system_sgpr_workgroup_id_y 1
		.amdhsa_system_sgpr_workgroup_id_z 1
		.amdhsa_system_sgpr_workgroup_info 0
		.amdhsa_system_vgpr_workitem_id 0
		.amdhsa_next_free_vgpr 17
		.amdhsa_next_free_sgpr 20
		.amdhsa_reserve_vcc 1
		.amdhsa_reserve_flat_scratch 0
		.amdhsa_float_round_mode_32 0
		.amdhsa_float_round_mode_16_64 0
		.amdhsa_float_denorm_mode_32 3
		.amdhsa_float_denorm_mode_16_64 3
		.amdhsa_dx10_clamp 1
		.amdhsa_ieee_mode 1
		.amdhsa_fp16_overflow 0
		.amdhsa_exception_fp_ieee_invalid_op 0
		.amdhsa_exception_fp_denorm_src 0
		.amdhsa_exception_fp_ieee_div_zero 0
		.amdhsa_exception_fp_ieee_overflow 0
		.amdhsa_exception_fp_ieee_underflow 0
		.amdhsa_exception_fp_ieee_inexact 0
		.amdhsa_exception_int_div_zero 0
	.end_amdhsa_kernel
	.section	.text._ZL33flash_attn_stream_k_fixup_uniformILi112ELi16ELi1EEvPfPK15HIP_vector_typeIfLj2EEiiiiiiS1_IjLj3EES5_S5_,"axG",@progbits,_ZL33flash_attn_stream_k_fixup_uniformILi112ELi16ELi1EEvPfPK15HIP_vector_typeIfLj2EEiiiiiiS1_IjLj3EES5_S5_,comdat
.Lfunc_end60:
	.size	_ZL33flash_attn_stream_k_fixup_uniformILi112ELi16ELi1EEvPfPK15HIP_vector_typeIfLj2EEiiiiiiS1_IjLj3EES5_S5_, .Lfunc_end60-_ZL33flash_attn_stream_k_fixup_uniformILi112ELi16ELi1EEvPfPK15HIP_vector_typeIfLj2EEiiiiiiS1_IjLj3EES5_S5_
                                        ; -- End function
	.set _ZL33flash_attn_stream_k_fixup_uniformILi112ELi16ELi1EEvPfPK15HIP_vector_typeIfLj2EEiiiiiiS1_IjLj3EES5_S5_.num_vgpr, 17
	.set _ZL33flash_attn_stream_k_fixup_uniformILi112ELi16ELi1EEvPfPK15HIP_vector_typeIfLj2EEiiiiiiS1_IjLj3EES5_S5_.num_agpr, 0
	.set _ZL33flash_attn_stream_k_fixup_uniformILi112ELi16ELi1EEvPfPK15HIP_vector_typeIfLj2EEiiiiiiS1_IjLj3EES5_S5_.numbered_sgpr, 20
	.set _ZL33flash_attn_stream_k_fixup_uniformILi112ELi16ELi1EEvPfPK15HIP_vector_typeIfLj2EEiiiiiiS1_IjLj3EES5_S5_.num_named_barrier, 0
	.set _ZL33flash_attn_stream_k_fixup_uniformILi112ELi16ELi1EEvPfPK15HIP_vector_typeIfLj2EEiiiiiiS1_IjLj3EES5_S5_.private_seg_size, 0
	.set _ZL33flash_attn_stream_k_fixup_uniformILi112ELi16ELi1EEvPfPK15HIP_vector_typeIfLj2EEiiiiiiS1_IjLj3EES5_S5_.uses_vcc, 1
	.set _ZL33flash_attn_stream_k_fixup_uniformILi112ELi16ELi1EEvPfPK15HIP_vector_typeIfLj2EEiiiiiiS1_IjLj3EES5_S5_.uses_flat_scratch, 0
	.set _ZL33flash_attn_stream_k_fixup_uniformILi112ELi16ELi1EEvPfPK15HIP_vector_typeIfLj2EEiiiiiiS1_IjLj3EES5_S5_.has_dyn_sized_stack, 0
	.set _ZL33flash_attn_stream_k_fixup_uniformILi112ELi16ELi1EEvPfPK15HIP_vector_typeIfLj2EEiiiiiiS1_IjLj3EES5_S5_.has_recursion, 0
	.set _ZL33flash_attn_stream_k_fixup_uniformILi112ELi16ELi1EEvPfPK15HIP_vector_typeIfLj2EEiiiiiiS1_IjLj3EES5_S5_.has_indirect_call, 0
	.section	.AMDGPU.csdata,"",@progbits
; Kernel info:
; codeLenInByte = 836
; TotalNumSgprs: 24
; NumVgprs: 17
; ScratchSize: 0
; MemoryBound: 0
; FloatMode: 240
; IeeeMode: 1
; LDSByteSize: 0 bytes/workgroup (compile time only)
; SGPRBlocks: 2
; VGPRBlocks: 4
; NumSGPRsForWavesPerEU: 24
; NumVGPRsForWavesPerEU: 17
; Occupancy: 10
; WaveLimiterHint : 0
; COMPUTE_PGM_RSRC2:SCRATCH_EN: 0
; COMPUTE_PGM_RSRC2:USER_SGPR: 6
; COMPUTE_PGM_RSRC2:TRAP_HANDLER: 0
; COMPUTE_PGM_RSRC2:TGID_X_EN: 1
; COMPUTE_PGM_RSRC2:TGID_Y_EN: 1
; COMPUTE_PGM_RSRC2:TGID_Z_EN: 1
; COMPUTE_PGM_RSRC2:TIDIG_COMP_CNT: 0
	.section	.text._ZL33flash_attn_stream_k_fixup_generalILi112ELi16ELi1EEvPfPK15HIP_vector_typeIfLj2EEiiiiS1_IjLj3EES5_S5_S5_,"axG",@progbits,_ZL33flash_attn_stream_k_fixup_generalILi112ELi16ELi1EEvPfPK15HIP_vector_typeIfLj2EEiiiiS1_IjLj3EES5_S5_S5_,comdat
	.globl	_ZL33flash_attn_stream_k_fixup_generalILi112ELi16ELi1EEvPfPK15HIP_vector_typeIfLj2EEiiiiS1_IjLj3EES5_S5_S5_ ; -- Begin function _ZL33flash_attn_stream_k_fixup_generalILi112ELi16ELi1EEvPfPK15HIP_vector_typeIfLj2EEiiiiS1_IjLj3EES5_S5_S5_
	.p2align	8
	.type	_ZL33flash_attn_stream_k_fixup_generalILi112ELi16ELi1EEvPfPK15HIP_vector_typeIfLj2EEiiiiS1_IjLj3EES5_S5_S5_,@function
_ZL33flash_attn_stream_k_fixup_generalILi112ELi16ELi1EEvPfPK15HIP_vector_typeIfLj2EEiiiiS1_IjLj3EES5_S5_S5_: ; @_ZL33flash_attn_stream_k_fixup_generalILi112ELi16ELi1EEvPfPK15HIP_vector_typeIfLj2EEiiiiS1_IjLj3EES5_S5_S5_
; %bb.0:
	s_load_dwordx4 s[0:3], s[4:5], 0x10
	s_load_dword s22, s[4:5], 0x50
	s_mov_b32 s12, 0
	s_waitcnt lgkmcnt(0)
	s_mul_hi_i32 s13, s3, s6
	s_cmp_lg_u64 s[12:13], 0
	s_mul_i32 s9, s3, s6
	s_cbranch_scc0 .LBB61_20
; %bb.1:
	s_add_u32 s10, s22, 0
	s_addc_u32 s11, 0, 0
	s_xor_b64 s[10:11], s[10:11], 0
	v_cvt_f32_u32_e32 v1, s10
	v_cvt_f32_u32_e32 v2, s11
	s_sub_u32 s12, 0, s10
	s_subb_u32 s18, 0, s11
	v_madmk_f32 v1, v2, 0x4f800000, v1
	v_rcp_f32_e32 v1, v1
	v_mul_f32_e32 v1, 0x5f7ffffc, v1
	v_mul_f32_e32 v2, 0x2f800000, v1
	v_trunc_f32_e32 v2, v2
	v_madmk_f32 v1, v2, 0xcf800000, v1
	v_cvt_u32_f32_e32 v2, v2
	v_cvt_u32_f32_e32 v1, v1
	v_readfirstlane_b32 s19, v2
	v_readfirstlane_b32 s14, v1
	s_mul_i32 s15, s12, s19
	s_mul_hi_u32 s21, s12, s14
	s_mul_i32 s20, s18, s14
	s_add_i32 s15, s21, s15
	s_add_i32 s15, s15, s20
	s_mul_i32 s23, s12, s14
	s_mul_i32 s21, s14, s15
	s_mul_hi_u32 s24, s14, s23
	s_mul_hi_u32 s20, s14, s15
	s_add_u32 s21, s24, s21
	s_addc_u32 s20, 0, s20
	s_mul_hi_u32 s25, s19, s23
	s_mul_i32 s23, s19, s23
	s_add_u32 s21, s21, s23
	s_mul_hi_u32 s24, s19, s15
	s_addc_u32 s20, s20, s25
	s_addc_u32 s21, s24, 0
	s_mul_i32 s15, s19, s15
	s_add_u32 s15, s20, s15
	s_addc_u32 s20, 0, s21
	s_add_u32 s21, s14, s15
	s_cselect_b64 s[14:15], -1, 0
	s_cmp_lg_u64 s[14:15], 0
	s_addc_u32 s19, s19, s20
	s_mul_i32 s14, s12, s19
	s_mul_hi_u32 s15, s12, s21
	s_add_i32 s14, s15, s14
	s_mul_i32 s18, s18, s21
	s_add_i32 s14, s14, s18
	s_mul_i32 s12, s12, s21
	s_mul_hi_u32 s18, s19, s12
	s_mul_i32 s20, s19, s12
	s_mul_i32 s24, s21, s14
	s_mul_hi_u32 s12, s21, s12
	s_mul_hi_u32 s23, s21, s14
	s_add_u32 s12, s12, s24
	s_addc_u32 s23, 0, s23
	s_add_u32 s12, s12, s20
	s_mul_hi_u32 s15, s19, s14
	s_addc_u32 s12, s23, s18
	s_addc_u32 s15, s15, 0
	s_mul_i32 s14, s19, s14
	s_add_u32 s12, s12, s14
	s_addc_u32 s18, 0, s15
	s_add_u32 s20, s21, s12
	s_cselect_b64 s[14:15], -1, 0
	s_cmp_lg_u64 s[14:15], 0
	s_addc_u32 s18, s19, s18
	s_ashr_i32 s14, s13, 31
	s_add_u32 s12, s9, s14
	s_mov_b32 s15, s14
	s_addc_u32 s13, s13, s14
	s_xor_b64 s[12:13], s[12:13], s[14:15]
	s_mul_i32 s21, s12, s18
	s_mul_hi_u32 s23, s12, s20
	s_mul_hi_u32 s19, s12, s18
	s_add_u32 s21, s23, s21
	s_addc_u32 s19, 0, s19
	s_mul_hi_u32 s24, s13, s20
	s_mul_i32 s20, s13, s20
	s_add_u32 s20, s21, s20
	s_mul_hi_u32 s23, s13, s18
	s_addc_u32 s19, s19, s24
	s_addc_u32 s20, s23, 0
	s_mul_i32 s18, s13, s18
	s_add_u32 s23, s19, s18
	s_addc_u32 s24, 0, s20
	s_mul_i32 s18, s10, s24
	s_mul_hi_u32 s19, s10, s23
	s_add_i32 s18, s19, s18
	s_mul_i32 s19, s11, s23
	s_add_i32 s25, s18, s19
	s_sub_i32 s20, s13, s25
	s_mul_i32 s18, s10, s23
	s_sub_u32 s12, s12, s18
	s_cselect_b64 s[18:19], -1, 0
	s_cmp_lg_u64 s[18:19], 0
	s_subb_u32 s26, s20, s11
	s_sub_u32 s27, s12, s10
	s_cselect_b64 s[20:21], -1, 0
	s_cmp_lg_u64 s[20:21], 0
	s_subb_u32 s20, s26, 0
	s_cmp_ge_u32 s20, s11
	s_cselect_b32 s21, -1, 0
	s_cmp_ge_u32 s27, s10
	s_cselect_b32 s26, -1, 0
	s_cmp_eq_u32 s20, s11
	s_cselect_b32 s20, s26, s21
	s_add_u32 s21, s23, 1
	s_addc_u32 s26, s24, 0
	s_add_u32 s27, s23, 2
	s_addc_u32 s28, s24, 0
	s_cmp_lg_u32 s20, 0
	s_cselect_b32 s20, s27, s21
	s_cselect_b32 s21, s28, s26
	s_cmp_lg_u64 s[18:19], 0
	s_subb_u32 s13, s13, s25
	s_cmp_ge_u32 s13, s11
	s_cselect_b32 s18, -1, 0
	s_cmp_ge_u32 s12, s10
	s_cselect_b32 s10, -1, 0
	s_cmp_eq_u32 s13, s11
	s_cselect_b32 s10, s10, s18
	s_cmp_lg_u32 s10, 0
	s_cselect_b32 s11, s21, s24
	s_cselect_b32 s10, s20, s23
	s_xor_b64 s[12:13], s[14:15], 0
	s_xor_b64 s[10:11], s[10:11], s[12:13]
	s_sub_u32 s10, s10, s12
	s_load_dwordx4 s[12:15], s[4:5], 0x44
	s_cbranch_execnz .LBB61_3
.LBB61_2:
	v_cvt_f32_u32_e32 v1, s22
	s_sub_i32 s10, 0, s22
	v_rcp_iflag_f32_e32 v1, v1
	v_mul_f32_e32 v1, 0x4f7ffffe, v1
	v_cvt_u32_f32_e32 v1, v1
	v_readfirstlane_b32 s11, v1
	s_mul_i32 s10, s10, s11
	s_mul_hi_u32 s10, s11, s10
	s_add_i32 s11, s11, s10
	s_mul_hi_u32 s10, s9, s11
	s_waitcnt lgkmcnt(0)
	s_mul_i32 s15, s10, s22
	s_sub_i32 s9, s9, s15
	s_add_i32 s11, s10, 1
	s_sub_i32 s15, s9, s22
	s_cmp_ge_u32 s9, s22
	s_cselect_b32 s10, s11, s10
	s_cselect_b32 s9, s15, s9
	s_add_i32 s11, s10, 1
	s_cmp_ge_u32 s9, s22
	s_cselect_b32 s10, s11, s10
.LBB61_3:
	s_add_i32 s9, s6, 1
	s_mul_hi_i32 s21, s3, s9
	s_mov_b32 s20, 0
	s_cmp_lg_u64 s[20:21], 0
	s_mul_i32 s9, s3, s9
	s_cbranch_scc0 .LBB61_21
; %bb.4:
	s_add_u32 s16, s22, 0
	s_addc_u32 s17, 0, 0
	s_xor_b64 s[18:19], s[16:17], 0
	v_cvt_f32_u32_e32 v1, s18
	v_cvt_f32_u32_e32 v2, s19
	s_sub_u32 s11, 0, s18
	s_waitcnt lgkmcnt(0)
	s_subb_u32 s15, 0, s19
	v_madmk_f32 v1, v2, 0x4f800000, v1
	v_rcp_f32_e32 v1, v1
	v_mul_f32_e32 v1, 0x5f7ffffc, v1
	v_mul_f32_e32 v2, 0x2f800000, v1
	v_trunc_f32_e32 v2, v2
	v_madmk_f32 v1, v2, 0xcf800000, v1
	v_cvt_u32_f32_e32 v2, v2
	v_cvt_u32_f32_e32 v1, v1
	v_readfirstlane_b32 s20, v2
	v_readfirstlane_b32 s23, v1
	s_mul_i32 s24, s11, s20
	s_mul_hi_u32 s26, s11, s23
	s_mul_i32 s25, s15, s23
	s_add_i32 s24, s26, s24
	s_add_i32 s24, s24, s25
	s_mul_i32 s27, s11, s23
	s_mul_i32 s26, s23, s24
	s_mul_hi_u32 s28, s23, s27
	s_mul_hi_u32 s25, s23, s24
	s_add_u32 s26, s28, s26
	s_addc_u32 s25, 0, s25
	s_mul_hi_u32 s29, s20, s27
	s_mul_i32 s27, s20, s27
	s_add_u32 s26, s26, s27
	s_mul_hi_u32 s28, s20, s24
	s_addc_u32 s25, s25, s29
	s_addc_u32 s26, s28, 0
	s_mul_i32 s24, s20, s24
	s_add_u32 s24, s25, s24
	s_addc_u32 s26, 0, s26
	s_add_u32 s23, s23, s24
	s_cselect_b64 s[24:25], -1, 0
	s_cmp_lg_u64 s[24:25], 0
	s_addc_u32 s20, s20, s26
	s_mul_i32 s24, s11, s20
	s_mul_hi_u32 s25, s11, s23
	s_add_i32 s24, s25, s24
	s_mul_i32 s15, s15, s23
	s_add_i32 s24, s24, s15
	s_mul_i32 s11, s11, s23
	s_mul_hi_u32 s25, s20, s11
	s_mul_i32 s26, s20, s11
	s_mul_i32 s28, s23, s24
	s_mul_hi_u32 s11, s23, s11
	s_mul_hi_u32 s27, s23, s24
	s_add_u32 s11, s11, s28
	s_addc_u32 s27, 0, s27
	s_add_u32 s11, s11, s26
	s_mul_hi_u32 s15, s20, s24
	s_addc_u32 s11, s27, s25
	s_addc_u32 s15, s15, 0
	s_mul_i32 s24, s20, s24
	s_add_u32 s11, s11, s24
	s_addc_u32 s15, 0, s15
	s_add_u32 s11, s23, s11
	s_cselect_b64 s[24:25], -1, 0
	s_cmp_lg_u64 s[24:25], 0
	s_addc_u32 s15, s20, s15
	s_ashr_i32 s24, s21, 31
	s_add_u32 s20, s9, s24
	s_mov_b32 s25, s24
	s_addc_u32 s21, s21, s24
	s_xor_b64 s[20:21], s[20:21], s[24:25]
	s_mul_i32 s26, s20, s15
	s_mul_hi_u32 s27, s20, s11
	s_mul_hi_u32 s23, s20, s15
	s_add_u32 s26, s27, s26
	s_addc_u32 s23, 0, s23
	s_mul_hi_u32 s28, s21, s11
	s_mul_i32 s11, s21, s11
	s_add_u32 s11, s26, s11
	s_mul_hi_u32 s27, s21, s15
	s_addc_u32 s11, s23, s28
	s_addc_u32 s23, s27, 0
	s_mul_i32 s15, s21, s15
	s_add_u32 s11, s11, s15
	s_addc_u32 s15, 0, s23
	s_mul_i32 s23, s18, s15
	s_mul_hi_u32 s26, s18, s11
	s_add_i32 s23, s26, s23
	s_mul_i32 s26, s19, s11
	s_add_i32 s23, s23, s26
	s_sub_i32 s28, s21, s23
	s_mul_i32 s26, s18, s11
	s_sub_u32 s20, s20, s26
	s_cselect_b64 s[26:27], -1, 0
	s_cmp_lg_u64 s[26:27], 0
	s_subb_u32 s30, s28, s19
	s_sub_u32 s31, s20, s18
	s_cselect_b64 s[28:29], -1, 0
	s_cmp_lg_u64 s[28:29], 0
	s_subb_u32 s28, s30, 0
	s_cmp_ge_u32 s28, s19
	s_cselect_b32 s29, -1, 0
	s_cmp_ge_u32 s31, s18
	s_cselect_b32 s30, -1, 0
	s_cmp_eq_u32 s28, s19
	s_cselect_b32 s28, s30, s29
	s_add_u32 s29, s11, 1
	s_addc_u32 s30, s15, 0
	s_add_u32 s31, s11, 2
	s_addc_u32 s33, s15, 0
	s_cmp_lg_u32 s28, 0
	s_cselect_b32 s28, s31, s29
	s_cselect_b32 s29, s33, s30
	s_cmp_lg_u64 s[26:27], 0
	s_subb_u32 s21, s21, s23
	s_cmp_ge_u32 s21, s19
	s_cselect_b32 s23, -1, 0
	s_cmp_ge_u32 s20, s18
	s_cselect_b32 s18, -1, 0
	s_cmp_eq_u32 s21, s19
	s_cselect_b32 s18, s18, s23
	s_cmp_lg_u32 s18, 0
	s_cselect_b32 s19, s29, s15
	s_cselect_b32 s18, s28, s11
	s_xor_b64 s[20:21], s[24:25], 0
	s_xor_b64 s[18:19], s[18:19], s[20:21]
	s_sub_u32 s18, s18, s20
	s_cbranch_execnz .LBB61_6
.LBB61_5:
	v_cvt_f32_u32_e32 v1, s22
	s_sub_i32 s11, 0, s22
	v_rcp_iflag_f32_e32 v1, v1
	v_mul_f32_e32 v1, 0x4f7ffffe, v1
	v_cvt_u32_f32_e32 v1, v1
	s_waitcnt lgkmcnt(0)
	v_readfirstlane_b32 s15, v1
	s_mul_i32 s11, s11, s15
	s_mul_hi_u32 s11, s15, s11
	s_add_i32 s15, s15, s11
	s_mul_hi_u32 s11, s9, s15
	s_mul_i32 s16, s11, s22
	s_sub_i32 s9, s9, s16
	s_add_i32 s15, s11, 1
	s_sub_i32 s16, s9, s22
	s_cmp_ge_u32 s9, s22
	s_cselect_b32 s11, s15, s11
	s_cselect_b32 s9, s16, s9
	s_add_i32 s15, s11, 1
	s_cmp_ge_u32 s9, s22
	s_cselect_b32 s18, s15, s11
.LBB61_6:
	s_cmp_eq_u32 s10, s18
	s_waitcnt lgkmcnt(0)
	s_mul_hi_u32 s9, s10, s12
	s_cselect_b64 s[16:17], -1, 0
	s_add_i32 s9, s9, s10
	s_lshr_b32 s11, s9, s13
	s_mul_i32 s9, s11, s14
	s_cmp_eq_u32 s9, s10
	s_mul_hi_u32 s9, s18, s12
	s_cselect_b64 s[20:21], -1, 0
	s_add_i32 s9, s9, s18
	s_lshr_b32 s9, s9, s13
	s_cmp_eq_u32 s11, s9
	s_mul_i32 s9, s9, s14
	s_cselect_b64 s[24:25], -1, 0
	s_cmp_lg_u32 s9, s18
	s_cselect_b64 s[18:19], -1, 0
	s_and_b64 s[18:19], s[24:25], s[18:19]
	s_or_b64 s[16:17], s[16:17], s[20:21]
	s_or_b64 s[16:17], s[16:17], s[18:19]
	s_and_b64 vcc, exec, s[16:17]
	s_cbranch_vccnz .LBB61_23
; %bb.7:
	s_load_dwordx8 s[24:31], s[4:5], 0x20
	s_load_dword s15, s[4:5], 0x40
	s_waitcnt lgkmcnt(0)
	s_mul_hi_u32 s9, s10, s24
	s_add_i32 s9, s9, s10
	s_lshr_b32 s9, s9, s25
	s_mul_i32 s16, s9, s26
	s_sub_i32 s16, s10, s16
	s_mul_hi_u32 s17, s16, s27
	s_add_i32 s17, s16, s17
	s_lshr_b32 s23, s17, s28
	s_mul_i32 s17, s23, s29
	s_sub_i32 s16, s16, s17
	;; [unrolled: 5-line block ×3, first 2 shown]
	s_mul_hi_u32 s16, s15, s12
	s_add_i32 s15, s15, s16
	s_lshr_b32 s24, s15, s13
	s_lshl_b32 s15, s24, 4
	s_add_i32 s15, s15, s7
	s_cmp_lt_i32 s15, s0
	s_cselect_b64 s[16:17], -1, 0
	s_add_i32 s25, s25, s8
	s_cmp_lt_i32 s25, s2
	s_cselect_b64 s[18:19], -1, 0
	s_and_b64 s[16:17], s[16:17], s[18:19]
	s_andn2_b64 vcc, exec, s[16:17]
	s_cbranch_vccnz .LBB61_23
; %bb.8:
	s_load_dwordx4 s[16:19], s[4:5], 0x0
	s_mov_b32 s4, 0
	s_lshl_b32 s20, s22, 6
	s_mov_b32 s21, s4
	s_add_i32 s15, s7, s8
	s_lshl_b64 s[20:21], s[20:21], 2
	s_waitcnt lgkmcnt(0)
	s_add_u32 s20, s18, s20
	s_mul_i32 s0, s9, s0
	s_addc_u32 s21, s19, s21
	s_mul_i32 s23, s23, s2
	s_add_i32 s0, s0, s7
	s_mul_i32 s2, s1, s24
	s_mul_i32 s0, s0, s1
	s_add_i32 s1, s25, s23
	s_add_i32 s0, s1, s0
	s_mulk_i32 s2, 0x700
	s_mulk_i32 s0, 0x70
	s_add_i32 s2, s2, s0
	v_add_u32_e32 v1, s2, v0
	v_ashrrev_i32_e32 v2, 31, v1
	v_lshlrev_b64 v[1:2], 2, v[1:2]
	v_mov_b32_e32 v3, s17
	v_add_co_u32_e32 v1, vcc, s16, v1
	v_addc_co_u32_e32 v2, vcc, v3, v2, vcc
	global_load_dword v3, v[1:2], off
	v_cvt_f32_u32_e32 v4, s22
	s_lshl_b32 s0, s6, 4
	s_add_i32 s0, s0, s15
	s_ashr_i32 s1, s0, 31
	s_lshl_b64 s[0:1], s[0:1], 3
	v_rcp_iflag_f32_e32 v4, v4
	s_add_u32 s0, s18, s0
	s_addc_u32 s1, s19, s1
	s_load_dwordx2 s[0:1], s[0:1], 0x0
	v_mul_f32_e32 v4, 0x4f7ffffe, v4
	v_cvt_u32_f32_e32 v4, v4
	s_mul_i32 s2, s15, 0x70
	s_add_i32 s24, s6, -1
	v_add_u32_e32 v0, s2, v0
	s_waitcnt lgkmcnt(0)
	v_mov_b32_e32 v6, s1
	v_mov_b32_e32 v7, s0
	s_mov_b32 s2, 0x3fb8aa3b
	s_mov_b32 s16, 0xc2ce8ed0
	;; [unrolled: 1-line block ×4, first 2 shown]
	v_mov_b32_e32 v5, 0x7f800000
	s_mul_hi_i32 s5, s24, s3
	s_cmp_lg_u64 s[4:5], 0
	s_mul_i32 s8, s24, s3
	s_cbranch_scc0 .LBB61_19
.LBB61_9:
	s_add_u32 s0, s22, 0
	s_addc_u32 s1, 0, 0
	s_xor_b64 s[0:1], s[0:1], 0
	v_cvt_f32_u32_e32 v8, s0
	v_cvt_f32_u32_e32 v9, s1
	s_sub_u32 s9, 0, s0
	s_subb_u32 s25, 0, s1
	v_mac_f32_e32 v8, 0x4f800000, v9
	v_rcp_f32_e32 v8, v8
	v_mul_f32_e32 v8, 0x5f7ffffc, v8
	v_mul_f32_e32 v9, 0x2f800000, v8
	v_trunc_f32_e32 v9, v9
	v_mac_f32_e32 v8, 0xcf800000, v9
	v_cvt_u32_f32_e32 v9, v9
	v_cvt_u32_f32_e32 v8, v8
	v_readfirstlane_b32 s26, v9
	v_readfirstlane_b32 s6, v8
	s_mul_i32 s7, s9, s26
	s_mul_hi_u32 s28, s9, s6
	s_mul_i32 s27, s25, s6
	s_add_i32 s7, s28, s7
	s_mul_i32 s29, s9, s6
	s_add_i32 s7, s7, s27
	s_mul_i32 s28, s6, s7
	s_mul_hi_u32 s30, s6, s29
	s_mul_hi_u32 s27, s6, s7
	s_add_u32 s28, s30, s28
	s_addc_u32 s27, 0, s27
	s_mul_hi_u32 s31, s26, s29
	s_mul_i32 s29, s26, s29
	s_add_u32 s28, s28, s29
	s_mul_hi_u32 s30, s26, s7
	s_addc_u32 s27, s27, s31
	s_addc_u32 s28, s30, 0
	s_mul_i32 s7, s26, s7
	s_add_u32 s7, s27, s7
	s_addc_u32 s27, 0, s28
	s_add_u32 s28, s6, s7
	s_cselect_b64 s[6:7], -1, 0
	s_cmp_lg_u64 s[6:7], 0
	s_addc_u32 s26, s26, s27
	s_mul_i32 s6, s9, s26
	s_mul_hi_u32 s7, s9, s28
	s_add_i32 s6, s7, s6
	s_mul_i32 s25, s25, s28
	s_add_i32 s6, s6, s25
	s_mul_i32 s9, s9, s28
	s_mul_hi_u32 s25, s26, s9
	s_mul_i32 s27, s26, s9
	s_mul_i32 s30, s28, s6
	s_mul_hi_u32 s9, s28, s9
	s_mul_hi_u32 s29, s28, s6
	s_add_u32 s9, s9, s30
	s_addc_u32 s29, 0, s29
	s_add_u32 s9, s9, s27
	s_mul_hi_u32 s7, s26, s6
	s_addc_u32 s9, s29, s25
	s_addc_u32 s7, s7, 0
	s_mul_i32 s6, s26, s6
	s_add_u32 s6, s9, s6
	s_addc_u32 s9, 0, s7
	s_add_u32 s25, s28, s6
	s_cselect_b64 s[6:7], -1, 0
	s_cmp_lg_u64 s[6:7], 0
	s_addc_u32 s9, s26, s9
	s_ashr_i32 s6, s5, 31
	s_add_u32 s26, s8, s6
	s_mov_b32 s7, s6
	s_addc_u32 s27, s5, s6
	s_xor_b64 s[26:27], s[26:27], s[6:7]
	s_mul_i32 s28, s26, s9
	s_mul_hi_u32 s29, s26, s25
	s_mul_hi_u32 s5, s26, s9
	s_add_u32 s28, s29, s28
	s_addc_u32 s5, 0, s5
	s_mul_hi_u32 s30, s27, s25
	s_mul_i32 s25, s27, s25
	s_add_u32 s25, s28, s25
	s_mul_hi_u32 s29, s27, s9
	s_addc_u32 s5, s5, s30
	s_addc_u32 s25, s29, 0
	s_mul_i32 s9, s27, s9
	s_add_u32 s5, s5, s9
	s_addc_u32 s9, 0, s25
	s_mul_i32 s25, s0, s9
	s_mul_hi_u32 s28, s0, s5
	s_add_i32 s25, s28, s25
	s_mul_i32 s28, s1, s5
	s_add_i32 s25, s25, s28
	s_sub_i32 s30, s27, s25
	s_mul_i32 s28, s0, s5
	s_sub_u32 s26, s26, s28
	s_cselect_b64 s[28:29], -1, 0
	s_cmp_lg_u64 s[28:29], 0
	s_subb_u32 s33, s30, s1
	s_sub_u32 s34, s26, s0
	s_cselect_b64 s[30:31], -1, 0
	s_cmp_lg_u64 s[30:31], 0
	s_subb_u32 s30, s33, 0
	s_cmp_ge_u32 s30, s1
	s_cselect_b32 s31, -1, 0
	s_cmp_ge_u32 s34, s0
	s_cselect_b32 s33, -1, 0
	s_cmp_eq_u32 s30, s1
	s_cselect_b32 s30, s33, s31
	s_add_u32 s31, s5, 1
	s_addc_u32 s33, s9, 0
	s_add_u32 s34, s5, 2
	s_addc_u32 s35, s9, 0
	s_cmp_lg_u32 s30, 0
	s_cselect_b32 s30, s34, s31
	s_cselect_b32 s31, s35, s33
	s_cmp_lg_u64 s[28:29], 0
	s_subb_u32 s25, s27, s25
	s_cmp_ge_u32 s25, s1
	s_cselect_b32 s27, -1, 0
	s_cmp_ge_u32 s26, s0
	s_cselect_b32 s0, -1, 0
	s_cmp_eq_u32 s25, s1
	s_cselect_b32 s0, s0, s27
	s_cmp_lg_u32 s0, 0
	s_cselect_b32 s1, s31, s9
	s_cselect_b32 s0, s30, s5
	s_xor_b64 s[6:7], s[6:7], 0
	s_xor_b64 s[0:1], s[0:1], s[6:7]
	s_sub_u32 s6, s0, s6
	s_cbranch_execnz .LBB61_11
.LBB61_10:
	s_sub_i32 s0, 0, s22
	v_readfirstlane_b32 s1, v4
	s_mul_i32 s0, s0, s1
	s_mul_hi_u32 s0, s1, s0
	s_add_i32 s1, s1, s0
	s_mul_hi_u32 s0, s8, s1
	s_mul_i32 s5, s0, s22
	s_sub_i32 s5, s8, s5
	s_add_i32 s1, s0, 1
	s_sub_i32 s6, s5, s22
	s_cmp_ge_u32 s5, s22
	s_cselect_b32 s0, s1, s0
	s_cselect_b32 s5, s6, s5
	s_add_i32 s1, s0, 1
	s_cmp_ge_u32 s5, s22
	s_cselect_b32 s6, s1, s0
.LBB61_11:
	s_cmp_lg_u32 s10, s6
	s_mov_b64 s[8:9], -1
                                        ; implicit-def: $sgpr0_sgpr1
                                        ; implicit-def: $vgpr10
                                        ; implicit-def: $vgpr8
                                        ; implicit-def: $vgpr9
                                        ; implicit-def: $sgpr5
                                        ; implicit-def: $sgpr7
	s_cbranch_scc1 .LBB61_14
; %bb.12:
	s_andn2_b64 vcc, exec, s[8:9]
	s_cbranch_vccz .LBB61_17
.LBB61_13:
	s_andn2_b64 vcc, exec, s[0:1]
	s_cbranch_vccnz .LBB61_18
	s_branch .LBB61_22
.LBB61_14:
	s_add_i32 s0, s24, s22
	s_lshl_b32 s0, s0, 4
	s_add_i32 s0, s0, s15
	s_mov_b32 s1, s4
	s_lshl_b64 s[0:1], s[0:1], 3
	s_add_u32 s8, s18, s0
	s_mul_hi_u32 s0, s6, s12
	s_addc_u32 s9, s19, s1
	s_add_i32 s0, s0, s6
	s_lshr_b32 s5, s0, s13
	s_mul_i32 s0, s5, s14
	s_cmp_eq_u32 s0, s6
	s_cselect_b64 s[0:1], -1, 0
	s_cmp_lt_u32 s5, s11
	s_cselect_b64 s[26:27], -1, 0
	s_or_b64 s[26:27], s[26:27], s[0:1]
	s_mov_b64 s[0:1], -1
	s_and_b64 vcc, exec, s[26:27]
	s_mov_b32 s5, s24
	s_mov_b32 s7, s10
	s_cbranch_vccnz .LBB61_16
; %bb.15:
	s_add_i32 s5, s24, -1
	s_mov_b64 s[0:1], 0
	s_mov_b32 s7, s6
.LBB61_16:
	s_mul_i32 s6, s24, 0x700
	v_add_u32_e32 v8, s6, v0
	v_ashrrev_i32_e32 v9, 31, v8
	v_lshlrev_b64 v[8:9], 2, v[8:9]
	v_mov_b32_e32 v10, s21
	v_add_co_u32_e32 v8, vcc, s20, v8
	v_addc_co_u32_e32 v9, vcc, v10, v9, vcc
	global_load_dword v10, v[8:9], off
	s_load_dwordx2 s[8:9], s[8:9], 0x0
	v_max_f32_e32 v8, v7, v7
	s_waitcnt lgkmcnt(0)
	v_max_f32_e64 v9, s8, s8
	v_max_f32_e32 v8, v8, v9
	v_sub_f32_e32 v9, v7, v8
	v_sub_f32_e32 v11, s8, v8
	v_mul_f32_e32 v12, 0x3fb8aa3b, v9
	v_mul_f32_e32 v13, 0x3fb8aa3b, v11
	v_fma_f32 v14, v9, s2, -v12
	v_rndne_f32_e32 v15, v12
	v_fma_f32 v16, v11, s2, -v13
	v_rndne_f32_e32 v17, v13
	v_fmac_f32_e32 v14, 0x32a5705f, v9
	v_sub_f32_e32 v12, v12, v15
	v_fmac_f32_e32 v16, 0x32a5705f, v11
	v_sub_f32_e32 v13, v13, v17
	v_add_f32_e32 v12, v12, v14
	v_cvt_i32_f32_e32 v15, v15
	v_add_f32_e32 v13, v13, v16
	v_exp_f32_e32 v12, v12
	v_cvt_i32_f32_e32 v17, v17
	v_exp_f32_e32 v13, v13
	v_cmp_ngt_f32_e32 vcc, s16, v9
	v_ldexp_f32 v12, v12, v15
	v_cndmask_b32_e32 v12, 0, v12, vcc
	v_ldexp_f32 v13, v13, v17
	v_cmp_ngt_f32_e32 vcc, s16, v11
	v_cndmask_b32_e32 v13, 0, v13, vcc
	v_cmp_nlt_f32_e32 vcc, s17, v9
	v_cndmask_b32_e32 v12, v5, v12, vcc
	v_cmp_nlt_f32_e32 vcc, s17, v11
	v_cndmask_b32_e32 v13, v5, v13, vcc
	v_cmp_le_f32_e32 vcc, s23, v9
	v_cndmask_b32_e32 v12, 0, v12, vcc
	v_cmp_le_f32_e32 vcc, s23, v11
	v_cndmask_b32_e32 v11, 0, v13, vcc
	v_mul_f32_e32 v9, s9, v11
	v_fmac_f32_e32 v9, v6, v12
	s_waitcnt vmcnt(0)
	v_mul_f32_e32 v10, v10, v11
	v_fmac_f32_e32 v10, v3, v12
	s_cbranch_execnz .LBB61_13
.LBB61_17:
	s_add_i32 s5, s24, -1
	s_mov_b32 s7, s10
	v_mov_b32_e32 v9, v6
	v_mov_b32_e32 v8, v7
	s_waitcnt vmcnt(0)
	v_mov_b32_e32 v10, v3
	s_cbranch_execz .LBB61_22
.LBB61_18:
	s_mov_b32 s10, s7
	s_mov_b32 s24, s5
	v_mov_b32_e32 v6, v9
	v_mov_b32_e32 v7, v8
	s_waitcnt vmcnt(0)
	v_mov_b32_e32 v3, v10
	s_mul_hi_i32 s5, s24, s3
	s_cmp_lg_u64 s[4:5], 0
	s_mul_i32 s8, s24, s3
	s_cbranch_scc1 .LBB61_9
.LBB61_19:
                                        ; implicit-def: $sgpr6_sgpr7
	s_branch .LBB61_10
.LBB61_20:
                                        ; implicit-def: $sgpr10_sgpr11
	s_load_dwordx4 s[12:15], s[4:5], 0x44
	s_branch .LBB61_2
.LBB61_21:
                                        ; implicit-def: $sgpr18_sgpr19
	s_branch .LBB61_5
.LBB61_22:
	v_div_scale_f32 v0, s[0:1], v9, v9, v10
	s_waitcnt vmcnt(0)
	v_div_scale_f32 v3, vcc, v10, v9, v10
	v_rcp_f32_e32 v4, v0
	v_fma_f32 v5, -v0, v4, 1.0
	v_fmac_f32_e32 v4, v5, v4
	v_mul_f32_e32 v5, v3, v4
	v_fma_f32 v6, -v0, v5, v3
	v_fmac_f32_e32 v5, v6, v4
	v_fma_f32 v0, -v0, v5, v3
	v_div_fmas_f32 v0, v0, v4, v5
	v_div_fixup_f32 v0, v0, v9, v10
	global_store_dword v[1:2], v0, off
.LBB61_23:
	s_endpgm
	.section	.rodata,"a",@progbits
	.p2align	6, 0x0
	.amdhsa_kernel _ZL33flash_attn_stream_k_fixup_generalILi112ELi16ELi1EEvPfPK15HIP_vector_typeIfLj2EEiiiiS1_IjLj3EES5_S5_S5_
		.amdhsa_group_segment_fixed_size 0
		.amdhsa_private_segment_fixed_size 0
		.amdhsa_kernarg_size 336
		.amdhsa_user_sgpr_count 6
		.amdhsa_user_sgpr_private_segment_buffer 1
		.amdhsa_user_sgpr_dispatch_ptr 0
		.amdhsa_user_sgpr_queue_ptr 0
		.amdhsa_user_sgpr_kernarg_segment_ptr 1
		.amdhsa_user_sgpr_dispatch_id 0
		.amdhsa_user_sgpr_flat_scratch_init 0
		.amdhsa_user_sgpr_private_segment_size 0
		.amdhsa_uses_dynamic_stack 0
		.amdhsa_system_sgpr_private_segment_wavefront_offset 0
		.amdhsa_system_sgpr_workgroup_id_x 1
		.amdhsa_system_sgpr_workgroup_id_y 1
		.amdhsa_system_sgpr_workgroup_id_z 1
		.amdhsa_system_sgpr_workgroup_info 0
		.amdhsa_system_vgpr_workitem_id 0
		.amdhsa_next_free_vgpr 18
		.amdhsa_next_free_sgpr 36
		.amdhsa_reserve_vcc 1
		.amdhsa_reserve_flat_scratch 0
		.amdhsa_float_round_mode_32 0
		.amdhsa_float_round_mode_16_64 0
		.amdhsa_float_denorm_mode_32 3
		.amdhsa_float_denorm_mode_16_64 3
		.amdhsa_dx10_clamp 1
		.amdhsa_ieee_mode 1
		.amdhsa_fp16_overflow 0
		.amdhsa_exception_fp_ieee_invalid_op 0
		.amdhsa_exception_fp_denorm_src 0
		.amdhsa_exception_fp_ieee_div_zero 0
		.amdhsa_exception_fp_ieee_overflow 0
		.amdhsa_exception_fp_ieee_underflow 0
		.amdhsa_exception_fp_ieee_inexact 0
		.amdhsa_exception_int_div_zero 0
	.end_amdhsa_kernel
	.section	.text._ZL33flash_attn_stream_k_fixup_generalILi112ELi16ELi1EEvPfPK15HIP_vector_typeIfLj2EEiiiiS1_IjLj3EES5_S5_S5_,"axG",@progbits,_ZL33flash_attn_stream_k_fixup_generalILi112ELi16ELi1EEvPfPK15HIP_vector_typeIfLj2EEiiiiS1_IjLj3EES5_S5_S5_,comdat
.Lfunc_end61:
	.size	_ZL33flash_attn_stream_k_fixup_generalILi112ELi16ELi1EEvPfPK15HIP_vector_typeIfLj2EEiiiiS1_IjLj3EES5_S5_S5_, .Lfunc_end61-_ZL33flash_attn_stream_k_fixup_generalILi112ELi16ELi1EEvPfPK15HIP_vector_typeIfLj2EEiiiiS1_IjLj3EES5_S5_S5_
                                        ; -- End function
	.set _ZL33flash_attn_stream_k_fixup_generalILi112ELi16ELi1EEvPfPK15HIP_vector_typeIfLj2EEiiiiS1_IjLj3EES5_S5_S5_.num_vgpr, 18
	.set _ZL33flash_attn_stream_k_fixup_generalILi112ELi16ELi1EEvPfPK15HIP_vector_typeIfLj2EEiiiiS1_IjLj3EES5_S5_S5_.num_agpr, 0
	.set _ZL33flash_attn_stream_k_fixup_generalILi112ELi16ELi1EEvPfPK15HIP_vector_typeIfLj2EEiiiiS1_IjLj3EES5_S5_S5_.numbered_sgpr, 36
	.set _ZL33flash_attn_stream_k_fixup_generalILi112ELi16ELi1EEvPfPK15HIP_vector_typeIfLj2EEiiiiS1_IjLj3EES5_S5_S5_.num_named_barrier, 0
	.set _ZL33flash_attn_stream_k_fixup_generalILi112ELi16ELi1EEvPfPK15HIP_vector_typeIfLj2EEiiiiS1_IjLj3EES5_S5_S5_.private_seg_size, 0
	.set _ZL33flash_attn_stream_k_fixup_generalILi112ELi16ELi1EEvPfPK15HIP_vector_typeIfLj2EEiiiiS1_IjLj3EES5_S5_S5_.uses_vcc, 1
	.set _ZL33flash_attn_stream_k_fixup_generalILi112ELi16ELi1EEvPfPK15HIP_vector_typeIfLj2EEiiiiS1_IjLj3EES5_S5_S5_.uses_flat_scratch, 0
	.set _ZL33flash_attn_stream_k_fixup_generalILi112ELi16ELi1EEvPfPK15HIP_vector_typeIfLj2EEiiiiS1_IjLj3EES5_S5_S5_.has_dyn_sized_stack, 0
	.set _ZL33flash_attn_stream_k_fixup_generalILi112ELi16ELi1EEvPfPK15HIP_vector_typeIfLj2EEiiiiS1_IjLj3EES5_S5_S5_.has_recursion, 0
	.set _ZL33flash_attn_stream_k_fixup_generalILi112ELi16ELi1EEvPfPK15HIP_vector_typeIfLj2EEiiiiS1_IjLj3EES5_S5_S5_.has_indirect_call, 0
	.section	.AMDGPU.csdata,"",@progbits
; Kernel info:
; codeLenInByte = 2936
; TotalNumSgprs: 40
; NumVgprs: 18
; ScratchSize: 0
; MemoryBound: 0
; FloatMode: 240
; IeeeMode: 1
; LDSByteSize: 0 bytes/workgroup (compile time only)
; SGPRBlocks: 4
; VGPRBlocks: 4
; NumSGPRsForWavesPerEU: 40
; NumVGPRsForWavesPerEU: 18
; Occupancy: 10
; WaveLimiterHint : 0
; COMPUTE_PGM_RSRC2:SCRATCH_EN: 0
; COMPUTE_PGM_RSRC2:USER_SGPR: 6
; COMPUTE_PGM_RSRC2:TRAP_HANDLER: 0
; COMPUTE_PGM_RSRC2:TGID_X_EN: 1
; COMPUTE_PGM_RSRC2:TGID_Y_EN: 1
; COMPUTE_PGM_RSRC2:TGID_Z_EN: 1
; COMPUTE_PGM_RSRC2:TIDIG_COMP_CNT: 0
	.section	.text._ZL15flash_attn_tileILi112ELi112ELi8ELi1ELb0EEvPKcS1_S1_S1_S1_PKiPfP15HIP_vector_typeIfLj2EEffffjfiS5_IjLj3EEiiiiiiiiiiiliiliiiiil,"axG",@progbits,_ZL15flash_attn_tileILi112ELi112ELi8ELi1ELb0EEvPKcS1_S1_S1_S1_PKiPfP15HIP_vector_typeIfLj2EEffffjfiS5_IjLj3EEiiiiiiiiiiiliiliiiiil,comdat
	.globl	_ZL15flash_attn_tileILi112ELi112ELi8ELi1ELb0EEvPKcS1_S1_S1_S1_PKiPfP15HIP_vector_typeIfLj2EEffffjfiS5_IjLj3EEiiiiiiiiiiiliiliiiiil ; -- Begin function _ZL15flash_attn_tileILi112ELi112ELi8ELi1ELb0EEvPKcS1_S1_S1_S1_PKiPfP15HIP_vector_typeIfLj2EEffffjfiS5_IjLj3EEiiiiiiiiiiiliiliiiiil
	.p2align	8
	.type	_ZL15flash_attn_tileILi112ELi112ELi8ELi1ELb0EEvPKcS1_S1_S1_S1_PKiPfP15HIP_vector_typeIfLj2EEffffjfiS5_IjLj3EEiiiiiiiiiiiliiliiiiil,@function
_ZL15flash_attn_tileILi112ELi112ELi8ELi1ELb0EEvPKcS1_S1_S1_S1_PKiPfP15HIP_vector_typeIfLj2EEffffjfiS5_IjLj3EEiiiiiiiiiiiliiliiiiil: ; @_ZL15flash_attn_tileILi112ELi112ELi8ELi1ELb0EEvPKcS1_S1_S1_S1_PKiPfP15HIP_vector_typeIfLj2EEffffjfiS5_IjLj3EEiiiiiiiiiiiliiliiiiil
; %bb.0:
	s_load_dwordx4 s[28:31], s[4:5], 0x5c
	s_load_dwordx2 s[52:53], s[4:5], 0x80
	s_add_u32 flat_scratch_lo, s6, s11
	s_addc_u32 flat_scratch_hi, s7, 0
	s_add_u32 s0, s0, s11
	s_waitcnt lgkmcnt(0)
	v_cvt_f32_u32_e32 v2, s31
	s_addc_u32 s1, s1, 0
	s_sub_i32 s6, 0, s31
	s_load_dwordx16 s[36:51], s[4:5], 0x0
	v_rcp_iflag_f32_e32 v2, v2
	s_load_dwordx2 s[16:17], s[4:5], 0xb8
	s_mov_b64 s[34:35], 0
	v_mul_f32_e32 v2, 0x4f7ffffe, v2
	v_cvt_u32_f32_e32 v2, v2
	v_readfirstlane_b32 s7, v2
	s_mul_i32 s6, s6, s7
	s_mul_hi_u32 s6, s7, s6
	s_add_i32 s7, s7, s6
	s_mul_hi_u32 s6, s10, s7
	s_mul_i32 s7, s6, s31
	s_sub_i32 s7, s10, s7
	s_add_i32 s11, s6, 1
	s_sub_i32 s12, s7, s31
	s_cmp_ge_u32 s7, s31
	s_cselect_b32 s6, s11, s6
	s_cselect_b32 s7, s12, s7
	s_add_i32 s11, s6, 1
	s_cmp_ge_u32 s7, s31
	s_cselect_b32 s33, s11, s6
	s_abs_i32 s6, s53
	v_cvt_f32_u32_e32 v2, s6
	s_mul_i32 s12, s33, s31
	s_sub_i32 s13, 0, s6
	s_sub_i32 s26, s10, s12
	v_rcp_iflag_f32_e32 v2, v2
	s_abs_i32 s11, s31
	s_xor_b32 s7, s31, s53
	s_ashr_i32 s7, s7, 31
	v_mul_f32_e32 v2, 0x4f7ffffe, v2
	v_cvt_u32_f32_e32 v2, v2
	v_readfirstlane_b32 s10, v2
	s_mul_i32 s13, s13, s10
	s_mul_hi_u32 s12, s10, s13
	s_add_i32 s10, s10, s12
	s_mul_hi_u32 s10, s11, s10
	s_mul_i32 s12, s10, s6
	s_sub_i32 s11, s11, s12
	s_add_i32 s13, s10, 1
	s_sub_i32 s12, s11, s6
	s_cmp_ge_u32 s11, s6
	s_cselect_b32 s10, s13, s10
	s_cselect_b32 s11, s12, s11
	s_add_i32 s12, s10, 1
	s_cmp_ge_u32 s11, s6
	s_cselect_b32 s6, s12, s10
	s_xor_b32 s6, s6, s7
	s_sub_i32 s19, s6, s7
	s_abs_i32 s18, s19
	v_cvt_f32_u32_e32 v2, s18
	s_sub_i32 s6, 0, s18
	s_waitcnt lgkmcnt(0)
	s_cmp_eq_u64 s[42:43], 0
	v_rcp_iflag_f32_e32 v2, v2
	v_mul_f32_e32 v2, 0x4f7ffffe, v2
	v_cvt_u32_f32_e32 v2, v2
	v_readfirstlane_b32 s20, v2
	s_mul_i32 s6, s6, s20
	s_mul_hi_u32 s6, s20, s6
	s_cbranch_scc1 .LBB62_2
; %bb.1:
	s_abs_i32 s7, s16
	v_cvt_f32_u32_e32 v2, s7
	s_sub_i32 s14, 0, s7
	s_abs_i32 s13, s33
	s_ashr_i32 s12, s33, 31
	v_rcp_iflag_f32_e32 v2, v2
	s_load_dwordx2 s[10:11], s[4:5], 0xc8
	v_mul_f32_e32 v2, 0x4f7ffffe, v2
	v_cvt_u32_f32_e32 v2, v2
	v_readfirstlane_b32 s15, v2
	s_mul_i32 s14, s14, s15
	s_mul_hi_u32 s14, s15, s14
	s_add_i32 s15, s15, s14
	s_mul_hi_u32 s14, s13, s15
	s_mul_i32 s14, s14, s7
	s_sub_i32 s13, s13, s14
	s_sub_i32 s14, s13, s7
	s_cmp_ge_u32 s13, s7
	s_cselect_b32 s13, s14, s13
	s_sub_i32 s14, s13, s7
	s_cmp_ge_u32 s13, s7
	s_cselect_b32 s7, s14, s13
	s_xor_b32 s7, s7, s12
	s_sub_i32 s7, s7, s12
	s_ashr_i32 s12, s7, 31
	s_waitcnt lgkmcnt(0)
	s_mul_hi_u32 s13, s10, s7
	s_mul_i32 s12, s10, s12
	s_mul_i32 s11, s11, s7
	s_add_i32 s12, s13, s12
	s_add_i32 s12, s12, s11
	s_mul_i32 s7, s10, s7
	s_add_u32 s34, s42, s7
	s_addc_u32 s35, s43, s12
.LBB62_2:
	s_load_dwordx4 s[12:15], s[4:5], 0x40
	s_add_i32 s20, s20, s6
	s_load_dword s6, s[4:5], 0x50
	s_abs_i32 s16, s26
	v_mov_b32_e32 v61, 1.0
	s_waitcnt lgkmcnt(0)
	v_cmp_le_f32_e64 s[10:11], s13, 0
	s_and_b64 vcc, exec, s[10:11]
	s_cbranch_vccnz .LBB62_4
; %bb.3:
	v_mov_b32_e32 v2, s6
	v_sub_co_u32_e32 v2, vcc, s26, v2
	v_mov_b32_e32 v3, s15
	v_mov_b32_e32 v4, s14
	s_add_i32 s6, s26, 1
	v_lshlrev_b32_e32 v2, 1, v2
	v_cndmask_b32_e32 v3, v3, v4, vcc
	v_or_b32_e32 v2, 1, v2
	v_mov_b32_e32 v4, s6
	v_cndmask_b32_e32 v2, v2, v4, vcc
	v_cvt_f32_i32_e32 v2, v2
	v_cmp_neq_f32_e32 vcc, 1.0, v3
	s_mov_b32 s6, 0x3f2aaaab
	s_movk_i32 s10, 0x204
	v_cndmask_b32_e32 v4, 1.0, v2, vcc
	v_cmp_neq_f32_e32 vcc, 0, v4
	v_cndmask_b32_e32 v5, 1.0, v3, vcc
	v_frexp_mant_f32_e64 v2, |v5|
	v_cmp_gt_f32_e32 vcc, s6, v2
	v_cndmask_b32_e64 v3, 1.0, 2.0, vcc
	v_mul_f32_e32 v2, v2, v3
	v_add_f32_e32 v3, 1.0, v2
	v_rcp_f32_e32 v6, v3
	v_add_f32_e32 v7, -1.0, v2
	v_add_f32_e32 v8, -1.0, v3
	v_sub_f32_e32 v2, v2, v8
	v_mul_f32_e32 v8, v7, v6
	v_mul_f32_e32 v9, v3, v8
	v_fma_f32 v3, v8, v3, -v9
	v_fmac_f32_e32 v3, v8, v2
	v_add_f32_e32 v2, v9, v3
	v_sub_f32_e32 v10, v7, v2
	v_sub_f32_e32 v9, v2, v9
	;; [unrolled: 1-line block ×5, first 2 shown]
	v_add_f32_e32 v2, v3, v2
	v_add_f32_e32 v2, v10, v2
	v_mul_f32_e32 v2, v6, v2
	v_add_f32_e32 v6, v8, v2
	v_sub_f32_e32 v3, v6, v8
	v_sub_f32_e32 v7, v2, v3
	v_mul_f32_e32 v2, v6, v6
	v_fma_f32 v3, v6, v6, -v2
	v_add_f32_e32 v8, v7, v7
	v_fmac_f32_e32 v3, v6, v8
	v_add_f32_e32 v8, v2, v3
	v_mov_b32_e32 v9, 0x3e91f4c4
	v_sub_f32_e32 v2, v8, v2
	v_fmac_f32_e32 v9, 0x3e76c4e1, v8
	v_mov_b32_e32 v10, 0x3ecccdef
	v_sub_f32_e32 v2, v3, v2
	v_mul_f32_e32 v3, v6, v8
	v_fmac_f32_e32 v10, v8, v9
	v_fma_f32 v9, v8, v6, -v3
	v_fmac_f32_e32 v9, v8, v7
	v_fmac_f32_e32 v9, v2, v6
	v_add_f32_e32 v11, v3, v9
	v_sub_f32_e32 v3, v11, v3
	v_sub_f32_e32 v9, v9, v3
	v_mul_f32_e32 v3, v8, v10
	v_fma_f32 v8, v8, v10, -v3
	v_fmac_f32_e32 v8, v2, v10
	v_add_f32_e32 v10, v3, v8
	v_sub_f32_e32 v2, v10, v3
	v_sub_f32_e32 v8, v8, v2
	v_cvt_f64_f32_e64 v[2:3], |v5|
	v_add_f32_e32 v12, 0x3f2aaaaa, v10
	v_add_f32_e32 v13, 0xbf2aaaaa, v12
	;; [unrolled: 1-line block ×3, first 2 shown]
	v_frexp_exp_i32_f64_e32 v2, v[2:3]
	v_sub_f32_e32 v10, v10, v13
	v_add_f32_e32 v3, v8, v10
	v_add_f32_e32 v8, v12, v3
	v_sub_f32_e32 v10, v12, v8
	v_add_f32_e32 v3, v3, v10
	v_mul_f32_e32 v10, v11, v8
	v_fma_f32 v12, v11, v8, -v10
	v_subbrev_co_u32_e32 v2, vcc, 0, v2, vcc
	v_cvt_f32_i32_e32 v2, v2
	v_fmac_f32_e32 v12, v11, v3
	s_mov_b32 s6, 0x3f317218
	v_fmac_f32_e32 v12, v9, v8
	v_mul_f32_e32 v3, 0x3f317218, v2
	v_fma_f32 v8, v2, s6, -v3
	v_fmac_f32_e32 v8, 0xb102e308, v2
	v_ldexp_f32 v2, v7, 1
	v_add_f32_e32 v7, v3, v8
	v_sub_f32_e32 v3, v7, v3
	v_ldexp_f32 v6, v6, 1
	v_sub_f32_e32 v3, v8, v3
	v_add_f32_e32 v8, v10, v12
	v_sub_f32_e32 v9, v8, v10
	v_add_f32_e32 v10, v6, v8
	v_sub_f32_e32 v9, v12, v9
	v_sub_f32_e32 v6, v10, v6
	;; [unrolled: 1-line block ×3, first 2 shown]
	v_add_f32_e32 v2, v2, v9
	v_add_f32_e32 v2, v2, v6
	;; [unrolled: 1-line block ×3, first 2 shown]
	v_sub_f32_e32 v8, v6, v10
	v_sub_f32_e32 v2, v2, v8
	v_add_f32_e32 v8, v7, v6
	v_sub_f32_e32 v9, v8, v7
	v_sub_f32_e32 v10, v8, v9
	;; [unrolled: 1-line block ×4, first 2 shown]
	v_add_f32_e32 v6, v6, v7
	v_add_f32_e32 v7, v3, v2
	v_sub_f32_e32 v9, v7, v3
	v_sub_f32_e32 v10, v7, v9
	;; [unrolled: 1-line block ×4, first 2 shown]
	v_add_f32_e32 v2, v2, v3
	v_add_f32_e32 v3, v7, v6
	;; [unrolled: 1-line block ×3, first 2 shown]
	v_sub_f32_e32 v7, v6, v8
	v_sub_f32_e32 v3, v3, v7
	v_add_f32_e32 v2, v2, v3
	v_add_f32_e32 v3, v6, v2
	v_sub_f32_e32 v6, v3, v6
	v_sub_f32_e32 v2, v2, v6
	v_mul_f32_e32 v6, v4, v3
	v_fma_f32 v3, v4, v3, -v6
	v_fmac_f32_e32 v3, v4, v2
	v_add_f32_e32 v2, v6, v3
	v_cmp_class_f32_e64 vcc, v6, s10
	v_sub_f32_e32 v7, v2, v6
	v_cndmask_b32_e32 v2, v2, v6, vcc
	s_mov_b32 s7, 0x42b17218
	v_mov_b32_e32 v6, 0x37000000
	v_cmp_eq_f32_e32 vcc, s7, v2
	v_cndmask_b32_e32 v6, 0, v6, vcc
	v_sub_f32_e32 v3, v3, v7
	v_sub_f32_e32 v7, v2, v6
	s_mov_b32 s11, 0x3fb8aa3b
	v_mul_f32_e32 v8, 0x3fb8aa3b, v7
	v_fma_f32 v9, v7, s11, -v8
	v_rndne_f32_e32 v10, v8
	v_fmac_f32_e32 v9, 0x32a5705f, v7
	v_sub_f32_e32 v8, v8, v10
	v_add_f32_e32 v8, v8, v9
	v_exp_f32_e32 v8, v8
	v_cvt_i32_f32_e32 v9, v10
	s_mov_b32 s6, 0x7f800000
	v_cmp_neq_f32_e64 vcc, |v2|, s6
	s_mov_b32 s6, 0xc2ce8ed0
	v_cndmask_b32_e32 v2, 0, v3, vcc
	v_ldexp_f32 v3, v8, v9
	v_cmp_ngt_f32_e32 vcc, s6, v7
	v_add_f32_e32 v2, v6, v2
	v_cndmask_b32_e32 v3, 0, v3, vcc
	v_mov_b32_e32 v6, 0x7f800000
	v_cmp_nlt_f32_e32 vcc, s7, v7
	v_cndmask_b32_e32 v3, v6, v3, vcc
	v_fma_f32 v2, v3, v2, v3
	v_cmp_class_f32_e64 vcc, v3, s10
	v_cndmask_b32_e32 v2, v2, v3, vcc
	v_trunc_f32_e32 v3, v4
	v_cmp_eq_f32_e32 vcc, v3, v4
	v_mul_f32_e32 v3, 0.5, v4
	v_trunc_f32_e32 v8, v3
	v_cmp_neq_f32_e64 s[6:7], v8, v3
	s_and_b64 s[6:7], vcc, s[6:7]
	v_cndmask_b32_e64 v3, 1.0, v5, s[6:7]
	s_brev_b32 s13, -2
	v_mov_b32_e32 v7, 0x7fc00000
	v_bfi_b32 v2, s13, v2, v3
	v_cndmask_b32_e32 v3, v7, v2, vcc
	v_cmp_gt_f32_e32 vcc, 0, v5
	v_cndmask_b32_e32 v2, v2, v3, vcc
	v_cmp_class_f32_e64 s[14:15], v5, s10
	v_cmp_eq_f32_e32 vcc, 0, v5
	v_cmp_gt_f32_e64 s[10:11], 0, v4
	s_xor_b64 s[10:11], s[10:11], vcc
	v_cndmask_b32_e64 v3, v6, 0, s[10:11]
	v_cndmask_b32_e64 v4, 0, v5, s[6:7]
	v_bfi_b32 v3, s13, v3, v4
	s_or_b64 vcc, vcc, s[14:15]
	v_cndmask_b32_e32 v2, v2, v3, vcc
	v_cmp_o_f32_e32 vcc, v5, v5
	v_cndmask_b32_e32 v61, v7, v2, vcc
.LBB62_4:
	s_lshl_b32 s10, s8, 3
	s_movk_i32 s11, 0xe0
	v_mov_b32_e32 v2, 0x1040
	s_mul_hi_u32 s13, s16, s20
	v_cmp_gt_u32_e64 s[6:7], 28, v0
	v_mad_u32_u24 v62, v1, s11, v2
	v_lshlrev_b32_e32 v57, 3, v0
	v_add_u32_e32 v56, s10, v1
	s_and_saveexec_b64 s[10:11], s[6:7]
	s_cbranch_execz .LBB62_6
; %bb.5:
	s_load_dwordx4 s[20:23], s[4:5], 0x70
	v_mul_hi_u32 v2, s28, v56
	v_add_u32_e32 v6, v62, v57
	v_add_u32_e32 v2, v56, v2
	s_waitcnt lgkmcnt(0)
	s_mul_i32 s14, s33, s22
	s_mul_i32 s15, s26, s21
	s_ashr_i32 s21, s14, 31
	v_lshrrev_b32_e32 v2, s29, v2
	s_add_u32 s14, s36, s14
	v_mul_lo_u32 v2, v2, s30
	s_addc_u32 s21, s37, s21
	s_ashr_i32 s22, s15, 31
	s_add_u32 s23, s14, s15
	s_addc_u32 s22, s21, s22
	s_ashr_i32 s21, s20, 31
	s_lshr_b64 s[14:15], s[20:21], 2
	v_sub_u32_e32 v4, v56, v2
	v_mad_u64_u32 v[2:3], s[14:15], s14, v4, 0
	s_lshr_b32 s14, s21, 2
	v_mad_u64_u32 v[3:4], s[14:15], s14, v4, v[3:4]
	v_mov_b32_e32 v4, s22
	v_lshlrev_b64 v[2:3], 2, v[2:3]
	v_add_co_u32_e32 v2, vcc, s23, v2
	v_addc_co_u32_e32 v3, vcc, v4, v3, vcc
	v_lshlrev_b32_e32 v4, 4, v0
	v_add_co_u32_e32 v2, vcc, v2, v4
	v_addc_co_u32_e32 v3, vcc, 0, v3, vcc
	global_load_dwordx4 v[2:5], v[2:3], off
	s_waitcnt vmcnt(0)
	v_fma_mixlo_f16 v2, s12, v2, 0
	v_fma_mixlo_f16 v3, s12, v3, 0
	v_fma_mixlo_f16 v4, s12, v4, 0
	v_fma_mixlo_f16 v5, s12, v5, 0
	v_lshlrev_b32_e32 v3, 16, v3
	v_and_b32_e32 v2, 0xffff, v2
	v_lshlrev_b32_e32 v5, 16, v5
	v_and_b32_e32 v4, 0xffff, v4
	v_or_b32_e32 v2, v3, v2
	v_or3_b32 v3, v5, v4, 0
	v_or3_b32 v2, 0, 0, v2
	ds_write_b64 v6, v[2:3]
.LBB62_6:
	s_or_b64 exec, exec, s[10:11]
	s_ashr_i32 s27, s26, 31
	s_ashr_i32 s10, s19, 31
	s_cmp_eq_u64 s[46:47], 0
	s_waitcnt lgkmcnt(0)
	s_barrier
	s_cbranch_scc1 .LBB62_8
; %bb.7:
	s_load_dword s11, s[4:5], 0xd0
	s_mov_b32 s15, 0
	s_waitcnt lgkmcnt(0)
	s_mul_i32 s11, s11, s33
	s_add_i32 s14, s11, s8
	s_lshl_b64 s[14:15], s[14:15], 2
	s_add_u32 s14, s46, s14
	s_addc_u32 s15, s47, s15
	s_load_dword s52, s[14:15], 0x0
.LBB62_8:
	s_nop 0
	s_load_dwordx2 s[14:15], s[4:5], 0x8c
	s_load_dwordx4 s[20:23], s[4:5], 0x98
	s_load_dwordx2 s[24:25], s[4:5], 0xa8
	s_ashr_i32 s11, s33, 31
	s_ashr_i32 s47, s17, 1
	s_waitcnt lgkmcnt(0)
	s_ashr_i32 s53, s14, 2
	s_mul_hi_u32 s12, s20, s33
	s_mul_i32 s14, s20, s11
	s_add_i32 s12, s12, s14
	s_mul_i32 s14, s21, s33
	s_ashr_i32 s8, s22, 2
	s_add_i32 s12, s12, s14
	s_mul_i32 s14, s20, s33
	s_add_u32 s14, s38, s14
	s_mul_i32 s17, s13, s18
	s_addc_u32 s12, s39, s12
	s_sub_i32 s16, s16, s17
	s_xor_b32 s10, s27, s10
	s_add_i32 s17, s13, 1
	s_sub_i32 s19, s16, s18
	s_cmp_ge_u32 s16, s18
	s_cselect_b32 s13, s17, s13
	s_cselect_b32 s16, s19, s16
	s_add_i32 s17, s13, 1
	s_cmp_ge_u32 s16, s18
	s_cselect_b32 s13, s17, s13
	s_xor_b32 s13, s13, s10
	s_sub_i32 s10, s13, s10
	s_mul_i32 s13, s10, s15
	s_ashr_i32 s15, s13, 31
	s_add_u32 s55, s14, s13
	s_addc_u32 s54, s12, s15
	s_mul_hi_u32 s12, s24, s33
	s_mul_i32 s11, s24, s11
	s_add_i32 s11, s12, s11
	s_mul_i32 s12, s25, s33
	s_add_i32 s11, s11, s12
	s_mul_i32 s12, s24, s33
	s_add_u32 s12, s40, s12
	s_mul_i32 s10, s10, s23
	s_addc_u32 s11, s41, s11
	s_ashr_i32 s13, s10, 31
	s_add_u32 s42, s12, s10
	s_addc_u32 s43, s11, s13
	s_lshl_b32 s46, s9, 5
	s_sub_i32 s56, s52, 32
	s_cmp_ge_i32 s46, s56
	v_lshl_add_u32 v69, v1, 5, v0
	v_lshrrev_b32_e32 v68, 1, v0
	v_lshrrev_b32_e32 v67, 2, v0
	v_lshlrev_b32_e32 v64, 7, v0
	v_lshlrev_b32_e32 v59, 2, v0
	v_lshrrev_b32_e32 v60, 3, v0
	v_mbcnt_lo_u32_b32 v63, -1, 0
	s_cbranch_scc1 .LBB62_39
; %bb.9:
	v_mul_hi_u32 v11, s28, v56
	v_lshl_add_u32 v10, v1, 3, v67
	v_and_b32_e32 v15, 12, v59
	s_movk_i32 s14, 0x80
	v_lshlrev_b32_e32 v6, 2, v15
	v_mul_u32_u24_e32 v7, 0xe0, v10
	v_add3_u32 v71, v7, v6, s14
	v_add_u32_e32 v7, v56, v11
	v_lshrrev_b32_e32 v7, s29, v7
	v_lshl_add_u32 v8, v1, 4, v68
	v_and_b32_e32 v14, 4, v59
	v_mul_lo_u32 v11, v7, s30
	v_lshlrev_b32_e32 v3, 7, v8
	v_lshlrev_b32_e32 v5, 2, v14
	v_lshl_add_u32 v13, v1, 2, v60
	v_cmp_gt_u32_e64 s[10:11], 32, v8
	v_mul_lo_u32 v2, s53, v69
	v_or3_b32 v70, v3, v5, 64
	v_mul_lo_u32 v4, s53, v8
	v_mul_u32_u24_e32 v3, 0xe0, v8
	v_cmp_gt_u32_e64 s[12:13], 32, v10
	v_lshl_or_b32 v72, v10, 7, v6
	v_mul_lo_u32 v6, s53, v10
	v_cmp_gt_u32_e64 s[14:15], 16, v8
	v_cmp_gt_u32_e64 s[16:17], 16, v10
	v_mul_lo_u32 v8, s8, v8
	v_mul_lo_u32 v10, s8, v10
	;; [unrolled: 1-line block ×3, first 2 shown]
	v_and_b32_e32 v75, 28, v59
	v_sub_u32_e32 v16, v56, v11
	s_movk_i32 s20, 0xe0
	v_lshlrev_b32_e32 v17, 2, v75
	v_or_b32_e32 v9, v3, v5
	v_mov_b32_e32 v11, 0x1740
	v_mad_u32_u24 v76, v13, s20, v17
	v_mad_u64_u32 v[54:55], s[20:21], v16, s47, v[0:1]
	v_ashrrev_i32_e32 v3, 31, v2
	v_ashrrev_i32_e32 v5, 31, v4
	;; [unrolled: 1-line block ×3, first 2 shown]
	s_cmp_lg_u64 s[34:35], 0
	v_lshl_add_u32 v73, v1, 6, v11
	v_cmp_gt_u32_e64 s[18:19], 16, v13
	v_add_u32_e32 v74, 0xc0, v9
	v_ashrrev_i32_e32 v9, 31, v8
	v_ashrrev_i32_e32 v11, 31, v10
	;; [unrolled: 1-line block ×3, first 2 shown]
	s_cselect_b64 s[36:37], -1, 0
	s_add_u32 s38, s4, 0xd0
	v_lshlrev_b64 v[42:43], 2, v[2:3]
	v_lshlrev_b64 v[44:45], 2, v[4:5]
	;; [unrolled: 1-line block ×6, first 2 shown]
	v_cmp_gt_u32_e64 s[22:23], 32, v69
	s_addc_u32 s39, s5, 0
	s_mov_b32 s57, 0x3fb8aa3b
	s_mov_b32 s58, 0xc2ce8ed0
	;; [unrolled: 1-line block ×4, first 2 shown]
	v_lshlrev_b32_e32 v77, 2, v14
	v_lshlrev_b32_e32 v78, 2, v15
	v_or_b32_e32 v79, 0x60, v64
	v_mov_b32_e32 v58, 0
	v_lshl_add_u32 v80, v0, 1, v73
	v_mov_b32_e32 v2, 0xfeffffff
	v_mbcnt_hi_u32_b32 v81, -1, v63
	v_mov_b32_e32 v82, 0x7f800000
	v_mov_b32_e32 v55, 0
	;; [unrolled: 1-line block ×3, first 2 shown]
.LBB62_10:                              ; =>This Inner Loop Header: Depth=1
	s_mul_hi_i32 s21, s46, s53
	s_mul_i32 s20, s46, s53
	s_lshl_b64 s[20:21], s[20:21], 2
	s_add_u32 s24, s55, s20
	s_addc_u32 s25, s54, s21
	s_and_saveexec_b64 s[20:21], s[22:23]
	s_cbranch_execnz .LBB62_20
; %bb.11:                               ;   in Loop: Header=BB62_10 Depth=1
	s_or_b64 exec, exec, s[20:21]
	s_and_saveexec_b64 s[20:21], s[10:11]
	s_cbranch_execnz .LBB62_21
.LBB62_12:                              ;   in Loop: Header=BB62_10 Depth=1
	s_or_b64 exec, exec, s[20:21]
	s_and_saveexec_b64 s[20:21], s[12:13]
	s_cbranch_execz .LBB62_14
.LBB62_13:                              ;   in Loop: Header=BB62_10 Depth=1
	v_mov_b32_e32 v3, s25
	v_add_co_u32_e32 v4, vcc, s24, v46
	v_addc_co_u32_e32 v5, vcc, v3, v47, vcc
	v_add_co_u32_e32 v3, vcc, v4, v78
	v_addc_co_u32_e32 v4, vcc, 0, v5, vcc
	global_load_dwordx4 v[3:6], v[3:4], off
	s_waitcnt vmcnt(0)
	ds_write_b128 v72, v[3:6]
.LBB62_14:                              ;   in Loop: Header=BB62_10 Depth=1
	s_or_b64 exec, exec, s[20:21]
	s_waitcnt lgkmcnt(0)
	s_barrier
	ds_read_b128 v[4:7], v64
	ds_read_b128 v[8:11], v62
	v_mov_b32_e32 v3, 0
	s_waitcnt lgkmcnt(0)
	;;#ASMSTART
	v_dot2_f32_f16 v3, v4, v8, v3
	;;#ASMEND
	;;#ASMSTART
	v_dot2_f32_f16 v3, v5, v9, v3
	;;#ASMEND
	;;#ASMSTART
	v_dot2_f32_f16 v3, v6, v10, v3
	;;#ASMEND
	;;#ASMSTART
	v_dot2_f32_f16 v3, v7, v11, v3
	;;#ASMEND
	ds_read_b128 v[4:7], v64 offset:16
	ds_read_b128 v[8:11], v62 offset:16
	s_waitcnt lgkmcnt(0)
	;;#ASMSTART
	v_dot2_f32_f16 v3, v4, v8, v3
	;;#ASMEND
	;;#ASMSTART
	v_dot2_f32_f16 v3, v5, v9, v3
	;;#ASMEND
	;;#ASMSTART
	v_dot2_f32_f16 v3, v6, v10, v3
	;;#ASMEND
	;;#ASMSTART
	v_dot2_f32_f16 v3, v7, v11, v3
	;;#ASMEND
	ds_read_b128 v[4:7], v64 offset:32
	ds_read_b128 v[8:11], v62 offset:32
	;; [unrolled: 15-line block ×6, first 2 shown]
	s_waitcnt lgkmcnt(0)
	;;#ASMSTART
	v_dot2_f32_f16 v3, v4, v8, v3
	;;#ASMEND
	;;#ASMSTART
	v_dot2_f32_f16 v3, v5, v9, v3
	;;#ASMEND
	;; [unrolled: 3-line block ×4, first 2 shown]
	s_barrier
	s_and_saveexec_b64 s[20:21], s[22:23]
	s_cbranch_execnz .LBB62_22
; %bb.15:                               ;   in Loop: Header=BB62_10 Depth=1
	s_or_b64 exec, exec, s[20:21]
	s_and_saveexec_b64 s[20:21], s[10:11]
	s_cbranch_execnz .LBB62_23
.LBB62_16:                              ;   in Loop: Header=BB62_10 Depth=1
	s_or_b64 exec, exec, s[20:21]
	s_and_saveexec_b64 s[20:21], s[12:13]
	s_cbranch_execz .LBB62_18
.LBB62_17:                              ;   in Loop: Header=BB62_10 Depth=1
	v_mov_b32_e32 v4, s25
	v_add_co_u32_e32 v5, vcc, s24, v46
	v_addc_co_u32_e32 v6, vcc, v4, v47, vcc
	v_add_co_u32_e32 v4, vcc, v5, v78
	v_addc_co_u32_e32 v5, vcc, 0, v6, vcc
	global_load_dwordx4 v[4:7], v[4:5], off offset:112
	s_waitcnt vmcnt(0)
	ds_write_b128 v72, v[4:7]
.LBB62_18:                              ;   in Loop: Header=BB62_10 Depth=1
	s_or_b64 exec, exec, s[20:21]
	s_waitcnt lgkmcnt(0)
	s_barrier
	ds_read_b128 v[4:7], v64
	ds_read_b128 v[8:11], v62 offset:112
	s_andn2_b64 vcc, exec, s[36:37]
	s_waitcnt lgkmcnt(0)
	;;#ASMSTART
	v_dot2_f32_f16 v3, v4, v8, v3
	;;#ASMEND
	;;#ASMSTART
	v_dot2_f32_f16 v3, v5, v9, v3
	;;#ASMEND
	;;#ASMSTART
	v_dot2_f32_f16 v3, v6, v10, v3
	;;#ASMEND
	;;#ASMSTART
	v_dot2_f32_f16 v3, v7, v11, v3
	;;#ASMEND
	ds_read_b128 v[4:7], v64 offset:16
	ds_read_b128 v[8:11], v62 offset:128
	s_waitcnt lgkmcnt(0)
	;;#ASMSTART
	v_dot2_f32_f16 v3, v4, v8, v3
	;;#ASMEND
	;;#ASMSTART
	v_dot2_f32_f16 v3, v5, v9, v3
	;;#ASMEND
	;;#ASMSTART
	v_dot2_f32_f16 v3, v6, v10, v3
	;;#ASMEND
	;;#ASMSTART
	v_dot2_f32_f16 v3, v7, v11, v3
	;;#ASMEND
	ds_read_b128 v[4:7], v64 offset:32
	ds_read_b128 v[8:11], v62 offset:144
	;; [unrolled: 15-line block ×6, first 2 shown]
	s_waitcnt lgkmcnt(0)
	;;#ASMSTART
	v_dot2_f32_f16 v3, v4, v8, v3
	;;#ASMEND
	;;#ASMSTART
	v_dot2_f32_f16 v3, v5, v9, v3
	;;#ASMEND
	;; [unrolled: 3-line block ×4, first 2 shown]
	s_cbranch_vccnz .LBB62_24
; %bb.19:                               ;   in Loop: Header=BB62_10 Depth=1
	v_add_u32_e32 v4, s46, v54
	v_ashrrev_i32_e32 v5, 31, v4
	v_lshlrev_b64 v[4:5], 1, v[4:5]
	v_mov_b32_e32 v6, s35
	v_add_co_u32_e32 v4, vcc, s34, v4
	v_addc_co_u32_e32 v5, vcc, v6, v5, vcc
	global_load_ushort v4, v[4:5], off
	s_waitcnt vmcnt(0)
	v_cvt_f32_f16_e32 v4, v4
	v_mul_f32_e32 v4, v61, v4
	s_branch .LBB62_25
.LBB62_20:                              ;   in Loop: Header=BB62_10 Depth=1
	v_mov_b32_e32 v4, s25
	v_add_co_u32_e32 v3, vcc, s24, v42
	v_addc_co_u32_e32 v4, vcc, v4, v43, vcc
	global_load_dwordx4 v[3:6], v[3:4], off offset:96
	s_waitcnt vmcnt(0)
	ds_write_b128 v79, v[3:6]
	s_or_b64 exec, exec, s[20:21]
	s_and_saveexec_b64 s[20:21], s[10:11]
	s_cbranch_execz .LBB62_12
.LBB62_21:                              ;   in Loop: Header=BB62_10 Depth=1
	v_mov_b32_e32 v3, s25
	v_add_co_u32_e32 v4, vcc, s24, v44
	v_addc_co_u32_e32 v5, vcc, v3, v45, vcc
	v_add_co_u32_e32 v3, vcc, v4, v77
	v_addc_co_u32_e32 v4, vcc, 0, v5, vcc
	global_load_dwordx4 v[3:6], v[3:4], off offset:64
	s_waitcnt vmcnt(0)
	ds_write_b128 v70, v[3:6]
	s_or_b64 exec, exec, s[20:21]
	s_and_saveexec_b64 s[20:21], s[12:13]
	s_cbranch_execnz .LBB62_13
	s_branch .LBB62_14
.LBB62_22:                              ;   in Loop: Header=BB62_10 Depth=1
	v_mov_b32_e32 v5, s25
	v_add_co_u32_e32 v4, vcc, s24, v42
	v_addc_co_u32_e32 v5, vcc, v5, v43, vcc
	global_load_dwordx4 v[4:7], v[4:5], off offset:208
	s_waitcnt vmcnt(0)
	ds_write_b128 v79, v[4:7]
	s_or_b64 exec, exec, s[20:21]
	s_and_saveexec_b64 s[20:21], s[10:11]
	s_cbranch_execz .LBB62_16
.LBB62_23:                              ;   in Loop: Header=BB62_10 Depth=1
	v_mov_b32_e32 v4, s25
	v_add_co_u32_e32 v5, vcc, s24, v44
	v_addc_co_u32_e32 v6, vcc, v4, v45, vcc
	v_add_co_u32_e32 v4, vcc, v5, v77
	v_addc_co_u32_e32 v5, vcc, 0, v6, vcc
	global_load_dwordx4 v[4:7], v[4:5], off offset:176
	s_waitcnt vmcnt(0)
	ds_write_b128 v70, v[4:7]
	s_or_b64 exec, exec, s[20:21]
	s_and_saveexec_b64 s[20:21], s[12:13]
	s_cbranch_execnz .LBB62_17
	s_branch .LBB62_18
.LBB62_24:                              ;   in Loop: Header=BB62_10 Depth=1
	v_mov_b32_e32 v4, 0
.LBB62_25:                              ;   in Loop: Header=BB62_10 Depth=1
	v_and_b32_e32 v5, 0x60, v81
	v_add_u32_e32 v5, 32, v5
	v_xor_b32_e32 v6, 16, v81
	v_cmp_lt_i32_e32 vcc, v6, v5
	v_add_f32_e32 v3, v3, v4
	v_cndmask_b32_e32 v6, v81, v6, vcc
	v_add_f32_e32 v4, 0x40051340, v3
	v_max_f32_e32 v7, v2, v2
	v_lshlrev_b32_e32 v6, 2, v6
	v_max_f32_e32 v4, v7, v4
	ds_bpermute_b32 v6, v6, v4
	v_xor_b32_e32 v7, 8, v81
	v_cmp_lt_i32_e32 vcc, v7, v5
	v_cndmask_b32_e32 v7, v81, v7, vcc
	v_lshlrev_b32_e32 v7, 2, v7
	s_waitcnt lgkmcnt(0)
	v_max_f32_e32 v6, v6, v6
	v_max_f32_e32 v4, v4, v6
	ds_bpermute_b32 v6, v7, v4
	v_xor_b32_e32 v7, 4, v81
	v_cmp_lt_i32_e32 vcc, v7, v5
	v_cndmask_b32_e32 v7, v81, v7, vcc
	v_lshlrev_b32_e32 v7, 2, v7
	s_waitcnt lgkmcnt(0)
	v_max_f32_e32 v6, v6, v6
	;; [unrolled: 8-line block ×4, first 2 shown]
	v_max_f32_e32 v4, v4, v6
	ds_bpermute_b32 v5, v5, v4
	s_mul_hi_i32 s21, s46, s8
	s_mul_i32 s20, s46, s8
	s_lshl_b64 s[20:21], s[20:21], 2
	s_add_u32 s24, s42, s20
	s_waitcnt lgkmcnt(0)
	v_max_f32_e32 v5, v5, v5
	v_max_f32_e32 v66, v4, v5
	v_sub_f32_e32 v3, v3, v66
	v_mul_f32_e32 v4, 0x3fb8aa3b, v3
	v_fma_f32 v5, v3, s57, -v4
	v_rndne_f32_e32 v6, v4
	v_fmac_f32_e32 v5, 0x32a5705f, v3
	v_sub_f32_e32 v4, v4, v6
	v_add_f32_e32 v4, v4, v5
	v_exp_f32_e32 v4, v4
	v_cvt_i32_f32_e32 v5, v6
	v_cmp_ngt_f32_e32 vcc, s58, v3
	s_addc_u32 s25, s43, s21
	v_ldexp_f32 v4, v4, v5
	v_cndmask_b32_e32 v4, 0, v4, vcc
	v_cmp_nlt_f32_e32 vcc, s59, v3
	v_cndmask_b32_e32 v65, v82, v4, vcc
	v_cvt_f16_f32_e32 v3, v65
	s_barrier
	ds_write_b16 v80, v3
	s_and_saveexec_b64 s[20:21], s[14:15]
	s_cbranch_execnz .LBB62_35
; %bb.26:                               ;   in Loop: Header=BB62_10 Depth=1
	s_or_b64 exec, exec, s[20:21]
	s_and_saveexec_b64 s[20:21], s[16:17]
	s_cbranch_execnz .LBB62_36
.LBB62_27:                              ;   in Loop: Header=BB62_10 Depth=1
	s_or_b64 exec, exec, s[20:21]
	v_lshlrev_b32_e32 v85, 2, v75
	s_and_saveexec_b64 s[20:21], s[18:19]
	s_cbranch_execz .LBB62_29
.LBB62_28:                              ;   in Loop: Header=BB62_10 Depth=1
	v_mov_b32_e32 v3, s25
	v_add_co_u32_e32 v4, vcc, s24, v52
	v_addc_co_u32_e32 v5, vcc, v3, v53, vcc
	v_add_co_u32_e32 v3, vcc, v4, v85
	v_addc_co_u32_e32 v4, vcc, 0, v5, vcc
	global_load_dwordx4 v[3:6], v[3:4], off
	s_waitcnt vmcnt(0)
	ds_write_b128 v76, v[3:6]
.LBB62_29:                              ;   in Loop: Header=BB62_10 Depth=1
	s_or_b64 exec, exec, s[20:21]
	s_waitcnt lgkmcnt(0)
	s_barrier
	ds_read2_b64 v[22:25], v57 offset1:28
	ds_read_b128 v[38:41], v73
	ds_read_b128 v[34:37], v73 offset:16
	ds_read2_b64 v[30:33], v57 offset0:56 offset1:84
	ds_read2_b64 v[26:29], v57 offset0:112 offset1:140
	;; [unrolled: 1-line block ×4, first 2 shown]
	v_add_u32_e32 v84, 0x800, v57
	v_sub_f32_e32 v86, v2, v66
	ds_read2_b64 v[14:17], v84 offset0:24 offset1:52
	ds_read2_b64 v[6:9], v84 offset0:80 offset1:108
	;; [unrolled: 1-line block ×3, first 2 shown]
	s_or_b32 s24, s46, 16
	s_mul_hi_i32 s25, s24, s8
	s_mul_i32 s24, s24, s8
	s_lshl_b64 s[24:25], s[24:25], 2
	s_add_u32 s61, s42, s24
	v_cmp_ngt_f32_e32 vcc, s58, v86
	v_cmp_nlt_f32_e64 s[20:21], s59, v86
	s_addc_u32 s62, s43, s25
	s_waitcnt lgkmcnt(0)
	s_barrier
	s_and_saveexec_b64 s[40:41], s[14:15]
	s_cbranch_execnz .LBB62_37
; %bb.30:                               ;   in Loop: Header=BB62_10 Depth=1
	s_or_b64 exec, exec, s[40:41]
	s_and_saveexec_b64 s[40:41], s[16:17]
	s_cbranch_execnz .LBB62_38
.LBB62_31:                              ;   in Loop: Header=BB62_10 Depth=1
	s_or_b64 exec, exec, s[40:41]
	s_and_saveexec_b64 s[40:41], s[18:19]
	s_cbranch_execz .LBB62_33
.LBB62_32:                              ;   in Loop: Header=BB62_10 Depth=1
	v_mov_b32_e32 v87, s62
	v_add_co_u32_e64 v88, s[24:25], s61, v52
	v_addc_co_u32_e64 v89, s[24:25], v87, v53, s[24:25]
	v_add_co_u32_e64 v87, s[24:25], v88, v85
	v_addc_co_u32_e64 v88, s[24:25], 0, v89, s[24:25]
	global_load_dwordx4 v[87:90], v[87:88], off
	s_waitcnt vmcnt(0)
	ds_write_b128 v76, v[87:90]
.LBB62_33:                              ;   in Loop: Header=BB62_10 Depth=1
	s_or_b64 exec, exec, s[40:41]
	v_mul_f32_e32 v85, 0x3fb8aa3b, v86
	v_fma_f32 v87, v86, s57, -v85
	v_fmac_f32_e32 v87, 0x32a5705f, v86
	v_rndne_f32_e32 v86, v85
	v_sub_f32_e32 v85, v85, v86
	v_add_f32_e32 v85, v85, v87
	v_cvt_i32_f32_e32 v86, v86
	v_exp_f32_e32 v85, v85
	v_mul_u32_u24_sdwa v87, v38, s60 dst_sel:DWORD dst_unused:UNUSED_PAD src0_sel:WORD_0 src1_sel:DWORD
	v_pk_mul_f16 v22, v22, v87
	v_pk_mul_f16 v23, v23, v87
	v_ldexp_f32 v85, v85, v86
	v_cndmask_b32_e32 v85, 0, v85, vcc
	v_cndmask_b32_e64 v85, v82, v85, s[20:21]
	v_cvt_f16_f32_e32 v86, v85
	v_mul_u32_u24_sdwa v38, v38, s60 dst_sel:DWORD dst_unused:UNUSED_PAD src0_sel:WORD_1 src1_sel:DWORD
	v_mul_u32_u24_sdwa v88, v39, s60 dst_sel:DWORD dst_unused:UNUSED_PAD src0_sel:WORD_0 src1_sel:DWORD
	v_mul_u32_u24_sdwa v39, v39, s60 dst_sel:DWORD dst_unused:UNUSED_PAD src0_sel:WORD_1 src1_sel:DWORD
	v_mul_u32_u24_e32 v86, 0x10001, v86
	v_pk_fma_f16 v22, v58, v86, v22
	v_pk_fma_f16 v23, v55, v86, v23
	;; [unrolled: 1-line block ×6, first 2 shown]
	v_mul_u32_u24_sdwa v89, v40, s60 dst_sel:DWORD dst_unused:UNUSED_PAD src0_sel:WORD_0 src1_sel:DWORD
	v_pk_fma_f16 v22, v32, v39, v22
	v_pk_fma_f16 v23, v33, v39, v23
	v_mul_u32_u24_sdwa v40, v40, s60 dst_sel:DWORD dst_unused:UNUSED_PAD src0_sel:WORD_1 src1_sel:DWORD
	v_pk_fma_f16 v22, v26, v89, v22
	v_pk_fma_f16 v23, v27, v89, v23
	v_mul_u32_u24_sdwa v90, v41, s60 dst_sel:DWORD dst_unused:UNUSED_PAD src0_sel:WORD_0 src1_sel:DWORD
	v_pk_fma_f16 v22, v28, v40, v22
	v_pk_fma_f16 v23, v29, v40, v23
	v_mul_u32_u24_sdwa v41, v41, s60 dst_sel:DWORD dst_unused:UNUSED_PAD src0_sel:WORD_1 src1_sel:DWORD
	v_pk_fma_f16 v18, v18, v90, v22
	v_pk_fma_f16 v19, v19, v90, v23
	;; [unrolled: 6-line block ×5, first 2 shown]
	v_mul_u32_u24_sdwa v94, v37, s60 dst_sel:DWORD dst_unused:UNUSED_PAD src0_sel:WORD_0 src1_sel:DWORD
	v_pk_fma_f16 v6, v8, v36, v6
	v_pk_fma_f16 v7, v9, v36, v7
	;; [unrolled: 1-line block ×4, first 2 shown]
	s_waitcnt lgkmcnt(0)
	s_barrier
	ds_read_b128 v[6:9], v73 offset:32
	ds_read2_b64 v[10:13], v57 offset1:28
	v_mul_u32_u24_sdwa v37, v37, s60 dst_sel:DWORD dst_unused:UNUSED_PAD src0_sel:WORD_1 src1_sel:DWORD
	v_pk_fma_f16 v14, v4, v37, v2
	v_pk_fma_f16 v15, v5, v37, v3
	s_waitcnt lgkmcnt(1)
	v_mul_u32_u24_sdwa v16, v6, s60 dst_sel:DWORD dst_unused:UNUSED_PAD src0_sel:WORD_0 src1_sel:DWORD
	s_waitcnt lgkmcnt(0)
	v_pk_fma_f16 v10, v10, v16, v14
	v_pk_fma_f16 v11, v11, v16, v15
	ds_read2_b64 v[14:17], v57 offset0:56 offset1:84
	v_mul_u32_u24_sdwa v6, v6, s60 dst_sel:DWORD dst_unused:UNUSED_PAD src0_sel:WORD_1 src1_sel:DWORD
	v_pk_fma_f16 v10, v12, v6, v10
	v_pk_fma_f16 v6, v13, v6, v11
	v_mul_u32_u24_sdwa v11, v7, s60 dst_sel:DWORD dst_unused:UNUSED_PAD src0_sel:WORD_0 src1_sel:DWORD
	s_waitcnt lgkmcnt(0)
	v_pk_fma_f16 v14, v14, v11, v10
	v_pk_fma_f16 v6, v15, v11, v6
	ds_read2_b64 v[10:13], v57 offset0:112 offset1:140
	v_mul_u32_u24_sdwa v7, v7, s60 dst_sel:DWORD dst_unused:UNUSED_PAD src0_sel:WORD_1 src1_sel:DWORD
	v_pk_fma_f16 v14, v16, v7, v14
	v_pk_fma_f16 v6, v17, v7, v6
	v_mul_u32_u24_sdwa v7, v8, s60 dst_sel:DWORD dst_unused:UNUSED_PAD src0_sel:WORD_0 src1_sel:DWORD
	s_waitcnt lgkmcnt(0)
	v_pk_fma_f16 v10, v10, v7, v14
	ds_read2_b64 v[14:17], v57 offset0:168 offset1:196
	ds_read_b128 v[2:5], v73 offset:48
	v_pk_fma_f16 v6, v11, v7, v6
	v_mul_u32_u24_sdwa v7, v8, s60 dst_sel:DWORD dst_unused:UNUSED_PAD src0_sel:WORD_1 src1_sel:DWORD
	v_pk_fma_f16 v8, v12, v7, v10
	v_pk_fma_f16 v6, v13, v7, v6
	ds_read2_b64 v[10:13], v57 offset0:224 offset1:252
	v_mul_u32_u24_sdwa v7, v9, s60 dst_sel:DWORD dst_unused:UNUSED_PAD src0_sel:WORD_0 src1_sel:DWORD
	s_waitcnt lgkmcnt(2)
	v_pk_fma_f16 v8, v14, v7, v8
	v_pk_fma_f16 v6, v15, v7, v6
	v_mul_u32_u24_sdwa v7, v9, s60 dst_sel:DWORD dst_unused:UNUSED_PAD src0_sel:WORD_1 src1_sel:DWORD
	v_pk_fma_f16 v8, v16, v7, v8
	v_pk_fma_f16 v6, v17, v7, v6
	s_waitcnt lgkmcnt(1)
	v_mul_u32_u24_sdwa v7, v2, s60 dst_sel:DWORD dst_unused:UNUSED_PAD src0_sel:WORD_0 src1_sel:DWORD
	s_waitcnt lgkmcnt(0)
	v_pk_fma_f16 v10, v10, v7, v8
	v_pk_fma_f16 v11, v11, v7, v6
	ds_read2_b64 v[6:9], v84 offset0:24 offset1:52
	v_mul_u32_u24_sdwa v2, v2, s60 dst_sel:DWORD dst_unused:UNUSED_PAD src0_sel:WORD_1 src1_sel:DWORD
	v_pk_fma_f16 v10, v12, v2, v10
	v_pk_fma_f16 v2, v13, v2, v11
	v_mul_u32_u24_sdwa v11, v3, s60 dst_sel:DWORD dst_unused:UNUSED_PAD src0_sel:WORD_0 src1_sel:DWORD
	s_waitcnt lgkmcnt(0)
	v_pk_fma_f16 v6, v6, v11, v10
	v_pk_fma_f16 v2, v7, v11, v2
	ds_read2_b64 v[10:13], v84 offset0:80 offset1:108
	v_mul_u32_u24_sdwa v3, v3, s60 dst_sel:DWORD dst_unused:UNUSED_PAD src0_sel:WORD_1 src1_sel:DWORD
	v_pk_fma_f16 v6, v8, v3, v6
	v_pk_fma_f16 v2, v9, v3, v2
	v_mul_u32_u24_sdwa v3, v4, s60 dst_sel:DWORD dst_unused:UNUSED_PAD src0_sel:WORD_0 src1_sel:DWORD
	s_waitcnt lgkmcnt(0)
	v_pk_fma_f16 v6, v10, v3, v6
	v_pk_fma_f16 v2, v11, v3, v2
	v_mul_u32_u24_sdwa v3, v4, s60 dst_sel:DWORD dst_unused:UNUSED_PAD src0_sel:WORD_1 src1_sel:DWORD
	v_pk_fma_f16 v4, v12, v3, v6
	ds_read2_b64 v[6:9], v84 offset0:136 offset1:164
	s_waitcnt lgkmcnt(0)
	s_barrier
	s_load_dword s20, s[38:39], 0x4
	v_pk_fma_f16 v2, v13, v3, v2
	v_mul_u32_u24_sdwa v3, v5, s60 dst_sel:DWORD dst_unused:UNUSED_PAD src0_sel:WORD_0 src1_sel:DWORD
	v_pk_fma_f16 v4, v6, v3, v4
	v_pk_fma_f16 v2, v7, v3, v2
	s_waitcnt lgkmcnt(0)
	s_lshl_b32 s20, s20, 5
	v_mul_u32_u24_sdwa v3, v5, s60 dst_sel:DWORD dst_unused:UNUSED_PAD src0_sel:WORD_1 src1_sel:DWORD
	s_add_i32 s46, s20, s46
	v_fmac_f32_e32 v65, v83, v85
	v_pk_fma_f16 v58, v8, v3, v4
	s_cmp_lt_i32 s46, s56
	v_pk_fma_f16 v55, v9, v3, v2
	s_cbranch_scc0 .LBB62_40
; %bb.34:                               ;   in Loop: Header=BB62_10 Depth=1
	v_mov_b32_e32 v2, v66
	v_mov_b32_e32 v83, v65
	s_branch .LBB62_10
.LBB62_35:                              ;   in Loop: Header=BB62_10 Depth=1
	v_mov_b32_e32 v3, s25
	v_add_co_u32_e32 v4, vcc, s24, v48
	v_addc_co_u32_e32 v5, vcc, v3, v49, vcc
	v_add_co_u32_e32 v3, vcc, v4, v77
	v_addc_co_u32_e32 v4, vcc, 0, v5, vcc
	global_load_dwordx4 v[3:6], v[3:4], off offset:192
	s_waitcnt vmcnt(0)
	ds_write_b128 v74, v[3:6]
	s_or_b64 exec, exec, s[20:21]
	s_and_saveexec_b64 s[20:21], s[16:17]
	s_cbranch_execz .LBB62_27
.LBB62_36:                              ;   in Loop: Header=BB62_10 Depth=1
	v_mov_b32_e32 v3, s25
	v_add_co_u32_e32 v4, vcc, s24, v50
	v_addc_co_u32_e32 v5, vcc, v3, v51, vcc
	v_add_co_u32_e32 v3, vcc, v4, v78
	v_addc_co_u32_e32 v4, vcc, 0, v5, vcc
	global_load_dwordx4 v[3:6], v[3:4], off offset:128
	s_waitcnt vmcnt(0)
	ds_write_b128 v71, v[3:6]
	s_or_b64 exec, exec, s[20:21]
	v_lshlrev_b32_e32 v85, 2, v75
	s_and_saveexec_b64 s[20:21], s[18:19]
	s_cbranch_execnz .LBB62_28
	s_branch .LBB62_29
.LBB62_37:                              ;   in Loop: Header=BB62_10 Depth=1
	v_mov_b32_e32 v87, s62
	v_add_co_u32_e64 v88, s[24:25], s61, v48
	v_addc_co_u32_e64 v89, s[24:25], v87, v49, s[24:25]
	v_add_co_u32_e64 v87, s[24:25], v88, v77
	v_addc_co_u32_e64 v88, s[24:25], 0, v89, s[24:25]
	global_load_dwordx4 v[87:90], v[87:88], off offset:192
	s_waitcnt vmcnt(0)
	ds_write_b128 v74, v[87:90]
	s_or_b64 exec, exec, s[40:41]
	s_and_saveexec_b64 s[40:41], s[16:17]
	s_cbranch_execz .LBB62_31
.LBB62_38:                              ;   in Loop: Header=BB62_10 Depth=1
	v_mov_b32_e32 v87, s62
	v_add_co_u32_e64 v88, s[24:25], s61, v50
	v_addc_co_u32_e64 v89, s[24:25], v87, v51, s[24:25]
	v_add_co_u32_e64 v87, s[24:25], v88, v78
	v_addc_co_u32_e64 v88, s[24:25], 0, v89, s[24:25]
	global_load_dwordx4 v[87:90], v[87:88], off offset:128
	s_waitcnt vmcnt(0)
	ds_write_b128 v71, v[87:90]
	s_or_b64 exec, exec, s[40:41]
	s_and_saveexec_b64 s[40:41], s[18:19]
	s_cbranch_execnz .LBB62_32
	s_branch .LBB62_33
.LBB62_39:
	v_mov_b32_e32 v55, 0
	v_mov_b32_e32 v65, 0
	;; [unrolled: 1-line block ×4, first 2 shown]
.LBB62_40:
	s_cmp_gt_i32 s52, s46
	s_cbranch_scc1 .LBB62_43
; %bb.41:
	v_mbcnt_hi_u32_b32 v52, -1, v63
	v_and_b32_e32 v2, 0x60, v52
	v_add_u32_e32 v53, 32, v2
	v_xor_b32_e32 v54, 16, v52
	v_xor_b32_e32 v70, 8, v52
	;; [unrolled: 1-line block ×5, first 2 shown]
	s_cbranch_execz .LBB62_44
; %bb.42:
	v_mov_b32_e32 v41, v66
	s_branch .LBB62_74
.LBB62_43:
                                        ; implicit-def: $vgpr52
                                        ; implicit-def: $vgpr53
                                        ; implicit-def: $vgpr54
                                        ; implicit-def: $vgpr70
                                        ; implicit-def: $vgpr71
                                        ; implicit-def: $vgpr72
                                        ; implicit-def: $vgpr73
.LBB62_44:
	v_mul_lo_u32 v2, s53, v69
	s_mul_hi_i32 s11, s46, s53
	s_mul_i32 s10, s46, s53
	s_mov_b64 s[22:23], src_private_base
	s_sub_i32 s40, s52, s46
	s_lshl_b64 s[10:11], s[10:11], 2
	v_ashrrev_i32_e32 v3, 31, v2
	s_add_u32 s22, s55, s10
	v_lshlrev_b64 v[2:3], 2, v[2:3]
	s_addc_u32 s41, s54, s11
	v_cmp_gt_u32_e64 s[14:15], 32, v69
	v_or_b32_e32 v10, 0x60, v64
	v_cmp_gt_i32_e64 s[12:13], s40, v69
	s_and_saveexec_b64 s[10:11], s[14:15]
	s_cbranch_execz .LBB62_46
; %bb.45:
	v_mov_b32_e32 v4, 0
	buffer_store_dword v4, off, s[0:3], 0
	buffer_store_dword v4, off, s[0:3], 0 offset:4
	buffer_store_dword v4, off, s[0:3], 0 offset:8
	;; [unrolled: 1-line block ×3, first 2 shown]
	v_mov_b32_e32 v4, s41
	v_add_co_u32_e32 v5, vcc, s22, v2
	v_addc_co_u32_e32 v4, vcc, v4, v3, vcc
	v_add_co_u32_e32 v6, vcc, 0x60, v5
	v_addc_co_u32_e32 v4, vcc, 0, v4, vcc
	v_mov_b32_e32 v5, s23
	v_cndmask_b32_e64 v5, v5, v4, s[12:13]
	v_mov_b32_e32 v4, 0
	v_cndmask_b32_e64 v4, v4, v6, s[12:13]
	flat_load_dwordx4 v[4:7], v[4:5]
	s_waitcnt vmcnt(0) lgkmcnt(0)
	ds_write_b128 v10, v[4:7]
.LBB62_46:
	s_or_b64 exec, exec, s[10:11]
	v_lshl_add_u32 v48, v1, 4, v68
	v_mul_lo_u32 v4, s53, v48
	v_and_b32_e32 v8, 4, v59
	v_lshlrev_b32_e32 v5, 7, v48
	v_lshlrev_b32_e32 v50, 2, v8
	v_or3_b32 v11, v5, v50, 64
	v_ashrrev_i32_e32 v5, 31, v4
	v_lshlrev_b64 v[4:5], 2, v[4:5]
	s_mov_b64 s[24:25], src_private_base
	v_cmp_gt_u32_e64 s[16:17], 32, v48
	v_cmp_gt_i32_e64 s[20:21], s40, v48
	s_and_saveexec_b64 s[10:11], s[16:17]
	s_cbranch_execz .LBB62_48
; %bb.47:
	v_mov_b32_e32 v6, 0
	buffer_store_dword v6, off, s[0:3], 0
	buffer_store_dword v6, off, s[0:3], 0 offset:4
	buffer_store_dword v6, off, s[0:3], 0 offset:8
	;; [unrolled: 1-line block ×3, first 2 shown]
	v_mov_b32_e32 v6, s41
	v_add_co_u32_e32 v7, vcc, s22, v4
	v_addc_co_u32_e32 v6, vcc, v6, v5, vcc
	v_add_co_u32_e32 v7, vcc, v7, v50
	v_addc_co_u32_e32 v6, vcc, 0, v6, vcc
	;; [unrolled: 2-line block ×3, first 2 shown]
	v_mov_b32_e32 v7, s25
	v_cndmask_b32_e64 v7, v7, v6, s[20:21]
	v_mov_b32_e32 v6, 0
	v_cndmask_b32_e64 v6, v6, v9, s[20:21]
	flat_load_dwordx4 v[12:15], v[6:7]
	s_waitcnt vmcnt(0) lgkmcnt(0)
	ds_write_b128 v11, v[12:15]
.LBB62_48:
	s_or_b64 exec, exec, s[10:11]
	v_lshl_add_u32 v49, v1, 3, v67
	v_mul_lo_u32 v6, s53, v49
	v_and_b32_e32 v7, 12, v59
	v_lshlrev_b32_e32 v51, 2, v7
	s_mov_b64 s[36:37], src_private_base
	v_ashrrev_i32_e32 v7, 31, v6
	v_lshlrev_b64 v[6:7], 2, v[6:7]
	v_cmp_gt_u32_e64 s[18:19], 32, v49
	v_mov_b32_e32 v9, 0
	v_lshl_or_b32 v12, v49, 7, v51
	v_cmp_gt_i32_e64 s[10:11], s40, v49
	s_and_saveexec_b64 s[38:39], s[18:19]
	s_cbranch_execz .LBB62_50
; %bb.49:
	v_mov_b32_e32 v13, s41
	v_add_co_u32_e32 v14, vcc, s22, v6
	v_addc_co_u32_e32 v13, vcc, v13, v7, vcc
	v_add_co_u32_e32 v15, vcc, v14, v51
	v_addc_co_u32_e32 v13, vcc, 0, v13, vcc
	v_mov_b32_e32 v14, s37
	v_cndmask_b32_e64 v14, v14, v13, s[10:11]
	v_mov_b32_e32 v13, 0
	buffer_store_dword v9, off, s[0:3], 0
	buffer_store_dword v9, off, s[0:3], 0 offset:4
	buffer_store_dword v9, off, s[0:3], 0 offset:8
	;; [unrolled: 1-line block ×3, first 2 shown]
	v_cndmask_b32_e64 v13, v13, v15, s[10:11]
	flat_load_dwordx4 v[13:16], v[13:14]
	s_waitcnt vmcnt(0) lgkmcnt(0)
	ds_write_b128 v12, v[13:16]
.LBB62_50:
	s_or_b64 exec, exec, s[38:39]
	s_waitcnt lgkmcnt(0)
	s_barrier
	ds_read_b128 v[13:16], v64
	ds_read_b128 v[17:20], v62
	s_waitcnt lgkmcnt(0)
	;;#ASMSTART
	v_dot2_f32_f16 v9, v13, v17, v9
	;;#ASMEND
	;;#ASMSTART
	v_dot2_f32_f16 v9, v14, v18, v9
	;;#ASMEND
	;;#ASMSTART
	v_dot2_f32_f16 v9, v15, v19, v9
	;;#ASMEND
	;;#ASMSTART
	v_dot2_f32_f16 v9, v16, v20, v9
	;;#ASMEND
	ds_read_b128 v[13:16], v64 offset:16
	ds_read_b128 v[17:20], v62 offset:16
	s_waitcnt lgkmcnt(0)
	;;#ASMSTART
	v_dot2_f32_f16 v9, v13, v17, v9
	;;#ASMEND
	;;#ASMSTART
	v_dot2_f32_f16 v9, v14, v18, v9
	;;#ASMEND
	;;#ASMSTART
	v_dot2_f32_f16 v9, v15, v19, v9
	;;#ASMEND
	;;#ASMSTART
	v_dot2_f32_f16 v9, v16, v20, v9
	;;#ASMEND
	ds_read_b128 v[13:16], v64 offset:32
	ds_read_b128 v[17:20], v62 offset:32
	;; [unrolled: 15-line block ×6, first 2 shown]
	s_waitcnt lgkmcnt(0)
	;;#ASMSTART
	v_dot2_f32_f16 v9, v13, v17, v9
	;;#ASMEND
	;;#ASMSTART
	v_dot2_f32_f16 v9, v14, v18, v9
	;;#ASMEND
	;;#ASMSTART
	v_dot2_f32_f16 v9, v15, v19, v9
	;;#ASMEND
	;;#ASMSTART
	v_dot2_f32_f16 v9, v16, v20, v9
	;;#ASMEND
	s_barrier
	s_and_saveexec_b64 s[38:39], s[14:15]
	s_cbranch_execnz .LBB62_57
; %bb.51:
	s_or_b64 exec, exec, s[38:39]
	s_and_saveexec_b64 s[12:13], s[16:17]
	s_cbranch_execnz .LBB62_58
.LBB62_52:
	s_or_b64 exec, exec, s[12:13]
	s_and_saveexec_b64 s[12:13], s[18:19]
	s_cbranch_execz .LBB62_54
.LBB62_53:
	v_mov_b32_e32 v2, 0
	buffer_store_dword v2, off, s[0:3], 0
	buffer_store_dword v2, off, s[0:3], 0 offset:4
	buffer_store_dword v2, off, s[0:3], 0 offset:8
	;; [unrolled: 1-line block ×3, first 2 shown]
	v_mov_b32_e32 v2, s41
	v_add_co_u32_e32 v3, vcc, s22, v6
	v_addc_co_u32_e32 v2, vcc, v2, v7, vcc
	v_add_co_u32_e32 v3, vcc, v3, v51
	v_addc_co_u32_e32 v2, vcc, 0, v2, vcc
	;; [unrolled: 2-line block ×3, first 2 shown]
	v_mov_b32_e32 v3, s37
	v_cndmask_b32_e64 v3, v3, v2, s[10:11]
	v_mov_b32_e32 v2, 0
	v_cndmask_b32_e64 v2, v2, v4, s[10:11]
	flat_load_dwordx4 v[2:5], v[2:3]
	s_waitcnt vmcnt(0) lgkmcnt(0)
	ds_write_b128 v12, v[2:5]
.LBB62_54:
	s_or_b64 exec, exec, s[12:13]
	s_waitcnt lgkmcnt(0)
	s_barrier
	ds_read_b128 v[2:5], v64
	ds_read_b128 v[10:13], v62 offset:112
	v_cmp_gt_i32_e32 vcc, s40, v0
	s_waitcnt lgkmcnt(0)
	;;#ASMSTART
	v_dot2_f32_f16 v9, v2, v10, v9
	;;#ASMEND
	;;#ASMSTART
	v_dot2_f32_f16 v9, v3, v11, v9
	;;#ASMEND
	;;#ASMSTART
	v_dot2_f32_f16 v9, v4, v12, v9
	;;#ASMEND
	;;#ASMSTART
	v_dot2_f32_f16 v9, v5, v13, v9
	;;#ASMEND
	ds_read_b128 v[2:5], v64 offset:16
	ds_read_b128 v[10:13], v62 offset:128
	s_waitcnt lgkmcnt(0)
	;;#ASMSTART
	v_dot2_f32_f16 v9, v2, v10, v9
	;;#ASMEND
	;;#ASMSTART
	v_dot2_f32_f16 v9, v3, v11, v9
	;;#ASMEND
	;;#ASMSTART
	v_dot2_f32_f16 v9, v4, v12, v9
	;;#ASMEND
	;;#ASMSTART
	v_dot2_f32_f16 v9, v5, v13, v9
	;;#ASMEND
	ds_read_b128 v[2:5], v64 offset:32
	ds_read_b128 v[10:13], v62 offset:144
	;; [unrolled: 15-line block ×6, first 2 shown]
	s_waitcnt lgkmcnt(0)
	;;#ASMSTART
	v_dot2_f32_f16 v9, v2, v10, v9
	;;#ASMEND
	;;#ASMSTART
	v_dot2_f32_f16 v9, v3, v11, v9
	;;#ASMEND
	;;#ASMSTART
	v_dot2_f32_f16 v9, v4, v12, v9
	;;#ASMEND
	v_mov_b32_e32 v2, v66
	;;#ASMSTART
	v_dot2_f32_f16 v9, v5, v13, v9
	;;#ASMEND
	s_and_saveexec_b64 s[12:13], vcc
	s_cbranch_execz .LBB62_61
; %bb.55:
	s_cmp_eq_u64 s[34:35], 0
	s_cbranch_scc1 .LBB62_59
; %bb.56:
	v_mul_hi_u32 v2, s28, v56
	v_mov_b32_e32 v4, s35
	v_add_u32_e32 v2, v56, v2
	v_lshrrev_b32_e32 v2, s29, v2
	v_mul_lo_u32 v2, v2, s30
	v_sub_u32_e32 v2, v56, v2
	v_mul_lo_u32 v2, v2, s47
	v_add3_u32 v2, v2, v0, s46
	v_ashrrev_i32_e32 v3, 31, v2
	v_lshlrev_b64 v[2:3], 1, v[2:3]
	v_add_co_u32_e32 v2, vcc, s34, v2
	v_addc_co_u32_e32 v3, vcc, v4, v3, vcc
	global_load_ushort v2, v[2:3], off
	s_waitcnt vmcnt(0)
	v_cvt_f32_f16_e32 v2, v2
	v_mul_f32_e32 v2, v61, v2
	s_branch .LBB62_60
.LBB62_57:
	v_mov_b32_e32 v13, 0
	buffer_store_dword v13, off, s[0:3], 0
	buffer_store_dword v13, off, s[0:3], 0 offset:4
	buffer_store_dword v13, off, s[0:3], 0 offset:8
	;; [unrolled: 1-line block ×3, first 2 shown]
	v_mov_b32_e32 v13, s41
	v_add_co_u32_e32 v2, vcc, s22, v2
	v_addc_co_u32_e32 v3, vcc, v13, v3, vcc
	v_add_co_u32_e32 v2, vcc, 0xd0, v2
	v_addc_co_u32_e32 v3, vcc, 0, v3, vcc
	v_mov_b32_e32 v13, s23
	v_cndmask_b32_e64 v3, v13, v3, s[12:13]
	v_mov_b32_e32 v13, 0
	v_cndmask_b32_e64 v2, v13, v2, s[12:13]
	flat_load_dwordx4 v[13:16], v[2:3]
	s_waitcnt vmcnt(0) lgkmcnt(0)
	ds_write_b128 v10, v[13:16]
	s_or_b64 exec, exec, s[38:39]
	s_and_saveexec_b64 s[12:13], s[16:17]
	s_cbranch_execz .LBB62_52
.LBB62_58:
	v_mov_b32_e32 v2, 0
	buffer_store_dword v2, off, s[0:3], 0
	buffer_store_dword v2, off, s[0:3], 0 offset:4
	buffer_store_dword v2, off, s[0:3], 0 offset:8
	;; [unrolled: 1-line block ×3, first 2 shown]
	v_mov_b32_e32 v2, s41
	v_add_co_u32_e32 v3, vcc, s22, v4
	v_addc_co_u32_e32 v2, vcc, v2, v5, vcc
	v_add_co_u32_e32 v3, vcc, v3, v50
	v_addc_co_u32_e32 v2, vcc, 0, v2, vcc
	;; [unrolled: 2-line block ×3, first 2 shown]
	v_mov_b32_e32 v3, s25
	v_cndmask_b32_e64 v3, v3, v2, s[20:21]
	v_mov_b32_e32 v2, 0
	v_cndmask_b32_e64 v2, v2, v4, s[20:21]
	flat_load_dwordx4 v[2:5], v[2:3]
	s_waitcnt vmcnt(0) lgkmcnt(0)
	ds_write_b128 v11, v[2:5]
	s_or_b64 exec, exec, s[12:13]
	s_and_saveexec_b64 s[12:13], s[18:19]
	s_cbranch_execnz .LBB62_53
	s_branch .LBB62_54
.LBB62_59:
	v_mov_b32_e32 v2, 0
.LBB62_60:
	v_add_f32_e32 v9, v9, v2
	v_add_f32_e32 v2, 0x40051340, v9
	v_max_f32_e32 v3, v66, v66
	v_max_f32_e32 v2, v3, v2
.LBB62_61:
	s_or_b64 exec, exec, s[12:13]
	v_mbcnt_hi_u32_b32 v52, -1, v63
	v_and_b32_e32 v3, 0x60, v52
	v_add_u32_e32 v53, 32, v3
	v_xor_b32_e32 v54, 16, v52
	v_cmp_lt_i32_e32 vcc, v54, v53
	v_cndmask_b32_e32 v3, v52, v54, vcc
	v_lshlrev_b32_e32 v3, 2, v3
	ds_bpermute_b32 v3, v3, v2
	v_xor_b32_e32 v70, 8, v52
	v_cmp_lt_i32_e32 vcc, v70, v53
	v_cndmask_b32_e32 v4, v52, v70, vcc
	v_max_f32_e32 v2, v2, v2
	s_waitcnt lgkmcnt(0)
	v_max_f32_e32 v3, v3, v3
	v_lshlrev_b32_e32 v4, 2, v4
	v_max_f32_e32 v2, v2, v3
	ds_bpermute_b32 v3, v4, v2
	v_xor_b32_e32 v71, 4, v52
	v_cmp_lt_i32_e32 vcc, v71, v53
	v_cndmask_b32_e32 v4, v52, v71, vcc
	v_lshlrev_b32_e32 v4, 2, v4
	s_waitcnt lgkmcnt(0)
	v_max_f32_e32 v3, v3, v3
	v_max_f32_e32 v2, v2, v3
	ds_bpermute_b32 v3, v4, v2
	v_xor_b32_e32 v72, 2, v52
	v_cmp_lt_i32_e32 vcc, v72, v53
	v_cndmask_b32_e32 v4, v52, v72, vcc
	v_lshlrev_b32_e32 v4, 2, v4
	s_waitcnt lgkmcnt(0)
	v_max_f32_e32 v3, v3, v3
	;; [unrolled: 8-line block ×3, first 2 shown]
	v_max_f32_e32 v2, v2, v3
	ds_bpermute_b32 v3, v4, v2
	s_mov_b32 s12, 0x3fb8aa3b
	s_waitcnt lgkmcnt(0)
	s_barrier
	v_max_f32_e32 v3, v3, v3
	v_max_f32_e32 v41, v2, v3
	v_sub_f32_e32 v2, v9, v41
	v_mul_f32_e32 v3, 0x3fb8aa3b, v2
	v_fma_f32 v4, v2, s12, -v3
	v_rndne_f32_e32 v5, v3
	v_fmac_f32_e32 v4, 0x32a5705f, v2
	v_sub_f32_e32 v3, v3, v5
	v_add_f32_e32 v3, v3, v4
	v_exp_f32_e32 v3, v3
	v_cvt_i32_f32_e32 v4, v5
	s_mov_b32 s12, 0xc2ce8ed0
	v_cmp_ngt_f32_e32 vcc, s12, v2
	s_mov_b32 s12, 0x42b17218
	v_ldexp_f32 v3, v3, v4
	v_cndmask_b32_e32 v3, 0, v3, vcc
	v_mov_b32_e32 v4, 0x7f800000
	v_cmp_nlt_f32_e32 vcc, s12, v2
	v_cndmask_b32_e32 v2, v4, v3, vcc
	v_cmp_gt_u32_e32 vcc, s40, v0
	v_cndmask_b32_e32 v61, 0, v2, vcc
	v_cvt_f16_f32_e32 v2, v61
	v_mov_b32_e32 v3, 0x1740
	v_lshl_add_u32 v62, v1, 6, v3
	v_lshl_add_u32 v3, v0, 1, v62
	ds_write_b16 v3, v2
	v_mul_lo_u32 v2, s8, v48
	v_mul_u32_u24_e32 v3, 0xe0, v48
	v_lshl_or_b32 v3, v8, 2, v3
	s_mul_hi_i32 s15, s46, s8
	s_mul_i32 s14, s46, s8
	s_mov_b64 s[16:17], src_private_base
	v_add_u32_e32 v63, 0xc0, v3
	v_ashrrev_i32_e32 v3, 31, v2
	s_lshl_b64 s[14:15], s[14:15], 2
	s_add_u32 s16, s42, s14
	v_lshlrev_b64 v[42:43], 2, v[2:3]
	v_cmp_gt_u32_e64 s[12:13], 16, v48
	s_addc_u32 s24, s43, s15
	s_and_saveexec_b64 s[14:15], s[12:13]
	s_cbranch_execz .LBB62_63
; %bb.62:
	v_mov_b32_e32 v2, 0
	buffer_store_dword v2, off, s[0:3], 0
	buffer_store_dword v2, off, s[0:3], 0 offset:4
	buffer_store_dword v2, off, s[0:3], 0 offset:8
	;; [unrolled: 1-line block ×3, first 2 shown]
	v_mov_b32_e32 v2, s24
	v_add_co_u32_e32 v3, vcc, s16, v42
	v_addc_co_u32_e32 v2, vcc, v2, v43, vcc
	v_add_co_u32_e32 v3, vcc, v3, v50
	v_addc_co_u32_e32 v2, vcc, 0, v2, vcc
	;; [unrolled: 2-line block ×3, first 2 shown]
	v_mov_b32_e32 v3, s17
	v_cndmask_b32_e64 v3, v3, v2, s[20:21]
	v_mov_b32_e32 v2, 0
	v_cndmask_b32_e64 v2, v2, v4, s[20:21]
	flat_load_dwordx4 v[2:5], v[2:3]
	s_waitcnt vmcnt(0) lgkmcnt(0)
	ds_write_b128 v63, v[2:5]
.LBB62_63:
	s_or_b64 exec, exec, s[14:15]
	v_mul_lo_u32 v2, s8, v49
	v_mul_u32_u24_e32 v4, 0xe0, v49
	s_movk_i32 s18, 0x80
	s_mov_b64 s[20:21], src_private_base
	v_ashrrev_i32_e32 v3, 31, v2
	v_lshlrev_b64 v[46:47], 2, v[2:3]
	v_cmp_gt_u32_e64 s[14:15], 16, v49
	v_add3_u32 v64, v4, v51, s18
	s_and_saveexec_b64 s[18:19], s[14:15]
	s_cbranch_execz .LBB62_65
; %bb.64:
	v_mov_b32_e32 v2, 0
	buffer_store_dword v2, off, s[0:3], 0
	buffer_store_dword v2, off, s[0:3], 0 offset:4
	buffer_store_dword v2, off, s[0:3], 0 offset:8
	;; [unrolled: 1-line block ×3, first 2 shown]
	v_mov_b32_e32 v2, s24
	v_add_co_u32_e32 v3, vcc, s16, v46
	v_addc_co_u32_e32 v2, vcc, v2, v47, vcc
	v_add_co_u32_e32 v3, vcc, v3, v51
	v_addc_co_u32_e32 v2, vcc, 0, v2, vcc
	v_add_co_u32_e32 v4, vcc, 0x80, v3
	v_addc_co_u32_e32 v2, vcc, 0, v2, vcc
	v_mov_b32_e32 v3, s21
	v_cndmask_b32_e64 v3, v3, v2, s[10:11]
	v_mov_b32_e32 v2, 0
	v_cndmask_b32_e64 v2, v2, v4, s[10:11]
	flat_load_dwordx4 v[2:5], v[2:3]
	s_waitcnt vmcnt(0) lgkmcnt(0)
	ds_write_b128 v64, v[2:5]
.LBB62_65:
	s_or_b64 exec, exec, s[18:19]
	v_lshl_add_u32 v60, v1, 2, v60
	v_mul_lo_u32 v2, s8, v60
	v_and_b32_e32 v3, 28, v59
	s_mov_b64 s[18:19], src_private_base
	v_lshlrev_b32_e32 v67, 2, v3
	v_ashrrev_i32_e32 v3, 31, v2
	s_movk_i32 s18, 0xe0
	v_lshlrev_b64 v[44:45], 2, v[2:3]
	v_cmp_gt_u32_e64 s[10:11], 16, v60
	v_mov_b32_e32 v1, 0
	v_mad_u32_u24 v59, v60, s18, v67
	s_and_saveexec_b64 s[22:23], s[10:11]
	s_cbranch_execz .LBB62_67
; %bb.66:
	buffer_store_dword v1, off, s[0:3], 0
	buffer_store_dword v1, off, s[0:3], 0 offset:4
	buffer_store_dword v1, off, s[0:3], 0 offset:8
	;; [unrolled: 1-line block ×3, first 2 shown]
	v_mov_b32_e32 v1, s24
	v_add_co_u32_e32 v2, vcc, s16, v44
	v_addc_co_u32_e32 v1, vcc, v1, v45, vcc
	v_add_co_u32_e32 v3, vcc, v2, v67
	v_addc_co_u32_e32 v1, vcc, 0, v1, vcc
	v_mov_b32_e32 v2, s19
	v_cmp_gt_i32_e32 vcc, s40, v60
	v_cndmask_b32_e32 v2, v2, v1, vcc
	v_mov_b32_e32 v1, 0
	v_cndmask_b32_e32 v1, v1, v3, vcc
	flat_load_dwordx4 v[1:4], v[1:2]
	s_waitcnt vmcnt(0) lgkmcnt(0)
	ds_write_b128 v59, v[1:4]
.LBB62_67:
	s_or_b64 exec, exec, s[22:23]
	v_sub_f32_e32 v1, v66, v41
	s_mov_b32 s16, 0x3fb8aa3b
	v_mul_f32_e32 v2, 0x3fb8aa3b, v1
	v_fma_f32 v3, v1, s16, -v2
	v_rndne_f32_e32 v4, v2
	v_fmac_f32_e32 v3, 0x32a5705f, v1
	v_sub_f32_e32 v2, v2, v4
	v_add_f32_e32 v2, v2, v3
	v_exp_f32_e32 v2, v2
	v_cvt_i32_f32_e32 v3, v4
	s_waitcnt lgkmcnt(0)
	s_barrier
	ds_read2_b64 v[21:24], v57 offset1:28
	ds_read_b128 v[37:40], v62
	ds_read_b128 v[33:36], v62 offset:16
	ds_read2_b64 v[29:32], v57 offset0:56 offset1:84
	ds_read2_b64 v[25:28], v57 offset0:112 offset1:140
	;; [unrolled: 1-line block ×4, first 2 shown]
	s_mov_b32 s16, 0xc2ce8ed0
	v_ldexp_f32 v2, v2, v3
	v_cmp_ngt_f32_e32 vcc, s16, v1
	s_mov_b32 s16, 0x42b17218
	v_cndmask_b32_e32 v2, 0, v2, vcc
	v_mov_b32_e32 v3, 0x7f800000
	v_cmp_nlt_f32_e32 vcc, s16, v1
	v_add_u32_e32 v1, 0x800, v57
	v_cndmask_b32_e32 v66, v3, v2, vcc
	ds_read2_b64 v[13:16], v1 offset0:24 offset1:52
	ds_read2_b64 v[5:8], v1 offset0:80 offset1:108
	;; [unrolled: 1-line block ×3, first 2 shown]
	s_or_b32 s16, s46, 16
	v_cvt_f16_f32_e32 v68, v66
	s_mul_hi_i32 s23, s16, s8
	s_mul_i32 s22, s16, s8
	s_lshl_b64 s[22:23], s[22:23], 2
	s_add_u32 s8, s42, s22
	s_addc_u32 s16, s43, s23
	s_add_i32 s40, s40, -16
	s_waitcnt lgkmcnt(0)
	s_barrier
	s_and_saveexec_b64 s[22:23], s[12:13]
	s_cbranch_execz .LBB62_69
; %bb.68:
	v_mov_b32_e32 v69, 0
	buffer_store_dword v69, off, s[0:3], 0
	buffer_store_dword v69, off, s[0:3], 0 offset:4
	buffer_store_dword v69, off, s[0:3], 0 offset:8
	;; [unrolled: 1-line block ×3, first 2 shown]
	v_mov_b32_e32 v69, s16
	v_add_co_u32_e32 v42, vcc, s8, v42
	v_addc_co_u32_e32 v43, vcc, v69, v43, vcc
	v_add_co_u32_e32 v42, vcc, v42, v50
	v_addc_co_u32_e32 v43, vcc, 0, v43, vcc
	v_add_co_u32_e32 v42, vcc, 0xc0, v42
	v_addc_co_u32_e32 v43, vcc, 0, v43, vcc
	v_mov_b32_e32 v50, s17
	v_cmp_gt_i32_e32 vcc, s40, v48
	v_mov_b32_e32 v48, 0
	v_cndmask_b32_e32 v43, v50, v43, vcc
	v_cndmask_b32_e32 v42, v48, v42, vcc
	flat_load_dwordx4 v[74:77], v[42:43]
	s_waitcnt vmcnt(0) lgkmcnt(0)
	ds_write_b128 v63, v[74:77]
.LBB62_69:
	s_or_b64 exec, exec, s[22:23]
	s_mov_b32 s17, 0x10001
	s_and_saveexec_b64 s[12:13], s[14:15]
	s_cbranch_execz .LBB62_71
; %bb.70:
	v_mov_b32_e32 v42, 0
	buffer_store_dword v42, off, s[0:3], 0
	buffer_store_dword v42, off, s[0:3], 0 offset:4
	buffer_store_dword v42, off, s[0:3], 0 offset:8
	;; [unrolled: 1-line block ×3, first 2 shown]
	v_mov_b32_e32 v42, s16
	v_add_co_u32_e32 v43, vcc, s8, v46
	v_addc_co_u32_e32 v42, vcc, v42, v47, vcc
	v_add_co_u32_e32 v43, vcc, v43, v51
	v_addc_co_u32_e32 v42, vcc, 0, v42, vcc
	v_add_co_u32_e32 v46, vcc, 0x80, v43
	v_addc_co_u32_e32 v42, vcc, 0, v42, vcc
	v_mov_b32_e32 v43, s21
	v_cmp_gt_i32_e32 vcc, s40, v49
	v_cndmask_b32_e32 v43, v43, v42, vcc
	v_mov_b32_e32 v42, 0
	v_cndmask_b32_e32 v42, v42, v46, vcc
	flat_load_dwordx4 v[46:49], v[42:43]
	s_waitcnt vmcnt(0) lgkmcnt(0)
	ds_write_b128 v64, v[46:49]
.LBB62_71:
	s_or_b64 exec, exec, s[12:13]
	v_mul_u32_u24_e32 v51, 0x10001, v68
	v_mul_u32_u24_sdwa v64, v37, s17 dst_sel:DWORD dst_unused:UNUSED_PAD src0_sel:WORD_0 src1_sel:DWORD
	v_mul_u32_u24_sdwa v63, v37, s17 dst_sel:DWORD dst_unused:UNUSED_PAD src0_sel:WORD_1 src1_sel:DWORD
	v_mul_u32_u24_sdwa v50, v38, s17 dst_sel:DWORD dst_unused:UNUSED_PAD src0_sel:WORD_0 src1_sel:DWORD
	v_mul_u32_u24_sdwa v49, v38, s17 dst_sel:DWORD dst_unused:UNUSED_PAD src0_sel:WORD_1 src1_sel:DWORD
	;; [unrolled: 2-line block ×8, first 2 shown]
	s_and_saveexec_b64 s[12:13], s[10:11]
	s_cbranch_execz .LBB62_73
; %bb.72:
	v_mov_b32_e32 v36, 0
	buffer_store_dword v36, off, s[0:3], 0
	buffer_store_dword v36, off, s[0:3], 0 offset:4
	buffer_store_dword v36, off, s[0:3], 0 offset:8
	;; [unrolled: 1-line block ×3, first 2 shown]
	v_mov_b32_e32 v36, s16
	v_add_co_u32_e32 v44, vcc, s8, v44
	v_addc_co_u32_e32 v36, vcc, v36, v45, vcc
	v_add_co_u32_e32 v44, vcc, v44, v67
	v_addc_co_u32_e32 v36, vcc, 0, v36, vcc
	v_mov_b32_e32 v45, s19
	v_cmp_gt_i32_e32 vcc, s40, v60
	v_cndmask_b32_e32 v45, v45, v36, vcc
	v_mov_b32_e32 v36, 0
	v_cndmask_b32_e32 v44, v36, v44, vcc
	flat_load_dwordx4 v[74:77], v[44:45]
	s_waitcnt vmcnt(0) lgkmcnt(0)
	ds_write_b128 v59, v[74:77]
.LBB62_73:
	s_or_b64 exec, exec, s[12:13]
	v_pk_mul_f16 v21, v21, v64
	v_pk_mul_f16 v22, v22, v64
	v_pk_fma_f16 v21, v58, v51, v21
	v_pk_fma_f16 v22, v55, v51, v22
	;; [unrolled: 1-line block ×32, first 2 shown]
	s_waitcnt lgkmcnt(0)
	s_barrier
	ds_read_b128 v[1:4], v62 offset:32
	ds_read2_b64 v[5:8], v57 offset1:28
	s_mov_b32 s8, 0x10001
	ds_read_b128 v[9:12], v62 offset:48
	v_fmac_f32_e32 v61, v65, v66
	s_waitcnt lgkmcnt(2)
	v_mul_u32_u24_sdwa v15, v1, s8 dst_sel:DWORD dst_unused:UNUSED_PAD src0_sel:WORD_0 src1_sel:DWORD
	s_waitcnt lgkmcnt(1)
	v_pk_fma_f16 v5, v5, v15, v13
	v_pk_fma_f16 v6, v6, v15, v14
	ds_read2_b64 v[13:16], v57 offset0:56 offset1:84
	v_mul_u32_u24_sdwa v1, v1, s8 dst_sel:DWORD dst_unused:UNUSED_PAD src0_sel:WORD_1 src1_sel:DWORD
	v_pk_fma_f16 v5, v7, v1, v5
	v_pk_fma_f16 v1, v8, v1, v6
	v_mul_u32_u24_sdwa v6, v2, s8 dst_sel:DWORD dst_unused:UNUSED_PAD src0_sel:WORD_0 src1_sel:DWORD
	s_waitcnt lgkmcnt(0)
	v_pk_fma_f16 v13, v13, v6, v5
	v_pk_fma_f16 v1, v14, v6, v1
	ds_read2_b64 v[5:8], v57 offset0:112 offset1:140
	v_mul_u32_u24_sdwa v2, v2, s8 dst_sel:DWORD dst_unused:UNUSED_PAD src0_sel:WORD_1 src1_sel:DWORD
	v_pk_fma_f16 v13, v15, v2, v13
	v_pk_fma_f16 v1, v16, v2, v1
	v_mul_u32_u24_sdwa v2, v3, s8 dst_sel:DWORD dst_unused:UNUSED_PAD src0_sel:WORD_0 src1_sel:DWORD
	s_waitcnt lgkmcnt(0)
	v_pk_fma_f16 v5, v5, v2, v13
	ds_read2_b64 v[13:16], v57 offset0:168 offset1:196
	v_pk_fma_f16 v1, v6, v2, v1
	v_mul_u32_u24_sdwa v2, v3, s8 dst_sel:DWORD dst_unused:UNUSED_PAD src0_sel:WORD_1 src1_sel:DWORD
	v_pk_fma_f16 v3, v7, v2, v5
	v_pk_fma_f16 v1, v8, v2, v1
	ds_read2_b64 v[5:8], v57 offset0:224 offset1:252
	v_mul_u32_u24_sdwa v2, v4, s8 dst_sel:DWORD dst_unused:UNUSED_PAD src0_sel:WORD_0 src1_sel:DWORD
	s_waitcnt lgkmcnt(1)
	v_pk_fma_f16 v3, v13, v2, v3
	v_pk_fma_f16 v1, v14, v2, v1
	v_mul_u32_u24_sdwa v2, v4, s8 dst_sel:DWORD dst_unused:UNUSED_PAD src0_sel:WORD_1 src1_sel:DWORD
	v_pk_fma_f16 v3, v15, v2, v3
	v_pk_fma_f16 v1, v16, v2, v1
	v_mul_u32_u24_sdwa v2, v9, s8 dst_sel:DWORD dst_unused:UNUSED_PAD src0_sel:WORD_0 src1_sel:DWORD
	v_add_u32_e32 v13, 0x800, v57
	s_waitcnt lgkmcnt(0)
	v_pk_fma_f16 v5, v5, v2, v3
	v_pk_fma_f16 v6, v6, v2, v1
	ds_read2_b64 v[1:4], v13 offset0:24 offset1:52
	v_mul_u32_u24_sdwa v9, v9, s8 dst_sel:DWORD dst_unused:UNUSED_PAD src0_sel:WORD_1 src1_sel:DWORD
	v_pk_fma_f16 v5, v7, v9, v5
	v_pk_fma_f16 v6, v8, v9, v6
	v_mul_u32_u24_sdwa v7, v10, s8 dst_sel:DWORD dst_unused:UNUSED_PAD src0_sel:WORD_0 src1_sel:DWORD
	s_waitcnt lgkmcnt(0)
	v_pk_fma_f16 v1, v1, v7, v5
	v_pk_fma_f16 v2, v2, v7, v6
	ds_read2_b64 v[5:8], v13 offset0:80 offset1:108
	v_mul_u32_u24_sdwa v9, v10, s8 dst_sel:DWORD dst_unused:UNUSED_PAD src0_sel:WORD_1 src1_sel:DWORD
	v_pk_fma_f16 v1, v3, v9, v1
	v_pk_fma_f16 v2, v4, v9, v2
	v_mul_u32_u24_sdwa v3, v11, s8 dst_sel:DWORD dst_unused:UNUSED_PAD src0_sel:WORD_0 src1_sel:DWORD
	;; [unrolled: 8-line block ×3, first 2 shown]
	s_waitcnt lgkmcnt(0)
	v_pk_fma_f16 v1, v1, v7, v5
	v_pk_fma_f16 v2, v2, v7, v6
	v_mul_u32_u24_sdwa v5, v12, s8 dst_sel:DWORD dst_unused:UNUSED_PAD src0_sel:WORD_1 src1_sel:DWORD
	v_pk_fma_f16 v58, v3, v5, v1
	v_pk_fma_f16 v55, v4, v5, v2
	v_mov_b32_e32 v65, v61
	s_barrier
.LBB62_74:
	v_cmp_lt_i32_e32 vcc, v54, v53
	v_cndmask_b32_e32 v1, v52, v54, vcc
	v_lshlrev_b32_e32 v1, 2, v1
	ds_bpermute_b32 v1, v1, v65
	v_cmp_lt_i32_e32 vcc, v70, v53
	v_cndmask_b32_e32 v2, v52, v70, vcc
	v_lshlrev_b32_e32 v2, 2, v2
	v_cmp_lt_i32_e32 vcc, v71, v53
	s_waitcnt lgkmcnt(0)
	v_add_f32_e32 v1, v65, v1
	ds_bpermute_b32 v2, v2, v1
	v_cndmask_b32_e32 v3, v52, v71, vcc
	v_lshlrev_b32_e32 v3, 2, v3
	v_cmp_lt_i32_e32 vcc, v72, v53
	s_cmp_eq_u64 s[44:45], 0
	s_waitcnt lgkmcnt(0)
	v_add_f32_e32 v1, v1, v2
	ds_bpermute_b32 v2, v3, v1
	v_cndmask_b32_e32 v3, v52, v72, vcc
	v_lshlrev_b32_e32 v3, 2, v3
	v_cmp_lt_i32_e32 vcc, v73, v53
	s_cselect_b64 s[10:11], -1, 0
	s_waitcnt lgkmcnt(0)
	v_add_f32_e32 v1, v1, v2
	ds_bpermute_b32 v2, v3, v1
	v_cndmask_b32_e32 v3, v52, v73, vcc
	v_lshlrev_b32_e32 v3, 2, v3
	s_cmp_lg_u32 s9, 0
	s_cselect_b64 s[12:13], -1, 0
	s_waitcnt lgkmcnt(0)
	v_add_f32_e32 v1, v1, v2
	ds_bpermute_b32 v2, v3, v1
	s_or_b64 s[10:11], s[12:13], s[10:11]
	s_and_b64 vcc, exec, s[10:11]
	s_waitcnt lgkmcnt(0)
	v_add_f32_e32 v42, v1, v2
	s_cbranch_vccnz .LBB62_76
; %bb.75:
	s_lshl_b64 s[10:11], s[26:27], 2
	s_add_u32 s10, s44, s10
	s_addc_u32 s11, s45, s11
	v_mov_b32_e32 v1, 0
	global_load_dword v1, v1, s[10:11]
	v_max_f32_e32 v2, v41, v41
	s_mov_b32 s8, 0x3fb8aa3b
	s_mov_b32 s10, 0xc2ce8ed0
	s_waitcnt vmcnt(0)
	v_max_f32_e32 v3, v1, v1
	v_max_f32_e32 v2, v2, v3
	v_sub_f32_e32 v3, v41, v2
	v_sub_f32_e32 v1, v1, v2
	v_mul_f32_e32 v4, 0x3fb8aa3b, v3
	v_mul_f32_e32 v5, 0x3fb8aa3b, v1
	v_fma_f32 v6, v3, s8, -v4
	v_rndne_f32_e32 v7, v4
	v_fma_f32 v8, v1, s8, -v5
	v_rndne_f32_e32 v9, v5
	v_fmac_f32_e32 v6, 0x32a5705f, v3
	v_sub_f32_e32 v4, v4, v7
	v_fmac_f32_e32 v8, 0x32a5705f, v1
	v_sub_f32_e32 v5, v5, v9
	v_add_f32_e32 v4, v4, v6
	v_cvt_i32_f32_e32 v7, v7
	v_add_f32_e32 v5, v5, v8
	v_exp_f32_e32 v4, v4
	v_cvt_i32_f32_e32 v9, v9
	v_exp_f32_e32 v5, v5
	v_cmp_ngt_f32_e32 vcc, s10, v3
	v_ldexp_f32 v4, v4, v7
	s_mov_b32 s8, 0x42b17218
	v_ldexp_f32 v5, v5, v9
	v_cndmask_b32_e32 v4, 0, v4, vcc
	v_cmp_ngt_f32_e32 vcc, s10, v1
	v_mov_b32_e32 v6, 0x7f800000
	v_cndmask_b32_e32 v5, 0, v5, vcc
	v_cmp_nlt_f32_e32 vcc, s8, v3
	v_cndmask_b32_e32 v3, v6, v4, vcc
	v_cvt_f16_f32_e32 v4, v3
	v_cmp_nlt_f32_e32 vcc, s8, v1
	v_cndmask_b32_e32 v1, v6, v5, vcc
	v_fmac_f32_e32 v1, v42, v3
	v_mov_b32_e32 v42, v1
	v_mul_u32_u24_e32 v1, 0x10001, v4
	v_pk_mul_f16 v58, v58, v1
	v_pk_mul_f16 v55, v55, v1
	v_mov_b32_e32 v41, v2
.LBB62_76:
	v_cmp_gt_i32_e32 vcc, s30, v56
	s_and_saveexec_b64 s[10:11], vcc
	s_cbranch_execz .LBB62_81
; %bb.77:
	s_mul_i32 s33, s33, s30
	v_add_u32_e32 v1, s33, v56
	s_load_dword s4, s[4:5], 0xd4
	v_mul_lo_u32 v1, v1, s31
	s_waitcnt lgkmcnt(0)
	s_cmp_lg_u32 s4, 1
	v_add_u32_e32 v1, s26, v1
	v_mul_lo_u32 v1, s4, v1
	s_cselect_b64 s[4:5], -1, 0
	v_add_u32_e32 v1, s9, v1
	s_and_saveexec_b64 s[8:9], s[6:7]
	s_cbranch_execz .LBB62_79
; %bb.78:
	v_div_scale_f32 v2, s[6:7], v42, v42, 1.0
	v_div_scale_f32 v3, vcc, 1.0, v42, 1.0
	s_movk_i32 s6, 0x70
	v_cvt_f32_f16_e32 v8, v55
	v_cvt_f32_f16_sdwa v9, v58 dst_sel:DWORD dst_unused:UNUSED_PAD src0_sel:WORD_1
	v_cvt_f32_f16_e32 v10, v58
	v_mov_b32_e32 v11, s49
	v_rcp_f32_e32 v4, v2
	v_fma_f32 v5, -v2, v4, 1.0
	v_fmac_f32_e32 v4, v5, v4
	v_mul_f32_e32 v5, v3, v4
	v_fma_f32 v6, -v2, v5, v3
	v_fmac_f32_e32 v5, v6, v4
	v_fma_f32 v2, -v2, v5, v3
	v_div_fmas_f32 v4, v2, v4, v5
	v_mul_lo_u32 v2, v1, s6
	v_cvt_f32_f16_sdwa v5, v55 dst_sel:DWORD dst_unused:UNUSED_PAD src0_sel:WORD_1
	v_mov_b32_e32 v3, 0
	v_lshl_add_u32 v2, v0, 2, v2
	v_lshlrev_b64 v[6:7], 2, v[2:3]
	v_add_co_u32_e32 v6, vcc, s48, v6
	v_addc_co_u32_e32 v7, vcc, v11, v7, vcc
	v_div_fixup_f32 v2, v4, v42, 1.0
	v_cndmask_b32_e64 v2, v2, 1.0, s[4:5]
	v_mul_f32_e32 v5, v2, v5
	v_mul_f32_e32 v4, v2, v8
	;; [unrolled: 1-line block ×4, first 2 shown]
	global_store_dwordx4 v[6:7], v[2:5], off
.LBB62_79:
	s_or_b64 exec, exec, s[8:9]
	v_cmp_eq_u32_e32 vcc, 0, v0
	s_and_b64 s[4:5], vcc, s[4:5]
	s_and_b64 exec, exec, s[4:5]
	s_cbranch_execz .LBB62_81
; %bb.80:
	v_ashrrev_i32_e32 v2, 31, v1
	v_lshlrev_b64 v[0:1], 3, v[1:2]
	v_mov_b32_e32 v2, s51
	v_add_co_u32_e32 v0, vcc, s50, v0
	v_addc_co_u32_e32 v1, vcc, v2, v1, vcc
	global_store_dwordx2 v[0:1], v[41:42], off
.LBB62_81:
	s_endpgm
	.section	.rodata,"a",@progbits
	.p2align	6, 0x0
	.amdhsa_kernel _ZL15flash_attn_tileILi112ELi112ELi8ELi1ELb0EEvPKcS1_S1_S1_S1_PKiPfP15HIP_vector_typeIfLj2EEffffjfiS5_IjLj3EEiiiiiiiiiiiliiliiiiil
		.amdhsa_group_segment_fixed_size 6464
		.amdhsa_private_segment_fixed_size 32
		.amdhsa_kernarg_size 464
		.amdhsa_user_sgpr_count 8
		.amdhsa_user_sgpr_private_segment_buffer 1
		.amdhsa_user_sgpr_dispatch_ptr 0
		.amdhsa_user_sgpr_queue_ptr 0
		.amdhsa_user_sgpr_kernarg_segment_ptr 1
		.amdhsa_user_sgpr_dispatch_id 0
		.amdhsa_user_sgpr_flat_scratch_init 1
		.amdhsa_user_sgpr_private_segment_size 0
		.amdhsa_uses_dynamic_stack 0
		.amdhsa_system_sgpr_private_segment_wavefront_offset 1
		.amdhsa_system_sgpr_workgroup_id_x 1
		.amdhsa_system_sgpr_workgroup_id_y 1
		.amdhsa_system_sgpr_workgroup_id_z 1
		.amdhsa_system_sgpr_workgroup_info 0
		.amdhsa_system_vgpr_workitem_id 1
		.amdhsa_next_free_vgpr 95
		.amdhsa_next_free_sgpr 63
		.amdhsa_reserve_vcc 1
		.amdhsa_reserve_flat_scratch 1
		.amdhsa_float_round_mode_32 0
		.amdhsa_float_round_mode_16_64 0
		.amdhsa_float_denorm_mode_32 3
		.amdhsa_float_denorm_mode_16_64 3
		.amdhsa_dx10_clamp 1
		.amdhsa_ieee_mode 1
		.amdhsa_fp16_overflow 0
		.amdhsa_exception_fp_ieee_invalid_op 0
		.amdhsa_exception_fp_denorm_src 0
		.amdhsa_exception_fp_ieee_div_zero 0
		.amdhsa_exception_fp_ieee_overflow 0
		.amdhsa_exception_fp_ieee_underflow 0
		.amdhsa_exception_fp_ieee_inexact 0
		.amdhsa_exception_int_div_zero 0
	.end_amdhsa_kernel
	.section	.text._ZL15flash_attn_tileILi112ELi112ELi8ELi1ELb0EEvPKcS1_S1_S1_S1_PKiPfP15HIP_vector_typeIfLj2EEffffjfiS5_IjLj3EEiiiiiiiiiiiliiliiiiil,"axG",@progbits,_ZL15flash_attn_tileILi112ELi112ELi8ELi1ELb0EEvPKcS1_S1_S1_S1_PKiPfP15HIP_vector_typeIfLj2EEffffjfiS5_IjLj3EEiiiiiiiiiiiliiliiiiil,comdat
.Lfunc_end62:
	.size	_ZL15flash_attn_tileILi112ELi112ELi8ELi1ELb0EEvPKcS1_S1_S1_S1_PKiPfP15HIP_vector_typeIfLj2EEffffjfiS5_IjLj3EEiiiiiiiiiiiliiliiiiil, .Lfunc_end62-_ZL15flash_attn_tileILi112ELi112ELi8ELi1ELb0EEvPKcS1_S1_S1_S1_PKiPfP15HIP_vector_typeIfLj2EEffffjfiS5_IjLj3EEiiiiiiiiiiiliiliiiiil
                                        ; -- End function
	.set _ZL15flash_attn_tileILi112ELi112ELi8ELi1ELb0EEvPKcS1_S1_S1_S1_PKiPfP15HIP_vector_typeIfLj2EEffffjfiS5_IjLj3EEiiiiiiiiiiiliiliiiiil.num_vgpr, 95
	.set _ZL15flash_attn_tileILi112ELi112ELi8ELi1ELb0EEvPKcS1_S1_S1_S1_PKiPfP15HIP_vector_typeIfLj2EEffffjfiS5_IjLj3EEiiiiiiiiiiiliiliiiiil.num_agpr, 0
	.set _ZL15flash_attn_tileILi112ELi112ELi8ELi1ELb0EEvPKcS1_S1_S1_S1_PKiPfP15HIP_vector_typeIfLj2EEffffjfiS5_IjLj3EEiiiiiiiiiiiliiliiiiil.numbered_sgpr, 63
	.set _ZL15flash_attn_tileILi112ELi112ELi8ELi1ELb0EEvPKcS1_S1_S1_S1_PKiPfP15HIP_vector_typeIfLj2EEffffjfiS5_IjLj3EEiiiiiiiiiiiliiliiiiil.num_named_barrier, 0
	.set _ZL15flash_attn_tileILi112ELi112ELi8ELi1ELb0EEvPKcS1_S1_S1_S1_PKiPfP15HIP_vector_typeIfLj2EEffffjfiS5_IjLj3EEiiiiiiiiiiiliiliiiiil.private_seg_size, 32
	.set _ZL15flash_attn_tileILi112ELi112ELi8ELi1ELb0EEvPKcS1_S1_S1_S1_PKiPfP15HIP_vector_typeIfLj2EEffffjfiS5_IjLj3EEiiiiiiiiiiiliiliiiiil.uses_vcc, 1
	.set _ZL15flash_attn_tileILi112ELi112ELi8ELi1ELb0EEvPKcS1_S1_S1_S1_PKiPfP15HIP_vector_typeIfLj2EEffffjfiS5_IjLj3EEiiiiiiiiiiiliiliiiiil.uses_flat_scratch, 1
	.set _ZL15flash_attn_tileILi112ELi112ELi8ELi1ELb0EEvPKcS1_S1_S1_S1_PKiPfP15HIP_vector_typeIfLj2EEffffjfiS5_IjLj3EEiiiiiiiiiiiliiliiiiil.has_dyn_sized_stack, 0
	.set _ZL15flash_attn_tileILi112ELi112ELi8ELi1ELb0EEvPKcS1_S1_S1_S1_PKiPfP15HIP_vector_typeIfLj2EEffffjfiS5_IjLj3EEiiiiiiiiiiiliiliiiiil.has_recursion, 0
	.set _ZL15flash_attn_tileILi112ELi112ELi8ELi1ELb0EEvPKcS1_S1_S1_S1_PKiPfP15HIP_vector_typeIfLj2EEffffjfiS5_IjLj3EEiiiiiiiiiiiliiliiiiil.has_indirect_call, 0
	.section	.AMDGPU.csdata,"",@progbits
; Kernel info:
; codeLenInByte = 10656
; TotalNumSgprs: 69
; NumVgprs: 95
; ScratchSize: 32
; MemoryBound: 0
; FloatMode: 240
; IeeeMode: 1
; LDSByteSize: 6464 bytes/workgroup (compile time only)
; SGPRBlocks: 8
; VGPRBlocks: 23
; NumSGPRsForWavesPerEU: 69
; NumVGPRsForWavesPerEU: 95
; Occupancy: 2
; WaveLimiterHint : 1
; COMPUTE_PGM_RSRC2:SCRATCH_EN: 1
; COMPUTE_PGM_RSRC2:USER_SGPR: 8
; COMPUTE_PGM_RSRC2:TRAP_HANDLER: 0
; COMPUTE_PGM_RSRC2:TGID_X_EN: 1
; COMPUTE_PGM_RSRC2:TGID_Y_EN: 1
; COMPUTE_PGM_RSRC2:TGID_Z_EN: 1
; COMPUTE_PGM_RSRC2:TIDIG_COMP_CNT: 1
	.section	.text._ZL33flash_attn_stream_k_fixup_uniformILi112ELi8ELi1EEvPfPK15HIP_vector_typeIfLj2EEiiiiiiS1_IjLj3EES5_S5_,"axG",@progbits,_ZL33flash_attn_stream_k_fixup_uniformILi112ELi8ELi1EEvPfPK15HIP_vector_typeIfLj2EEiiiiiiS1_IjLj3EES5_S5_,comdat
	.globl	_ZL33flash_attn_stream_k_fixup_uniformILi112ELi8ELi1EEvPfPK15HIP_vector_typeIfLj2EEiiiiiiS1_IjLj3EES5_S5_ ; -- Begin function _ZL33flash_attn_stream_k_fixup_uniformILi112ELi8ELi1EEvPfPK15HIP_vector_typeIfLj2EEiiiiiiS1_IjLj3EES5_S5_
	.p2align	8
	.type	_ZL33flash_attn_stream_k_fixup_uniformILi112ELi8ELi1EEvPfPK15HIP_vector_typeIfLj2EEiiiiiiS1_IjLj3EES5_S5_,@function
_ZL33flash_attn_stream_k_fixup_uniformILi112ELi8ELi1EEvPfPK15HIP_vector_typeIfLj2EEiiiiiiS1_IjLj3EES5_S5_: ; @_ZL33flash_attn_stream_k_fixup_uniformILi112ELi8ELi1EEvPfPK15HIP_vector_typeIfLj2EEiiiiiiS1_IjLj3EES5_S5_
; %bb.0:
	s_load_dwordx8 s[12:19], s[4:5], 0x1c
	s_load_dwordx2 s[10:11], s[4:5], 0x10
	s_load_dwordx4 s[0:3], s[4:5], 0x3c
	s_waitcnt lgkmcnt(0)
	s_mul_hi_u32 s9, s15, s6
	s_add_i32 s9, s6, s9
	s_lshr_b32 s9, s9, s16
	s_mul_i32 s15, s9, s17
	s_sub_i32 s16, s6, s15
	s_mul_hi_u32 s15, s16, s18
	s_add_i32 s15, s16, s15
	s_lshr_b32 s15, s15, s19
	s_mul_i32 s0, s15, s0
	s_sub_i32 s0, s16, s0
	;; [unrolled: 5-line block ×3, first 2 shown]
	s_lshl_b32 s0, s16, 3
	s_add_i32 s0, s0, s7
	s_cmp_lt_i32 s0, s10
	s_cselect_b64 s[0:1], -1, 0
	s_add_i32 s17, s17, s8
	s_cmp_lt_i32 s17, s13
	s_cselect_b64 s[2:3], -1, 0
	s_and_b64 s[0:1], s[0:1], s[2:3]
	s_andn2_b64 vcc, exec, s[0:1]
	s_cbranch_vccnz .LBB63_6
; %bb.1:
	s_load_dwordx4 s[0:3], s[4:5], 0x0
	s_mul_i32 s4, s9, s10
	s_mul_i32 s15, s15, s13
	s_add_i32 s4, s4, s7
	s_mul_i32 s4, s4, s11
	s_add_i32 s9, s17, s15
	;; [unrolled: 2-line block ×3, first 2 shown]
	s_mulk_i32 s5, 0x380
	s_mulk_i32 s4, 0x70
	s_add_i32 s4, s4, s5
	v_add_u32_e32 v1, s4, v0
	v_ashrrev_i32_e32 v2, 31, v1
	v_lshlrev_b64 v[1:2], 2, v[1:2]
	s_waitcnt lgkmcnt(0)
	v_mov_b32_e32 v3, s1
	v_add_co_u32_e32 v1, vcc, s0, v1
	v_addc_co_u32_e32 v2, vcc, v3, v2, vcc
	global_load_dword v8, v[1:2], off
	s_add_i32 s4, s7, s8
	s_mul_i32 s7, s14, s6
	s_add_i32 s5, s7, s14
	s_lshl_b32 s0, s5, 3
	s_add_i32 s0, s4, s0
	s_add_i32 s0, s0, -8
	s_ashr_i32 s1, s0, 31
	s_lshl_b64 s[0:1], s[0:1], 3
	s_add_u32 s0, s2, s0
	s_addc_u32 s1, s3, s1
	s_load_dword s10, s[0:1], 0x4
	s_add_i32 s8, s5, -2
	s_cmp_lt_i32 s8, s7
	s_cbranch_scc1 .LBB63_4
; %bb.2:
	s_lshl_b32 s8, s12, 5
	s_ashr_i32 s9, s8, 31
	s_lshl_b64 s[8:9], s[8:9], 2
	s_add_u32 s8, s2, s8
	s_addc_u32 s11, s3, s9
	s_load_dword s0, s[0:1], 0x0
	s_add_i32 s6, s6, 1
	s_add_i32 s9, s5, -1
	s_mul_i32 s5, s14, s6
	s_mul_i32 s1, s4, 0x70
	s_lshl_b32 s6, s5, 3
	s_mulk_i32 s5, 0x380
	s_add_i32 s4, s4, s6
	s_lshl_b32 s6, s12, 3
	s_add_i32 s1, s1, s5
	s_add_i32 s4, s4, s6
	v_add_u32_e32 v0, s1, v0
	s_add_i32 s4, s4, -16
	v_add_u32_e32 v3, 0xfffff900, v0
	s_waitcnt lgkmcnt(0)
	v_mov_b32_e32 v7, s10
	v_mov_b32_e32 v6, s0
	;; [unrolled: 1-line block ×3, first 2 shown]
	s_mov_b32 s6, 0x3fb8aa3b
	s_mov_b32 s10, 0xc2ce8ed0
	;; [unrolled: 1-line block ×3, first 2 shown]
	v_mov_b32_e32 v5, 0x7f800000
	s_mov_b32 s12, 0xc1a00000
.LBB63_3:                               ; =>This Inner Loop Header: Depth=1
	v_ashrrev_i32_e32 v4, 31, v3
	v_lshlrev_b64 v[9:10], 2, v[3:4]
	s_ashr_i32 s5, s4, 31
	v_add_co_u32_e32 v9, vcc, s8, v9
	v_addc_co_u32_e32 v10, vcc, v0, v10, vcc
	global_load_dword v4, v[9:10], off
	s_lshl_b64 s[0:1], s[4:5], 3
	s_add_u32 s0, s2, s0
	s_addc_u32 s1, s3, s1
	s_load_dwordx2 s[14:15], s[0:1], 0x0
	s_waitcnt vmcnt(1)
	v_mov_b32_e32 v9, v8
	v_max_f32_e32 v8, v6, v6
	v_mov_b32_e32 v10, v7
	s_add_i32 s9, s9, -1
	s_waitcnt lgkmcnt(0)
	v_max_f32_e64 v7, s14, s14
	v_max_f32_e32 v7, v8, v7
	v_sub_f32_e32 v11, s14, v7
	v_sub_f32_e32 v8, v6, v7
	v_mul_f32_e32 v12, 0x3fb8aa3b, v11
	v_mov_b32_e32 v6, v7
	v_mul_f32_e32 v7, 0x3fb8aa3b, v8
	v_fma_f32 v15, v11, s6, -v12
	v_rndne_f32_e32 v16, v12
	v_fma_f32 v13, v8, s6, -v7
	v_rndne_f32_e32 v14, v7
	v_fmac_f32_e32 v15, 0x32a5705f, v11
	v_sub_f32_e32 v12, v12, v16
	v_fmac_f32_e32 v13, 0x32a5705f, v8
	v_sub_f32_e32 v7, v7, v14
	v_add_f32_e32 v12, v12, v15
	v_cvt_i32_f32_e32 v16, v16
	v_add_f32_e32 v7, v7, v13
	v_exp_f32_e32 v12, v12
	v_cvt_i32_f32_e32 v14, v14
	v_exp_f32_e32 v7, v7
	v_cmp_ngt_f32_e32 vcc, s10, v11
	v_ldexp_f32 v12, v12, v16
	v_cmp_ngt_f32_e64 s[0:1], s10, v8
	v_ldexp_f32 v7, v7, v14
	v_cndmask_b32_e32 v12, 0, v12, vcc
	v_cmp_nlt_f32_e32 vcc, s11, v11
	v_cndmask_b32_e64 v7, 0, v7, s[0:1]
	v_cmp_nlt_f32_e64 s[0:1], s11, v8
	v_cndmask_b32_e32 v12, v5, v12, vcc
	v_cmp_le_f32_e32 vcc, s12, v11
	v_cndmask_b32_e64 v7, v5, v7, s[0:1]
	v_cmp_le_f32_e64 s[0:1], s12, v8
	v_cndmask_b32_e32 v8, 0, v12, vcc
	s_add_i32 s4, s4, -8
	v_cndmask_b32_e64 v11, 0, v7, s[0:1]
	v_mul_f32_e32 v7, s15, v8
	v_add_u32_e32 v3, 0xfffffc80, v3
	s_cmp_le_i32 s9, s7
	v_fmac_f32_e32 v7, v10, v11
	s_waitcnt vmcnt(0)
	v_mul_f32_e32 v8, v4, v8
	v_fmac_f32_e32 v8, v9, v11
	s_cbranch_scc0 .LBB63_3
	s_branch .LBB63_5
.LBB63_4:
	s_waitcnt lgkmcnt(0)
	v_mov_b32_e32 v7, s10
.LBB63_5:
	s_waitcnt vmcnt(0)
	v_div_scale_f32 v0, s[0:1], v7, v7, v8
	v_div_scale_f32 v3, vcc, v8, v7, v8
	v_rcp_f32_e32 v4, v0
	v_fma_f32 v5, -v0, v4, 1.0
	v_fmac_f32_e32 v4, v5, v4
	v_mul_f32_e32 v5, v3, v4
	v_fma_f32 v6, -v0, v5, v3
	v_fmac_f32_e32 v5, v6, v4
	v_fma_f32 v0, -v0, v5, v3
	v_div_fmas_f32 v0, v0, v4, v5
	v_div_fixup_f32 v0, v0, v7, v8
	global_store_dword v[1:2], v0, off
.LBB63_6:
	s_endpgm
	.section	.rodata,"a",@progbits
	.p2align	6, 0x0
	.amdhsa_kernel _ZL33flash_attn_stream_k_fixup_uniformILi112ELi8ELi1EEvPfPK15HIP_vector_typeIfLj2EEiiiiiiS1_IjLj3EES5_S5_
		.amdhsa_group_segment_fixed_size 0
		.amdhsa_private_segment_fixed_size 0
		.amdhsa_kernarg_size 76
		.amdhsa_user_sgpr_count 6
		.amdhsa_user_sgpr_private_segment_buffer 1
		.amdhsa_user_sgpr_dispatch_ptr 0
		.amdhsa_user_sgpr_queue_ptr 0
		.amdhsa_user_sgpr_kernarg_segment_ptr 1
		.amdhsa_user_sgpr_dispatch_id 0
		.amdhsa_user_sgpr_flat_scratch_init 0
		.amdhsa_user_sgpr_private_segment_size 0
		.amdhsa_uses_dynamic_stack 0
		.amdhsa_system_sgpr_private_segment_wavefront_offset 0
		.amdhsa_system_sgpr_workgroup_id_x 1
		.amdhsa_system_sgpr_workgroup_id_y 1
		.amdhsa_system_sgpr_workgroup_id_z 1
		.amdhsa_system_sgpr_workgroup_info 0
		.amdhsa_system_vgpr_workitem_id 0
		.amdhsa_next_free_vgpr 17
		.amdhsa_next_free_sgpr 20
		.amdhsa_reserve_vcc 1
		.amdhsa_reserve_flat_scratch 0
		.amdhsa_float_round_mode_32 0
		.amdhsa_float_round_mode_16_64 0
		.amdhsa_float_denorm_mode_32 3
		.amdhsa_float_denorm_mode_16_64 3
		.amdhsa_dx10_clamp 1
		.amdhsa_ieee_mode 1
		.amdhsa_fp16_overflow 0
		.amdhsa_exception_fp_ieee_invalid_op 0
		.amdhsa_exception_fp_denorm_src 0
		.amdhsa_exception_fp_ieee_div_zero 0
		.amdhsa_exception_fp_ieee_overflow 0
		.amdhsa_exception_fp_ieee_underflow 0
		.amdhsa_exception_fp_ieee_inexact 0
		.amdhsa_exception_int_div_zero 0
	.end_amdhsa_kernel
	.section	.text._ZL33flash_attn_stream_k_fixup_uniformILi112ELi8ELi1EEvPfPK15HIP_vector_typeIfLj2EEiiiiiiS1_IjLj3EES5_S5_,"axG",@progbits,_ZL33flash_attn_stream_k_fixup_uniformILi112ELi8ELi1EEvPfPK15HIP_vector_typeIfLj2EEiiiiiiS1_IjLj3EES5_S5_,comdat
.Lfunc_end63:
	.size	_ZL33flash_attn_stream_k_fixup_uniformILi112ELi8ELi1EEvPfPK15HIP_vector_typeIfLj2EEiiiiiiS1_IjLj3EES5_S5_, .Lfunc_end63-_ZL33flash_attn_stream_k_fixup_uniformILi112ELi8ELi1EEvPfPK15HIP_vector_typeIfLj2EEiiiiiiS1_IjLj3EES5_S5_
                                        ; -- End function
	.set _ZL33flash_attn_stream_k_fixup_uniformILi112ELi8ELi1EEvPfPK15HIP_vector_typeIfLj2EEiiiiiiS1_IjLj3EES5_S5_.num_vgpr, 17
	.set _ZL33flash_attn_stream_k_fixup_uniformILi112ELi8ELi1EEvPfPK15HIP_vector_typeIfLj2EEiiiiiiS1_IjLj3EES5_S5_.num_agpr, 0
	.set _ZL33flash_attn_stream_k_fixup_uniformILi112ELi8ELi1EEvPfPK15HIP_vector_typeIfLj2EEiiiiiiS1_IjLj3EES5_S5_.numbered_sgpr, 20
	.set _ZL33flash_attn_stream_k_fixup_uniformILi112ELi8ELi1EEvPfPK15HIP_vector_typeIfLj2EEiiiiiiS1_IjLj3EES5_S5_.num_named_barrier, 0
	.set _ZL33flash_attn_stream_k_fixup_uniformILi112ELi8ELi1EEvPfPK15HIP_vector_typeIfLj2EEiiiiiiS1_IjLj3EES5_S5_.private_seg_size, 0
	.set _ZL33flash_attn_stream_k_fixup_uniformILi112ELi8ELi1EEvPfPK15HIP_vector_typeIfLj2EEiiiiiiS1_IjLj3EES5_S5_.uses_vcc, 1
	.set _ZL33flash_attn_stream_k_fixup_uniformILi112ELi8ELi1EEvPfPK15HIP_vector_typeIfLj2EEiiiiiiS1_IjLj3EES5_S5_.uses_flat_scratch, 0
	.set _ZL33flash_attn_stream_k_fixup_uniformILi112ELi8ELi1EEvPfPK15HIP_vector_typeIfLj2EEiiiiiiS1_IjLj3EES5_S5_.has_dyn_sized_stack, 0
	.set _ZL33flash_attn_stream_k_fixup_uniformILi112ELi8ELi1EEvPfPK15HIP_vector_typeIfLj2EEiiiiiiS1_IjLj3EES5_S5_.has_recursion, 0
	.set _ZL33flash_attn_stream_k_fixup_uniformILi112ELi8ELi1EEvPfPK15HIP_vector_typeIfLj2EEiiiiiiS1_IjLj3EES5_S5_.has_indirect_call, 0
	.section	.AMDGPU.csdata,"",@progbits
; Kernel info:
; codeLenInByte = 836
; TotalNumSgprs: 24
; NumVgprs: 17
; ScratchSize: 0
; MemoryBound: 0
; FloatMode: 240
; IeeeMode: 1
; LDSByteSize: 0 bytes/workgroup (compile time only)
; SGPRBlocks: 2
; VGPRBlocks: 4
; NumSGPRsForWavesPerEU: 24
; NumVGPRsForWavesPerEU: 17
; Occupancy: 10
; WaveLimiterHint : 0
; COMPUTE_PGM_RSRC2:SCRATCH_EN: 0
; COMPUTE_PGM_RSRC2:USER_SGPR: 6
; COMPUTE_PGM_RSRC2:TRAP_HANDLER: 0
; COMPUTE_PGM_RSRC2:TGID_X_EN: 1
; COMPUTE_PGM_RSRC2:TGID_Y_EN: 1
; COMPUTE_PGM_RSRC2:TGID_Z_EN: 1
; COMPUTE_PGM_RSRC2:TIDIG_COMP_CNT: 0
	.section	.text._ZL33flash_attn_stream_k_fixup_generalILi112ELi8ELi1EEvPfPK15HIP_vector_typeIfLj2EEiiiiS1_IjLj3EES5_S5_S5_,"axG",@progbits,_ZL33flash_attn_stream_k_fixup_generalILi112ELi8ELi1EEvPfPK15HIP_vector_typeIfLj2EEiiiiS1_IjLj3EES5_S5_S5_,comdat
	.globl	_ZL33flash_attn_stream_k_fixup_generalILi112ELi8ELi1EEvPfPK15HIP_vector_typeIfLj2EEiiiiS1_IjLj3EES5_S5_S5_ ; -- Begin function _ZL33flash_attn_stream_k_fixup_generalILi112ELi8ELi1EEvPfPK15HIP_vector_typeIfLj2EEiiiiS1_IjLj3EES5_S5_S5_
	.p2align	8
	.type	_ZL33flash_attn_stream_k_fixup_generalILi112ELi8ELi1EEvPfPK15HIP_vector_typeIfLj2EEiiiiS1_IjLj3EES5_S5_S5_,@function
_ZL33flash_attn_stream_k_fixup_generalILi112ELi8ELi1EEvPfPK15HIP_vector_typeIfLj2EEiiiiS1_IjLj3EES5_S5_S5_: ; @_ZL33flash_attn_stream_k_fixup_generalILi112ELi8ELi1EEvPfPK15HIP_vector_typeIfLj2EEiiiiS1_IjLj3EES5_S5_S5_
; %bb.0:
	s_load_dwordx4 s[0:3], s[4:5], 0x10
	s_load_dword s22, s[4:5], 0x50
	s_mov_b32 s12, 0
	s_waitcnt lgkmcnt(0)
	s_mul_hi_i32 s13, s3, s6
	s_cmp_lg_u64 s[12:13], 0
	s_mul_i32 s9, s3, s6
	s_cbranch_scc0 .LBB64_20
; %bb.1:
	s_add_u32 s10, s22, 0
	s_addc_u32 s11, 0, 0
	s_xor_b64 s[10:11], s[10:11], 0
	v_cvt_f32_u32_e32 v1, s10
	v_cvt_f32_u32_e32 v2, s11
	s_sub_u32 s12, 0, s10
	s_subb_u32 s18, 0, s11
	v_madmk_f32 v1, v2, 0x4f800000, v1
	v_rcp_f32_e32 v1, v1
	v_mul_f32_e32 v1, 0x5f7ffffc, v1
	v_mul_f32_e32 v2, 0x2f800000, v1
	v_trunc_f32_e32 v2, v2
	v_madmk_f32 v1, v2, 0xcf800000, v1
	v_cvt_u32_f32_e32 v2, v2
	v_cvt_u32_f32_e32 v1, v1
	v_readfirstlane_b32 s19, v2
	v_readfirstlane_b32 s14, v1
	s_mul_i32 s15, s12, s19
	s_mul_hi_u32 s21, s12, s14
	s_mul_i32 s20, s18, s14
	s_add_i32 s15, s21, s15
	s_add_i32 s15, s15, s20
	s_mul_i32 s23, s12, s14
	s_mul_i32 s21, s14, s15
	s_mul_hi_u32 s24, s14, s23
	s_mul_hi_u32 s20, s14, s15
	s_add_u32 s21, s24, s21
	s_addc_u32 s20, 0, s20
	s_mul_hi_u32 s25, s19, s23
	s_mul_i32 s23, s19, s23
	s_add_u32 s21, s21, s23
	s_mul_hi_u32 s24, s19, s15
	s_addc_u32 s20, s20, s25
	s_addc_u32 s21, s24, 0
	s_mul_i32 s15, s19, s15
	s_add_u32 s15, s20, s15
	s_addc_u32 s20, 0, s21
	s_add_u32 s21, s14, s15
	s_cselect_b64 s[14:15], -1, 0
	s_cmp_lg_u64 s[14:15], 0
	s_addc_u32 s19, s19, s20
	s_mul_i32 s14, s12, s19
	s_mul_hi_u32 s15, s12, s21
	s_add_i32 s14, s15, s14
	s_mul_i32 s18, s18, s21
	s_add_i32 s14, s14, s18
	s_mul_i32 s12, s12, s21
	s_mul_hi_u32 s18, s19, s12
	s_mul_i32 s20, s19, s12
	s_mul_i32 s24, s21, s14
	s_mul_hi_u32 s12, s21, s12
	s_mul_hi_u32 s23, s21, s14
	s_add_u32 s12, s12, s24
	s_addc_u32 s23, 0, s23
	s_add_u32 s12, s12, s20
	s_mul_hi_u32 s15, s19, s14
	s_addc_u32 s12, s23, s18
	s_addc_u32 s15, s15, 0
	s_mul_i32 s14, s19, s14
	s_add_u32 s12, s12, s14
	s_addc_u32 s18, 0, s15
	s_add_u32 s20, s21, s12
	s_cselect_b64 s[14:15], -1, 0
	s_cmp_lg_u64 s[14:15], 0
	s_addc_u32 s18, s19, s18
	s_ashr_i32 s14, s13, 31
	s_add_u32 s12, s9, s14
	s_mov_b32 s15, s14
	s_addc_u32 s13, s13, s14
	s_xor_b64 s[12:13], s[12:13], s[14:15]
	s_mul_i32 s21, s12, s18
	s_mul_hi_u32 s23, s12, s20
	s_mul_hi_u32 s19, s12, s18
	s_add_u32 s21, s23, s21
	s_addc_u32 s19, 0, s19
	s_mul_hi_u32 s24, s13, s20
	s_mul_i32 s20, s13, s20
	s_add_u32 s20, s21, s20
	s_mul_hi_u32 s23, s13, s18
	s_addc_u32 s19, s19, s24
	s_addc_u32 s20, s23, 0
	s_mul_i32 s18, s13, s18
	s_add_u32 s23, s19, s18
	s_addc_u32 s24, 0, s20
	s_mul_i32 s18, s10, s24
	s_mul_hi_u32 s19, s10, s23
	s_add_i32 s18, s19, s18
	s_mul_i32 s19, s11, s23
	s_add_i32 s25, s18, s19
	s_sub_i32 s20, s13, s25
	s_mul_i32 s18, s10, s23
	s_sub_u32 s12, s12, s18
	s_cselect_b64 s[18:19], -1, 0
	s_cmp_lg_u64 s[18:19], 0
	s_subb_u32 s26, s20, s11
	s_sub_u32 s27, s12, s10
	s_cselect_b64 s[20:21], -1, 0
	s_cmp_lg_u64 s[20:21], 0
	s_subb_u32 s20, s26, 0
	s_cmp_ge_u32 s20, s11
	s_cselect_b32 s21, -1, 0
	s_cmp_ge_u32 s27, s10
	s_cselect_b32 s26, -1, 0
	s_cmp_eq_u32 s20, s11
	s_cselect_b32 s20, s26, s21
	s_add_u32 s21, s23, 1
	s_addc_u32 s26, s24, 0
	s_add_u32 s27, s23, 2
	s_addc_u32 s28, s24, 0
	s_cmp_lg_u32 s20, 0
	s_cselect_b32 s20, s27, s21
	s_cselect_b32 s21, s28, s26
	s_cmp_lg_u64 s[18:19], 0
	s_subb_u32 s13, s13, s25
	s_cmp_ge_u32 s13, s11
	s_cselect_b32 s18, -1, 0
	s_cmp_ge_u32 s12, s10
	s_cselect_b32 s10, -1, 0
	s_cmp_eq_u32 s13, s11
	s_cselect_b32 s10, s10, s18
	s_cmp_lg_u32 s10, 0
	s_cselect_b32 s11, s21, s24
	s_cselect_b32 s10, s20, s23
	s_xor_b64 s[12:13], s[14:15], 0
	s_xor_b64 s[10:11], s[10:11], s[12:13]
	s_sub_u32 s10, s10, s12
	s_load_dwordx4 s[12:15], s[4:5], 0x44
	s_cbranch_execnz .LBB64_3
.LBB64_2:
	v_cvt_f32_u32_e32 v1, s22
	s_sub_i32 s10, 0, s22
	v_rcp_iflag_f32_e32 v1, v1
	v_mul_f32_e32 v1, 0x4f7ffffe, v1
	v_cvt_u32_f32_e32 v1, v1
	v_readfirstlane_b32 s11, v1
	s_mul_i32 s10, s10, s11
	s_mul_hi_u32 s10, s11, s10
	s_add_i32 s11, s11, s10
	s_mul_hi_u32 s10, s9, s11
	s_waitcnt lgkmcnt(0)
	s_mul_i32 s15, s10, s22
	s_sub_i32 s9, s9, s15
	s_add_i32 s11, s10, 1
	s_sub_i32 s15, s9, s22
	s_cmp_ge_u32 s9, s22
	s_cselect_b32 s10, s11, s10
	s_cselect_b32 s9, s15, s9
	s_add_i32 s11, s10, 1
	s_cmp_ge_u32 s9, s22
	s_cselect_b32 s10, s11, s10
.LBB64_3:
	s_add_i32 s9, s6, 1
	s_mul_hi_i32 s21, s3, s9
	s_mov_b32 s20, 0
	s_cmp_lg_u64 s[20:21], 0
	s_mul_i32 s9, s3, s9
	s_cbranch_scc0 .LBB64_21
; %bb.4:
	s_add_u32 s16, s22, 0
	s_addc_u32 s17, 0, 0
	s_xor_b64 s[18:19], s[16:17], 0
	v_cvt_f32_u32_e32 v1, s18
	v_cvt_f32_u32_e32 v2, s19
	s_sub_u32 s11, 0, s18
	s_waitcnt lgkmcnt(0)
	s_subb_u32 s15, 0, s19
	v_madmk_f32 v1, v2, 0x4f800000, v1
	v_rcp_f32_e32 v1, v1
	v_mul_f32_e32 v1, 0x5f7ffffc, v1
	v_mul_f32_e32 v2, 0x2f800000, v1
	v_trunc_f32_e32 v2, v2
	v_madmk_f32 v1, v2, 0xcf800000, v1
	v_cvt_u32_f32_e32 v2, v2
	v_cvt_u32_f32_e32 v1, v1
	v_readfirstlane_b32 s20, v2
	v_readfirstlane_b32 s23, v1
	s_mul_i32 s24, s11, s20
	s_mul_hi_u32 s26, s11, s23
	s_mul_i32 s25, s15, s23
	s_add_i32 s24, s26, s24
	s_add_i32 s24, s24, s25
	s_mul_i32 s27, s11, s23
	s_mul_i32 s26, s23, s24
	s_mul_hi_u32 s28, s23, s27
	s_mul_hi_u32 s25, s23, s24
	s_add_u32 s26, s28, s26
	s_addc_u32 s25, 0, s25
	s_mul_hi_u32 s29, s20, s27
	s_mul_i32 s27, s20, s27
	s_add_u32 s26, s26, s27
	s_mul_hi_u32 s28, s20, s24
	s_addc_u32 s25, s25, s29
	s_addc_u32 s26, s28, 0
	s_mul_i32 s24, s20, s24
	s_add_u32 s24, s25, s24
	s_addc_u32 s26, 0, s26
	s_add_u32 s23, s23, s24
	s_cselect_b64 s[24:25], -1, 0
	s_cmp_lg_u64 s[24:25], 0
	s_addc_u32 s20, s20, s26
	s_mul_i32 s24, s11, s20
	s_mul_hi_u32 s25, s11, s23
	s_add_i32 s24, s25, s24
	s_mul_i32 s15, s15, s23
	s_add_i32 s24, s24, s15
	s_mul_i32 s11, s11, s23
	s_mul_hi_u32 s25, s20, s11
	s_mul_i32 s26, s20, s11
	s_mul_i32 s28, s23, s24
	s_mul_hi_u32 s11, s23, s11
	s_mul_hi_u32 s27, s23, s24
	s_add_u32 s11, s11, s28
	s_addc_u32 s27, 0, s27
	s_add_u32 s11, s11, s26
	s_mul_hi_u32 s15, s20, s24
	s_addc_u32 s11, s27, s25
	s_addc_u32 s15, s15, 0
	s_mul_i32 s24, s20, s24
	s_add_u32 s11, s11, s24
	s_addc_u32 s15, 0, s15
	s_add_u32 s11, s23, s11
	s_cselect_b64 s[24:25], -1, 0
	s_cmp_lg_u64 s[24:25], 0
	s_addc_u32 s15, s20, s15
	s_ashr_i32 s24, s21, 31
	s_add_u32 s20, s9, s24
	s_mov_b32 s25, s24
	s_addc_u32 s21, s21, s24
	s_xor_b64 s[20:21], s[20:21], s[24:25]
	s_mul_i32 s26, s20, s15
	s_mul_hi_u32 s27, s20, s11
	s_mul_hi_u32 s23, s20, s15
	s_add_u32 s26, s27, s26
	s_addc_u32 s23, 0, s23
	s_mul_hi_u32 s28, s21, s11
	s_mul_i32 s11, s21, s11
	s_add_u32 s11, s26, s11
	s_mul_hi_u32 s27, s21, s15
	s_addc_u32 s11, s23, s28
	s_addc_u32 s23, s27, 0
	s_mul_i32 s15, s21, s15
	s_add_u32 s11, s11, s15
	s_addc_u32 s15, 0, s23
	s_mul_i32 s23, s18, s15
	s_mul_hi_u32 s26, s18, s11
	s_add_i32 s23, s26, s23
	s_mul_i32 s26, s19, s11
	s_add_i32 s23, s23, s26
	s_sub_i32 s28, s21, s23
	s_mul_i32 s26, s18, s11
	s_sub_u32 s20, s20, s26
	s_cselect_b64 s[26:27], -1, 0
	s_cmp_lg_u64 s[26:27], 0
	s_subb_u32 s30, s28, s19
	s_sub_u32 s31, s20, s18
	s_cselect_b64 s[28:29], -1, 0
	s_cmp_lg_u64 s[28:29], 0
	s_subb_u32 s28, s30, 0
	s_cmp_ge_u32 s28, s19
	s_cselect_b32 s29, -1, 0
	s_cmp_ge_u32 s31, s18
	s_cselect_b32 s30, -1, 0
	s_cmp_eq_u32 s28, s19
	s_cselect_b32 s28, s30, s29
	s_add_u32 s29, s11, 1
	s_addc_u32 s30, s15, 0
	s_add_u32 s31, s11, 2
	s_addc_u32 s33, s15, 0
	s_cmp_lg_u32 s28, 0
	s_cselect_b32 s28, s31, s29
	s_cselect_b32 s29, s33, s30
	s_cmp_lg_u64 s[26:27], 0
	s_subb_u32 s21, s21, s23
	s_cmp_ge_u32 s21, s19
	s_cselect_b32 s23, -1, 0
	s_cmp_ge_u32 s20, s18
	s_cselect_b32 s18, -1, 0
	s_cmp_eq_u32 s21, s19
	s_cselect_b32 s18, s18, s23
	s_cmp_lg_u32 s18, 0
	s_cselect_b32 s19, s29, s15
	s_cselect_b32 s18, s28, s11
	s_xor_b64 s[20:21], s[24:25], 0
	s_xor_b64 s[18:19], s[18:19], s[20:21]
	s_sub_u32 s18, s18, s20
	s_cbranch_execnz .LBB64_6
.LBB64_5:
	v_cvt_f32_u32_e32 v1, s22
	s_sub_i32 s11, 0, s22
	v_rcp_iflag_f32_e32 v1, v1
	v_mul_f32_e32 v1, 0x4f7ffffe, v1
	v_cvt_u32_f32_e32 v1, v1
	s_waitcnt lgkmcnt(0)
	v_readfirstlane_b32 s15, v1
	s_mul_i32 s11, s11, s15
	s_mul_hi_u32 s11, s15, s11
	s_add_i32 s15, s15, s11
	s_mul_hi_u32 s11, s9, s15
	s_mul_i32 s16, s11, s22
	s_sub_i32 s9, s9, s16
	s_add_i32 s15, s11, 1
	s_sub_i32 s16, s9, s22
	s_cmp_ge_u32 s9, s22
	s_cselect_b32 s11, s15, s11
	s_cselect_b32 s9, s16, s9
	s_add_i32 s15, s11, 1
	s_cmp_ge_u32 s9, s22
	s_cselect_b32 s18, s15, s11
.LBB64_6:
	s_cmp_eq_u32 s10, s18
	s_waitcnt lgkmcnt(0)
	s_mul_hi_u32 s9, s10, s12
	s_cselect_b64 s[16:17], -1, 0
	s_add_i32 s9, s9, s10
	s_lshr_b32 s11, s9, s13
	s_mul_i32 s9, s11, s14
	s_cmp_eq_u32 s9, s10
	s_mul_hi_u32 s9, s18, s12
	s_cselect_b64 s[20:21], -1, 0
	s_add_i32 s9, s9, s18
	s_lshr_b32 s9, s9, s13
	s_cmp_eq_u32 s11, s9
	s_mul_i32 s9, s9, s14
	s_cselect_b64 s[24:25], -1, 0
	s_cmp_lg_u32 s9, s18
	s_cselect_b64 s[18:19], -1, 0
	s_and_b64 s[18:19], s[24:25], s[18:19]
	s_or_b64 s[16:17], s[16:17], s[20:21]
	s_or_b64 s[16:17], s[16:17], s[18:19]
	s_and_b64 vcc, exec, s[16:17]
	s_cbranch_vccnz .LBB64_23
; %bb.7:
	s_load_dwordx8 s[24:31], s[4:5], 0x20
	s_load_dword s15, s[4:5], 0x40
	s_waitcnt lgkmcnt(0)
	s_mul_hi_u32 s9, s10, s24
	s_add_i32 s9, s9, s10
	s_lshr_b32 s9, s9, s25
	s_mul_i32 s16, s9, s26
	s_sub_i32 s16, s10, s16
	s_mul_hi_u32 s17, s16, s27
	s_add_i32 s17, s16, s17
	s_lshr_b32 s23, s17, s28
	s_mul_i32 s17, s23, s29
	s_sub_i32 s16, s16, s17
	;; [unrolled: 5-line block ×3, first 2 shown]
	s_mul_hi_u32 s16, s15, s12
	s_add_i32 s15, s15, s16
	s_lshr_b32 s24, s15, s13
	s_lshl_b32 s15, s24, 3
	s_add_i32 s15, s15, s7
	s_cmp_lt_i32 s15, s0
	s_cselect_b64 s[16:17], -1, 0
	s_add_i32 s25, s25, s8
	s_cmp_lt_i32 s25, s2
	s_cselect_b64 s[18:19], -1, 0
	s_and_b64 s[16:17], s[16:17], s[18:19]
	s_andn2_b64 vcc, exec, s[16:17]
	s_cbranch_vccnz .LBB64_23
; %bb.8:
	s_load_dwordx4 s[16:19], s[4:5], 0x0
	s_mov_b32 s4, 0
	s_lshl_b32 s20, s22, 5
	s_mov_b32 s21, s4
	s_add_i32 s15, s7, s8
	s_lshl_b64 s[20:21], s[20:21], 2
	s_waitcnt lgkmcnt(0)
	s_add_u32 s20, s18, s20
	s_mul_i32 s0, s9, s0
	s_addc_u32 s21, s19, s21
	s_mul_i32 s23, s23, s2
	s_add_i32 s0, s0, s7
	s_mul_i32 s2, s1, s24
	s_mul_i32 s0, s0, s1
	s_add_i32 s1, s25, s23
	s_add_i32 s0, s1, s0
	s_mulk_i32 s2, 0x380
	s_mulk_i32 s0, 0x70
	s_add_i32 s2, s2, s0
	v_add_u32_e32 v1, s2, v0
	v_ashrrev_i32_e32 v2, 31, v1
	v_lshlrev_b64 v[1:2], 2, v[1:2]
	v_mov_b32_e32 v3, s17
	v_add_co_u32_e32 v1, vcc, s16, v1
	v_addc_co_u32_e32 v2, vcc, v3, v2, vcc
	global_load_dword v3, v[1:2], off
	v_cvt_f32_u32_e32 v4, s22
	s_lshl_b32 s0, s6, 3
	s_add_i32 s0, s0, s15
	s_ashr_i32 s1, s0, 31
	s_lshl_b64 s[0:1], s[0:1], 3
	v_rcp_iflag_f32_e32 v4, v4
	s_add_u32 s0, s18, s0
	s_addc_u32 s1, s19, s1
	s_load_dwordx2 s[0:1], s[0:1], 0x0
	v_mul_f32_e32 v4, 0x4f7ffffe, v4
	v_cvt_u32_f32_e32 v4, v4
	s_mul_i32 s2, s15, 0x70
	s_add_i32 s24, s6, -1
	v_add_u32_e32 v0, s2, v0
	s_waitcnt lgkmcnt(0)
	v_mov_b32_e32 v6, s1
	v_mov_b32_e32 v7, s0
	s_mov_b32 s2, 0x3fb8aa3b
	s_mov_b32 s16, 0xc2ce8ed0
	;; [unrolled: 1-line block ×4, first 2 shown]
	v_mov_b32_e32 v5, 0x7f800000
	s_mul_hi_i32 s5, s24, s3
	s_cmp_lg_u64 s[4:5], 0
	s_mul_i32 s8, s24, s3
	s_cbranch_scc0 .LBB64_19
.LBB64_9:
	s_add_u32 s0, s22, 0
	s_addc_u32 s1, 0, 0
	s_xor_b64 s[0:1], s[0:1], 0
	v_cvt_f32_u32_e32 v8, s0
	v_cvt_f32_u32_e32 v9, s1
	s_sub_u32 s9, 0, s0
	s_subb_u32 s25, 0, s1
	v_mac_f32_e32 v8, 0x4f800000, v9
	v_rcp_f32_e32 v8, v8
	v_mul_f32_e32 v8, 0x5f7ffffc, v8
	v_mul_f32_e32 v9, 0x2f800000, v8
	v_trunc_f32_e32 v9, v9
	v_mac_f32_e32 v8, 0xcf800000, v9
	v_cvt_u32_f32_e32 v9, v9
	v_cvt_u32_f32_e32 v8, v8
	v_readfirstlane_b32 s26, v9
	v_readfirstlane_b32 s6, v8
	s_mul_i32 s7, s9, s26
	s_mul_hi_u32 s28, s9, s6
	s_mul_i32 s27, s25, s6
	s_add_i32 s7, s28, s7
	s_mul_i32 s29, s9, s6
	s_add_i32 s7, s7, s27
	s_mul_i32 s28, s6, s7
	s_mul_hi_u32 s30, s6, s29
	s_mul_hi_u32 s27, s6, s7
	s_add_u32 s28, s30, s28
	s_addc_u32 s27, 0, s27
	s_mul_hi_u32 s31, s26, s29
	s_mul_i32 s29, s26, s29
	s_add_u32 s28, s28, s29
	s_mul_hi_u32 s30, s26, s7
	s_addc_u32 s27, s27, s31
	s_addc_u32 s28, s30, 0
	s_mul_i32 s7, s26, s7
	s_add_u32 s7, s27, s7
	s_addc_u32 s27, 0, s28
	s_add_u32 s28, s6, s7
	s_cselect_b64 s[6:7], -1, 0
	s_cmp_lg_u64 s[6:7], 0
	s_addc_u32 s26, s26, s27
	s_mul_i32 s6, s9, s26
	s_mul_hi_u32 s7, s9, s28
	s_add_i32 s6, s7, s6
	s_mul_i32 s25, s25, s28
	s_add_i32 s6, s6, s25
	s_mul_i32 s9, s9, s28
	s_mul_hi_u32 s25, s26, s9
	s_mul_i32 s27, s26, s9
	s_mul_i32 s30, s28, s6
	s_mul_hi_u32 s9, s28, s9
	s_mul_hi_u32 s29, s28, s6
	s_add_u32 s9, s9, s30
	s_addc_u32 s29, 0, s29
	s_add_u32 s9, s9, s27
	s_mul_hi_u32 s7, s26, s6
	s_addc_u32 s9, s29, s25
	s_addc_u32 s7, s7, 0
	s_mul_i32 s6, s26, s6
	s_add_u32 s6, s9, s6
	s_addc_u32 s9, 0, s7
	s_add_u32 s25, s28, s6
	s_cselect_b64 s[6:7], -1, 0
	s_cmp_lg_u64 s[6:7], 0
	s_addc_u32 s9, s26, s9
	s_ashr_i32 s6, s5, 31
	s_add_u32 s26, s8, s6
	s_mov_b32 s7, s6
	s_addc_u32 s27, s5, s6
	s_xor_b64 s[26:27], s[26:27], s[6:7]
	s_mul_i32 s28, s26, s9
	s_mul_hi_u32 s29, s26, s25
	s_mul_hi_u32 s5, s26, s9
	s_add_u32 s28, s29, s28
	s_addc_u32 s5, 0, s5
	s_mul_hi_u32 s30, s27, s25
	s_mul_i32 s25, s27, s25
	s_add_u32 s25, s28, s25
	s_mul_hi_u32 s29, s27, s9
	s_addc_u32 s5, s5, s30
	s_addc_u32 s25, s29, 0
	s_mul_i32 s9, s27, s9
	s_add_u32 s5, s5, s9
	s_addc_u32 s9, 0, s25
	s_mul_i32 s25, s0, s9
	s_mul_hi_u32 s28, s0, s5
	s_add_i32 s25, s28, s25
	s_mul_i32 s28, s1, s5
	s_add_i32 s25, s25, s28
	s_sub_i32 s30, s27, s25
	s_mul_i32 s28, s0, s5
	s_sub_u32 s26, s26, s28
	s_cselect_b64 s[28:29], -1, 0
	s_cmp_lg_u64 s[28:29], 0
	s_subb_u32 s33, s30, s1
	s_sub_u32 s34, s26, s0
	s_cselect_b64 s[30:31], -1, 0
	s_cmp_lg_u64 s[30:31], 0
	s_subb_u32 s30, s33, 0
	s_cmp_ge_u32 s30, s1
	s_cselect_b32 s31, -1, 0
	s_cmp_ge_u32 s34, s0
	s_cselect_b32 s33, -1, 0
	s_cmp_eq_u32 s30, s1
	s_cselect_b32 s30, s33, s31
	s_add_u32 s31, s5, 1
	s_addc_u32 s33, s9, 0
	s_add_u32 s34, s5, 2
	s_addc_u32 s35, s9, 0
	s_cmp_lg_u32 s30, 0
	s_cselect_b32 s30, s34, s31
	s_cselect_b32 s31, s35, s33
	s_cmp_lg_u64 s[28:29], 0
	s_subb_u32 s25, s27, s25
	s_cmp_ge_u32 s25, s1
	s_cselect_b32 s27, -1, 0
	s_cmp_ge_u32 s26, s0
	s_cselect_b32 s0, -1, 0
	s_cmp_eq_u32 s25, s1
	s_cselect_b32 s0, s0, s27
	s_cmp_lg_u32 s0, 0
	s_cselect_b32 s1, s31, s9
	s_cselect_b32 s0, s30, s5
	s_xor_b64 s[6:7], s[6:7], 0
	s_xor_b64 s[0:1], s[0:1], s[6:7]
	s_sub_u32 s6, s0, s6
	s_cbranch_execnz .LBB64_11
.LBB64_10:
	s_sub_i32 s0, 0, s22
	v_readfirstlane_b32 s1, v4
	s_mul_i32 s0, s0, s1
	s_mul_hi_u32 s0, s1, s0
	s_add_i32 s1, s1, s0
	s_mul_hi_u32 s0, s8, s1
	s_mul_i32 s5, s0, s22
	s_sub_i32 s5, s8, s5
	s_add_i32 s1, s0, 1
	s_sub_i32 s6, s5, s22
	s_cmp_ge_u32 s5, s22
	s_cselect_b32 s0, s1, s0
	s_cselect_b32 s5, s6, s5
	s_add_i32 s1, s0, 1
	s_cmp_ge_u32 s5, s22
	s_cselect_b32 s6, s1, s0
.LBB64_11:
	s_cmp_lg_u32 s10, s6
	s_mov_b64 s[8:9], -1
                                        ; implicit-def: $sgpr0_sgpr1
                                        ; implicit-def: $vgpr10
                                        ; implicit-def: $vgpr8
                                        ; implicit-def: $vgpr9
                                        ; implicit-def: $sgpr5
                                        ; implicit-def: $sgpr7
	s_cbranch_scc1 .LBB64_14
; %bb.12:
	s_andn2_b64 vcc, exec, s[8:9]
	s_cbranch_vccz .LBB64_17
.LBB64_13:
	s_andn2_b64 vcc, exec, s[0:1]
	s_cbranch_vccnz .LBB64_18
	s_branch .LBB64_22
.LBB64_14:
	s_add_i32 s0, s24, s22
	s_lshl_b32 s0, s0, 3
	s_add_i32 s0, s0, s15
	s_mov_b32 s1, s4
	s_lshl_b64 s[0:1], s[0:1], 3
	s_add_u32 s8, s18, s0
	s_mul_hi_u32 s0, s6, s12
	s_addc_u32 s9, s19, s1
	s_add_i32 s0, s0, s6
	s_lshr_b32 s5, s0, s13
	s_mul_i32 s0, s5, s14
	s_cmp_eq_u32 s0, s6
	s_cselect_b64 s[0:1], -1, 0
	s_cmp_lt_u32 s5, s11
	s_cselect_b64 s[26:27], -1, 0
	s_or_b64 s[26:27], s[26:27], s[0:1]
	s_mov_b64 s[0:1], -1
	s_and_b64 vcc, exec, s[26:27]
	s_mov_b32 s5, s24
	s_mov_b32 s7, s10
	s_cbranch_vccnz .LBB64_16
; %bb.15:
	s_add_i32 s5, s24, -1
	s_mov_b64 s[0:1], 0
	s_mov_b32 s7, s6
.LBB64_16:
	s_mul_i32 s6, s24, 0x380
	v_add_u32_e32 v8, s6, v0
	v_ashrrev_i32_e32 v9, 31, v8
	v_lshlrev_b64 v[8:9], 2, v[8:9]
	v_mov_b32_e32 v10, s21
	v_add_co_u32_e32 v8, vcc, s20, v8
	v_addc_co_u32_e32 v9, vcc, v10, v9, vcc
	global_load_dword v10, v[8:9], off
	s_load_dwordx2 s[8:9], s[8:9], 0x0
	v_max_f32_e32 v8, v7, v7
	s_waitcnt lgkmcnt(0)
	v_max_f32_e64 v9, s8, s8
	v_max_f32_e32 v8, v8, v9
	v_sub_f32_e32 v9, v7, v8
	v_sub_f32_e32 v11, s8, v8
	v_mul_f32_e32 v12, 0x3fb8aa3b, v9
	v_mul_f32_e32 v13, 0x3fb8aa3b, v11
	v_fma_f32 v14, v9, s2, -v12
	v_rndne_f32_e32 v15, v12
	v_fma_f32 v16, v11, s2, -v13
	v_rndne_f32_e32 v17, v13
	v_fmac_f32_e32 v14, 0x32a5705f, v9
	v_sub_f32_e32 v12, v12, v15
	v_fmac_f32_e32 v16, 0x32a5705f, v11
	v_sub_f32_e32 v13, v13, v17
	v_add_f32_e32 v12, v12, v14
	v_cvt_i32_f32_e32 v15, v15
	v_add_f32_e32 v13, v13, v16
	v_exp_f32_e32 v12, v12
	v_cvt_i32_f32_e32 v17, v17
	v_exp_f32_e32 v13, v13
	v_cmp_ngt_f32_e32 vcc, s16, v9
	v_ldexp_f32 v12, v12, v15
	v_cndmask_b32_e32 v12, 0, v12, vcc
	v_ldexp_f32 v13, v13, v17
	v_cmp_ngt_f32_e32 vcc, s16, v11
	v_cndmask_b32_e32 v13, 0, v13, vcc
	v_cmp_nlt_f32_e32 vcc, s17, v9
	v_cndmask_b32_e32 v12, v5, v12, vcc
	v_cmp_nlt_f32_e32 vcc, s17, v11
	v_cndmask_b32_e32 v13, v5, v13, vcc
	v_cmp_le_f32_e32 vcc, s23, v9
	v_cndmask_b32_e32 v12, 0, v12, vcc
	v_cmp_le_f32_e32 vcc, s23, v11
	v_cndmask_b32_e32 v11, 0, v13, vcc
	v_mul_f32_e32 v9, s9, v11
	v_fmac_f32_e32 v9, v6, v12
	s_waitcnt vmcnt(0)
	v_mul_f32_e32 v10, v10, v11
	v_fmac_f32_e32 v10, v3, v12
	s_cbranch_execnz .LBB64_13
.LBB64_17:
	s_add_i32 s5, s24, -1
	s_mov_b32 s7, s10
	v_mov_b32_e32 v9, v6
	v_mov_b32_e32 v8, v7
	s_waitcnt vmcnt(0)
	v_mov_b32_e32 v10, v3
	s_cbranch_execz .LBB64_22
.LBB64_18:
	s_mov_b32 s10, s7
	s_mov_b32 s24, s5
	v_mov_b32_e32 v6, v9
	v_mov_b32_e32 v7, v8
	s_waitcnt vmcnt(0)
	v_mov_b32_e32 v3, v10
	s_mul_hi_i32 s5, s24, s3
	s_cmp_lg_u64 s[4:5], 0
	s_mul_i32 s8, s24, s3
	s_cbranch_scc1 .LBB64_9
.LBB64_19:
                                        ; implicit-def: $sgpr6_sgpr7
	s_branch .LBB64_10
.LBB64_20:
                                        ; implicit-def: $sgpr10_sgpr11
	s_load_dwordx4 s[12:15], s[4:5], 0x44
	s_branch .LBB64_2
.LBB64_21:
                                        ; implicit-def: $sgpr18_sgpr19
	s_branch .LBB64_5
.LBB64_22:
	v_div_scale_f32 v0, s[0:1], v9, v9, v10
	s_waitcnt vmcnt(0)
	v_div_scale_f32 v3, vcc, v10, v9, v10
	v_rcp_f32_e32 v4, v0
	v_fma_f32 v5, -v0, v4, 1.0
	v_fmac_f32_e32 v4, v5, v4
	v_mul_f32_e32 v5, v3, v4
	v_fma_f32 v6, -v0, v5, v3
	v_fmac_f32_e32 v5, v6, v4
	v_fma_f32 v0, -v0, v5, v3
	v_div_fmas_f32 v0, v0, v4, v5
	v_div_fixup_f32 v0, v0, v9, v10
	global_store_dword v[1:2], v0, off
.LBB64_23:
	s_endpgm
	.section	.rodata,"a",@progbits
	.p2align	6, 0x0
	.amdhsa_kernel _ZL33flash_attn_stream_k_fixup_generalILi112ELi8ELi1EEvPfPK15HIP_vector_typeIfLj2EEiiiiS1_IjLj3EES5_S5_S5_
		.amdhsa_group_segment_fixed_size 0
		.amdhsa_private_segment_fixed_size 0
		.amdhsa_kernarg_size 336
		.amdhsa_user_sgpr_count 6
		.amdhsa_user_sgpr_private_segment_buffer 1
		.amdhsa_user_sgpr_dispatch_ptr 0
		.amdhsa_user_sgpr_queue_ptr 0
		.amdhsa_user_sgpr_kernarg_segment_ptr 1
		.amdhsa_user_sgpr_dispatch_id 0
		.amdhsa_user_sgpr_flat_scratch_init 0
		.amdhsa_user_sgpr_private_segment_size 0
		.amdhsa_uses_dynamic_stack 0
		.amdhsa_system_sgpr_private_segment_wavefront_offset 0
		.amdhsa_system_sgpr_workgroup_id_x 1
		.amdhsa_system_sgpr_workgroup_id_y 1
		.amdhsa_system_sgpr_workgroup_id_z 1
		.amdhsa_system_sgpr_workgroup_info 0
		.amdhsa_system_vgpr_workitem_id 0
		.amdhsa_next_free_vgpr 18
		.amdhsa_next_free_sgpr 36
		.amdhsa_reserve_vcc 1
		.amdhsa_reserve_flat_scratch 0
		.amdhsa_float_round_mode_32 0
		.amdhsa_float_round_mode_16_64 0
		.amdhsa_float_denorm_mode_32 3
		.amdhsa_float_denorm_mode_16_64 3
		.amdhsa_dx10_clamp 1
		.amdhsa_ieee_mode 1
		.amdhsa_fp16_overflow 0
		.amdhsa_exception_fp_ieee_invalid_op 0
		.amdhsa_exception_fp_denorm_src 0
		.amdhsa_exception_fp_ieee_div_zero 0
		.amdhsa_exception_fp_ieee_overflow 0
		.amdhsa_exception_fp_ieee_underflow 0
		.amdhsa_exception_fp_ieee_inexact 0
		.amdhsa_exception_int_div_zero 0
	.end_amdhsa_kernel
	.section	.text._ZL33flash_attn_stream_k_fixup_generalILi112ELi8ELi1EEvPfPK15HIP_vector_typeIfLj2EEiiiiS1_IjLj3EES5_S5_S5_,"axG",@progbits,_ZL33flash_attn_stream_k_fixup_generalILi112ELi8ELi1EEvPfPK15HIP_vector_typeIfLj2EEiiiiS1_IjLj3EES5_S5_S5_,comdat
.Lfunc_end64:
	.size	_ZL33flash_attn_stream_k_fixup_generalILi112ELi8ELi1EEvPfPK15HIP_vector_typeIfLj2EEiiiiS1_IjLj3EES5_S5_S5_, .Lfunc_end64-_ZL33flash_attn_stream_k_fixup_generalILi112ELi8ELi1EEvPfPK15HIP_vector_typeIfLj2EEiiiiS1_IjLj3EES5_S5_S5_
                                        ; -- End function
	.set _ZL33flash_attn_stream_k_fixup_generalILi112ELi8ELi1EEvPfPK15HIP_vector_typeIfLj2EEiiiiS1_IjLj3EES5_S5_S5_.num_vgpr, 18
	.set _ZL33flash_attn_stream_k_fixup_generalILi112ELi8ELi1EEvPfPK15HIP_vector_typeIfLj2EEiiiiS1_IjLj3EES5_S5_S5_.num_agpr, 0
	.set _ZL33flash_attn_stream_k_fixup_generalILi112ELi8ELi1EEvPfPK15HIP_vector_typeIfLj2EEiiiiS1_IjLj3EES5_S5_S5_.numbered_sgpr, 36
	.set _ZL33flash_attn_stream_k_fixup_generalILi112ELi8ELi1EEvPfPK15HIP_vector_typeIfLj2EEiiiiS1_IjLj3EES5_S5_S5_.num_named_barrier, 0
	.set _ZL33flash_attn_stream_k_fixup_generalILi112ELi8ELi1EEvPfPK15HIP_vector_typeIfLj2EEiiiiS1_IjLj3EES5_S5_S5_.private_seg_size, 0
	.set _ZL33flash_attn_stream_k_fixup_generalILi112ELi8ELi1EEvPfPK15HIP_vector_typeIfLj2EEiiiiS1_IjLj3EES5_S5_S5_.uses_vcc, 1
	.set _ZL33flash_attn_stream_k_fixup_generalILi112ELi8ELi1EEvPfPK15HIP_vector_typeIfLj2EEiiiiS1_IjLj3EES5_S5_S5_.uses_flat_scratch, 0
	.set _ZL33flash_attn_stream_k_fixup_generalILi112ELi8ELi1EEvPfPK15HIP_vector_typeIfLj2EEiiiiS1_IjLj3EES5_S5_S5_.has_dyn_sized_stack, 0
	.set _ZL33flash_attn_stream_k_fixup_generalILi112ELi8ELi1EEvPfPK15HIP_vector_typeIfLj2EEiiiiS1_IjLj3EES5_S5_S5_.has_recursion, 0
	.set _ZL33flash_attn_stream_k_fixup_generalILi112ELi8ELi1EEvPfPK15HIP_vector_typeIfLj2EEiiiiS1_IjLj3EES5_S5_S5_.has_indirect_call, 0
	.section	.AMDGPU.csdata,"",@progbits
; Kernel info:
; codeLenInByte = 2936
; TotalNumSgprs: 40
; NumVgprs: 18
; ScratchSize: 0
; MemoryBound: 0
; FloatMode: 240
; IeeeMode: 1
; LDSByteSize: 0 bytes/workgroup (compile time only)
; SGPRBlocks: 4
; VGPRBlocks: 4
; NumSGPRsForWavesPerEU: 40
; NumVGPRsForWavesPerEU: 18
; Occupancy: 10
; WaveLimiterHint : 0
; COMPUTE_PGM_RSRC2:SCRATCH_EN: 0
; COMPUTE_PGM_RSRC2:USER_SGPR: 6
; COMPUTE_PGM_RSRC2:TRAP_HANDLER: 0
; COMPUTE_PGM_RSRC2:TGID_X_EN: 1
; COMPUTE_PGM_RSRC2:TGID_Y_EN: 1
; COMPUTE_PGM_RSRC2:TGID_Z_EN: 1
; COMPUTE_PGM_RSRC2:TIDIG_COMP_CNT: 0
	.section	.text._ZL15flash_attn_tileILi112ELi112ELi4ELi1ELb0EEvPKcS1_S1_S1_S1_PKiPfP15HIP_vector_typeIfLj2EEffffjfiS5_IjLj3EEiiiiiiiiiiiliiliiiiil,"axG",@progbits,_ZL15flash_attn_tileILi112ELi112ELi4ELi1ELb0EEvPKcS1_S1_S1_S1_PKiPfP15HIP_vector_typeIfLj2EEffffjfiS5_IjLj3EEiiiiiiiiiiiliiliiiiil,comdat
	.globl	_ZL15flash_attn_tileILi112ELi112ELi4ELi1ELb0EEvPKcS1_S1_S1_S1_PKiPfP15HIP_vector_typeIfLj2EEffffjfiS5_IjLj3EEiiiiiiiiiiiliiliiiiil ; -- Begin function _ZL15flash_attn_tileILi112ELi112ELi4ELi1ELb0EEvPKcS1_S1_S1_S1_PKiPfP15HIP_vector_typeIfLj2EEffffjfiS5_IjLj3EEiiiiiiiiiiiliiliiiiil
	.p2align	8
	.type	_ZL15flash_attn_tileILi112ELi112ELi4ELi1ELb0EEvPKcS1_S1_S1_S1_PKiPfP15HIP_vector_typeIfLj2EEffffjfiS5_IjLj3EEiiiiiiiiiiiliiliiiiil,@function
_ZL15flash_attn_tileILi112ELi112ELi4ELi1ELb0EEvPKcS1_S1_S1_S1_PKiPfP15HIP_vector_typeIfLj2EEffffjfiS5_IjLj3EEiiiiiiiiiiiliiliiiiil: ; @_ZL15flash_attn_tileILi112ELi112ELi4ELi1ELb0EEvPKcS1_S1_S1_S1_PKiPfP15HIP_vector_typeIfLj2EEffffjfiS5_IjLj3EEiiiiiiiiiiiliiliiiiil
; %bb.0:
	s_load_dwordx4 s[36:39], s[4:5], 0x5c
	s_load_dwordx2 s[42:43], s[4:5], 0x80
	s_add_u32 flat_scratch_lo, s6, s11
	s_addc_u32 flat_scratch_hi, s7, 0
	s_add_u32 s0, s0, s11
	s_waitcnt lgkmcnt(0)
	v_cvt_f32_u32_e32 v2, s39
	s_addc_u32 s1, s1, 0
	s_sub_i32 s6, 0, s39
	s_load_dwordx16 s[16:31], s[4:5], 0x0
	v_rcp_iflag_f32_e32 v2, v2
	s_load_dwordx2 s[44:45], s[4:5], 0xb8
	s_mov_b64 s[40:41], 0
	v_mul_f32_e32 v2, 0x4f7ffffe, v2
	v_cvt_u32_f32_e32 v2, v2
	v_readfirstlane_b32 s7, v2
	s_mul_i32 s6, s6, s7
	s_mul_hi_u32 s6, s7, s6
	s_add_i32 s7, s7, s6
	s_mul_hi_u32 s6, s10, s7
	s_mul_i32 s7, s6, s39
	s_sub_i32 s7, s10, s7
	s_add_i32 s11, s6, 1
	s_sub_i32 s12, s7, s39
	s_cmp_ge_u32 s7, s39
	s_cselect_b32 s6, s11, s6
	s_cselect_b32 s7, s12, s7
	s_add_i32 s11, s6, 1
	s_cmp_ge_u32 s7, s39
	s_cselect_b32 s33, s11, s6
	s_abs_i32 s6, s43
	v_cvt_f32_u32_e32 v2, s6
	s_mul_i32 s12, s33, s39
	s_sub_i32 s13, 0, s6
	s_sub_i32 s34, s10, s12
	v_rcp_iflag_f32_e32 v2, v2
	s_abs_i32 s11, s39
	s_xor_b32 s7, s39, s43
	s_ashr_i32 s7, s7, 31
	v_mul_f32_e32 v2, 0x4f7ffffe, v2
	v_cvt_u32_f32_e32 v2, v2
	v_readfirstlane_b32 s10, v2
	s_mul_i32 s13, s13, s10
	s_mul_hi_u32 s12, s10, s13
	s_add_i32 s10, s10, s12
	s_mul_hi_u32 s10, s11, s10
	s_mul_i32 s12, s10, s6
	s_sub_i32 s11, s11, s12
	s_add_i32 s13, s10, 1
	s_sub_i32 s12, s11, s6
	s_cmp_ge_u32 s11, s6
	s_cselect_b32 s10, s13, s10
	s_cselect_b32 s11, s12, s11
	s_add_i32 s12, s10, 1
	s_cmp_ge_u32 s11, s6
	s_cselect_b32 s6, s12, s10
	s_xor_b32 s6, s6, s7
	s_sub_i32 s43, s6, s7
	s_abs_i32 s46, s43
	v_cvt_f32_u32_e32 v2, s46
	s_sub_i32 s7, 0, s46
	s_waitcnt lgkmcnt(0)
	s_cmp_eq_u64 s[22:23], 0
	v_rcp_iflag_f32_e32 v2, v2
	v_mul_f32_e32 v2, 0x4f7ffffe, v2
	v_cvt_u32_f32_e32 v2, v2
	v_readfirstlane_b32 s6, v2
	s_mul_i32 s7, s7, s6
	s_mul_hi_u32 s7, s6, s7
	s_cbranch_scc1 .LBB65_2
; %bb.1:
	s_abs_i32 s12, s44
	v_cvt_f32_u32_e32 v2, s12
	s_sub_i32 s15, 0, s12
	s_abs_i32 s14, s33
	s_ashr_i32 s13, s33, 31
	v_rcp_iflag_f32_e32 v2, v2
	s_load_dwordx2 s[10:11], s[4:5], 0xc8
	v_mul_f32_e32 v2, 0x4f7ffffe, v2
	v_cvt_u32_f32_e32 v2, v2
	v_readfirstlane_b32 s35, v2
	s_mul_i32 s15, s15, s35
	s_mul_hi_u32 s15, s35, s15
	s_add_i32 s35, s35, s15
	s_mul_hi_u32 s15, s14, s35
	s_mul_i32 s15, s15, s12
	s_sub_i32 s14, s14, s15
	s_sub_i32 s15, s14, s12
	s_cmp_ge_u32 s14, s12
	s_cselect_b32 s14, s15, s14
	s_sub_i32 s15, s14, s12
	s_cmp_ge_u32 s14, s12
	s_cselect_b32 s12, s15, s14
	s_xor_b32 s12, s12, s13
	s_sub_i32 s12, s12, s13
	s_ashr_i32 s13, s12, 31
	s_waitcnt lgkmcnt(0)
	s_mul_hi_u32 s14, s10, s12
	s_mul_i32 s13, s10, s13
	s_mul_i32 s11, s11, s12
	s_add_i32 s13, s14, s13
	s_add_i32 s13, s13, s11
	s_mul_i32 s10, s10, s12
	s_add_u32 s40, s22, s10
	s_addc_u32 s41, s23, s13
.LBB65_2:
	s_load_dwordx4 s[12:15], s[4:5], 0x40
	s_add_i32 s23, s6, s7
	s_load_dword s6, s[4:5], 0x50
	s_abs_i32 s22, s34
	v_mov_b32_e32 v61, 1.0
	s_waitcnt lgkmcnt(0)
	v_cmp_le_f32_e64 s[10:11], s13, 0
	s_and_b64 vcc, exec, s[10:11]
	s_cbranch_vccnz .LBB65_4
; %bb.3:
	v_mov_b32_e32 v2, s6
	v_sub_co_u32_e32 v2, vcc, s34, v2
	v_mov_b32_e32 v3, s15
	v_mov_b32_e32 v4, s14
	s_add_i32 s6, s34, 1
	v_lshlrev_b32_e32 v2, 1, v2
	v_cndmask_b32_e32 v3, v3, v4, vcc
	v_or_b32_e32 v2, 1, v2
	v_mov_b32_e32 v4, s6
	v_cndmask_b32_e32 v2, v2, v4, vcc
	v_cvt_f32_i32_e32 v2, v2
	v_cmp_neq_f32_e32 vcc, 1.0, v3
	s_mov_b32 s6, 0x3f2aaaab
	s_movk_i32 s10, 0x204
	v_cndmask_b32_e32 v4, 1.0, v2, vcc
	v_cmp_neq_f32_e32 vcc, 0, v4
	v_cndmask_b32_e32 v5, 1.0, v3, vcc
	v_frexp_mant_f32_e64 v2, |v5|
	v_cmp_gt_f32_e32 vcc, s6, v2
	v_cndmask_b32_e64 v3, 1.0, 2.0, vcc
	v_mul_f32_e32 v2, v2, v3
	v_add_f32_e32 v3, 1.0, v2
	v_rcp_f32_e32 v6, v3
	v_add_f32_e32 v7, -1.0, v2
	v_add_f32_e32 v8, -1.0, v3
	v_sub_f32_e32 v2, v2, v8
	v_mul_f32_e32 v8, v7, v6
	v_mul_f32_e32 v9, v3, v8
	v_fma_f32 v3, v8, v3, -v9
	v_fmac_f32_e32 v3, v8, v2
	v_add_f32_e32 v2, v9, v3
	v_sub_f32_e32 v10, v7, v2
	v_sub_f32_e32 v9, v2, v9
	;; [unrolled: 1-line block ×5, first 2 shown]
	v_add_f32_e32 v2, v3, v2
	v_add_f32_e32 v2, v10, v2
	v_mul_f32_e32 v2, v6, v2
	v_add_f32_e32 v6, v8, v2
	v_sub_f32_e32 v3, v6, v8
	v_sub_f32_e32 v7, v2, v3
	v_mul_f32_e32 v2, v6, v6
	v_fma_f32 v3, v6, v6, -v2
	v_add_f32_e32 v8, v7, v7
	v_fmac_f32_e32 v3, v6, v8
	v_add_f32_e32 v8, v2, v3
	v_mov_b32_e32 v9, 0x3e91f4c4
	v_sub_f32_e32 v2, v8, v2
	v_fmac_f32_e32 v9, 0x3e76c4e1, v8
	v_mov_b32_e32 v10, 0x3ecccdef
	v_sub_f32_e32 v2, v3, v2
	v_mul_f32_e32 v3, v6, v8
	v_fmac_f32_e32 v10, v8, v9
	v_fma_f32 v9, v8, v6, -v3
	v_fmac_f32_e32 v9, v8, v7
	v_fmac_f32_e32 v9, v2, v6
	v_add_f32_e32 v11, v3, v9
	v_sub_f32_e32 v3, v11, v3
	v_sub_f32_e32 v9, v9, v3
	v_mul_f32_e32 v3, v8, v10
	v_fma_f32 v8, v8, v10, -v3
	v_fmac_f32_e32 v8, v2, v10
	v_add_f32_e32 v10, v3, v8
	v_sub_f32_e32 v2, v10, v3
	v_sub_f32_e32 v8, v8, v2
	v_cvt_f64_f32_e64 v[2:3], |v5|
	v_add_f32_e32 v12, 0x3f2aaaaa, v10
	v_add_f32_e32 v13, 0xbf2aaaaa, v12
	;; [unrolled: 1-line block ×3, first 2 shown]
	v_frexp_exp_i32_f64_e32 v2, v[2:3]
	v_sub_f32_e32 v10, v10, v13
	v_add_f32_e32 v3, v8, v10
	v_add_f32_e32 v8, v12, v3
	v_sub_f32_e32 v10, v12, v8
	v_add_f32_e32 v3, v3, v10
	v_mul_f32_e32 v10, v11, v8
	v_fma_f32 v12, v11, v8, -v10
	v_subbrev_co_u32_e32 v2, vcc, 0, v2, vcc
	v_cvt_f32_i32_e32 v2, v2
	v_fmac_f32_e32 v12, v11, v3
	s_mov_b32 s6, 0x3f317218
	v_fmac_f32_e32 v12, v9, v8
	v_mul_f32_e32 v3, 0x3f317218, v2
	v_fma_f32 v8, v2, s6, -v3
	v_fmac_f32_e32 v8, 0xb102e308, v2
	v_ldexp_f32 v2, v7, 1
	v_add_f32_e32 v7, v3, v8
	v_sub_f32_e32 v3, v7, v3
	v_ldexp_f32 v6, v6, 1
	v_sub_f32_e32 v3, v8, v3
	v_add_f32_e32 v8, v10, v12
	v_sub_f32_e32 v9, v8, v10
	v_add_f32_e32 v10, v6, v8
	v_sub_f32_e32 v9, v12, v9
	v_sub_f32_e32 v6, v10, v6
	v_sub_f32_e32 v6, v8, v6
	v_add_f32_e32 v2, v2, v9
	v_add_f32_e32 v2, v2, v6
	;; [unrolled: 1-line block ×3, first 2 shown]
	v_sub_f32_e32 v8, v6, v10
	v_sub_f32_e32 v2, v2, v8
	v_add_f32_e32 v8, v7, v6
	v_sub_f32_e32 v9, v8, v7
	v_sub_f32_e32 v10, v8, v9
	v_sub_f32_e32 v7, v7, v10
	v_sub_f32_e32 v6, v6, v9
	v_add_f32_e32 v6, v6, v7
	v_add_f32_e32 v7, v3, v2
	v_sub_f32_e32 v9, v7, v3
	v_sub_f32_e32 v10, v7, v9
	;; [unrolled: 1-line block ×4, first 2 shown]
	v_add_f32_e32 v2, v2, v3
	v_add_f32_e32 v3, v7, v6
	;; [unrolled: 1-line block ×3, first 2 shown]
	v_sub_f32_e32 v7, v6, v8
	v_sub_f32_e32 v3, v3, v7
	v_add_f32_e32 v2, v2, v3
	v_add_f32_e32 v3, v6, v2
	v_sub_f32_e32 v6, v3, v6
	v_sub_f32_e32 v2, v2, v6
	v_mul_f32_e32 v6, v4, v3
	v_fma_f32 v3, v4, v3, -v6
	v_fmac_f32_e32 v3, v4, v2
	v_add_f32_e32 v2, v6, v3
	v_cmp_class_f32_e64 vcc, v6, s10
	v_sub_f32_e32 v7, v2, v6
	v_cndmask_b32_e32 v2, v2, v6, vcc
	s_mov_b32 s7, 0x42b17218
	v_mov_b32_e32 v6, 0x37000000
	v_cmp_eq_f32_e32 vcc, s7, v2
	v_cndmask_b32_e32 v6, 0, v6, vcc
	v_sub_f32_e32 v3, v3, v7
	v_sub_f32_e32 v7, v2, v6
	s_mov_b32 s11, 0x3fb8aa3b
	v_mul_f32_e32 v8, 0x3fb8aa3b, v7
	v_fma_f32 v9, v7, s11, -v8
	v_rndne_f32_e32 v10, v8
	v_fmac_f32_e32 v9, 0x32a5705f, v7
	v_sub_f32_e32 v8, v8, v10
	v_add_f32_e32 v8, v8, v9
	v_exp_f32_e32 v8, v8
	v_cvt_i32_f32_e32 v9, v10
	s_mov_b32 s6, 0x7f800000
	v_cmp_neq_f32_e64 vcc, |v2|, s6
	s_mov_b32 s6, 0xc2ce8ed0
	v_cndmask_b32_e32 v2, 0, v3, vcc
	v_ldexp_f32 v3, v8, v9
	v_cmp_ngt_f32_e32 vcc, s6, v7
	v_add_f32_e32 v2, v6, v2
	v_cndmask_b32_e32 v3, 0, v3, vcc
	v_mov_b32_e32 v6, 0x7f800000
	v_cmp_nlt_f32_e32 vcc, s7, v7
	v_cndmask_b32_e32 v3, v6, v3, vcc
	v_fma_f32 v2, v3, v2, v3
	v_cmp_class_f32_e64 vcc, v3, s10
	v_cndmask_b32_e32 v2, v2, v3, vcc
	v_trunc_f32_e32 v3, v4
	v_cmp_eq_f32_e32 vcc, v3, v4
	v_mul_f32_e32 v3, 0.5, v4
	v_trunc_f32_e32 v8, v3
	v_cmp_neq_f32_e64 s[6:7], v8, v3
	s_and_b64 s[6:7], vcc, s[6:7]
	v_cndmask_b32_e64 v3, 1.0, v5, s[6:7]
	s_brev_b32 s13, -2
	v_mov_b32_e32 v7, 0x7fc00000
	v_bfi_b32 v2, s13, v2, v3
	v_cndmask_b32_e32 v3, v7, v2, vcc
	v_cmp_gt_f32_e32 vcc, 0, v5
	v_cndmask_b32_e32 v2, v2, v3, vcc
	v_cmp_class_f32_e64 s[14:15], v5, s10
	v_cmp_eq_f32_e32 vcc, 0, v5
	v_cmp_gt_f32_e64 s[10:11], 0, v4
	s_xor_b64 s[10:11], s[10:11], vcc
	v_cndmask_b32_e64 v3, v6, 0, s[10:11]
	v_cndmask_b32_e64 v4, 0, v5, s[6:7]
	v_bfi_b32 v3, s13, v3, v4
	s_or_b64 vcc, vcc, s[14:15]
	v_cndmask_b32_e32 v2, v2, v3, vcc
	v_cmp_o_f32_e32 vcc, v5, v5
	v_cndmask_b32_e32 v61, v7, v2, vcc
.LBB65_4:
	s_lshl_b32 s10, s8, 2
	s_movk_i32 s11, 0xe0
	v_mov_b32_e32 v2, 0x1040
	s_mul_hi_u32 s13, s22, s23
	v_cmp_gt_u32_e64 s[6:7], 28, v0
	v_mad_u32_u24 v62, v1, s11, v2
	v_lshlrev_b32_e32 v56, 3, v0
	v_add_u32_e32 v55, s10, v1
	s_and_saveexec_b64 s[10:11], s[6:7]
	s_cbranch_execz .LBB65_6
; %bb.5:
	s_load_dwordx4 s[48:51], s[4:5], 0x70
	v_mul_hi_u32 v2, s36, v55
	v_add_u32_e32 v6, v62, v56
	v_add_u32_e32 v2, v55, v2
	s_waitcnt lgkmcnt(0)
	s_mul_i32 s14, s33, s50
	s_ashr_i32 s23, s14, 31
	v_lshrrev_b32_e32 v2, s37, v2
	s_mul_i32 s15, s34, s49
	s_add_u32 s14, s16, s14
	v_mul_lo_u32 v2, v2, s38
	s_addc_u32 s16, s17, s23
	s_ashr_i32 s17, s15, 31
	s_add_u32 s23, s14, s15
	s_addc_u32 s16, s16, s17
	s_ashr_i32 s49, s48, 31
	s_lshr_b64 s[14:15], s[48:49], 2
	v_sub_u32_e32 v4, v55, v2
	v_mad_u64_u32 v[2:3], s[14:15], s14, v4, 0
	s_lshr_b32 s14, s49, 2
	v_mad_u64_u32 v[3:4], s[14:15], s14, v4, v[3:4]
	v_mov_b32_e32 v4, s16
	v_lshlrev_b64 v[2:3], 2, v[2:3]
	v_add_co_u32_e32 v2, vcc, s23, v2
	v_addc_co_u32_e32 v3, vcc, v4, v3, vcc
	v_lshlrev_b32_e32 v4, 4, v0
	v_add_co_u32_e32 v2, vcc, v2, v4
	v_addc_co_u32_e32 v3, vcc, 0, v3, vcc
	global_load_dwordx4 v[2:5], v[2:3], off
	s_waitcnt vmcnt(0)
	v_fma_mixlo_f16 v2, s12, v2, 0
	v_fma_mixlo_f16 v3, s12, v3, 0
	;; [unrolled: 1-line block ×4, first 2 shown]
	v_lshlrev_b32_e32 v3, 16, v3
	v_and_b32_e32 v2, 0xffff, v2
	v_lshlrev_b32_e32 v5, 16, v5
	v_and_b32_e32 v4, 0xffff, v4
	v_or_b32_e32 v2, v3, v2
	v_or3_b32 v3, v5, v4, 0
	v_or3_b32 v2, 0, 0, v2
	ds_write_b64 v6, v[2:3]
.LBB65_6:
	s_or_b64 exec, exec, s[10:11]
	s_ashr_i32 s35, s34, 31
	s_ashr_i32 s10, s43, 31
	s_cmp_eq_u64 s[26:27], 0
	s_waitcnt lgkmcnt(0)
	s_barrier
	s_cbranch_scc1 .LBB65_8
; %bb.7:
	s_load_dword s11, s[4:5], 0xd0
	s_mov_b32 s15, 0
	s_waitcnt lgkmcnt(0)
	s_mul_i32 s11, s11, s33
	s_add_i32 s14, s11, s8
	s_lshl_b64 s[14:15], s[14:15], 2
	s_add_u32 s14, s26, s14
	s_addc_u32 s15, s27, s15
	s_load_dword s42, s[14:15], 0x0
.LBB65_8:
	s_nop 0
	s_load_dwordx2 s[14:15], s[4:5], 0x8c
	s_load_dwordx4 s[52:55], s[4:5], 0x98
	s_load_dwordx2 s[16:17], s[4:5], 0xa8
	s_ashr_i32 s11, s33, 31
	s_ashr_i32 s49, s45, 1
	s_waitcnt lgkmcnt(0)
	s_ashr_i32 s43, s14, 2
	s_mul_hi_u32 s12, s52, s33
	s_mul_i32 s14, s52, s11
	s_add_i32 s12, s12, s14
	s_mul_i32 s14, s53, s33
	s_ashr_i32 s8, s54, 2
	s_add_i32 s12, s12, s14
	s_mul_i32 s14, s52, s33
	s_add_u32 s14, s18, s14
	s_mul_i32 s18, s13, s46
	s_addc_u32 s12, s19, s12
	s_sub_i32 s18, s22, s18
	s_xor_b32 s10, s35, s10
	s_add_i32 s19, s13, 1
	s_sub_i32 s22, s18, s46
	s_cmp_ge_u32 s18, s46
	s_cselect_b32 s13, s19, s13
	s_cselect_b32 s18, s22, s18
	s_add_i32 s19, s13, 1
	s_cmp_ge_u32 s18, s46
	s_cselect_b32 s13, s19, s13
	s_xor_b32 s13, s13, s10
	s_sub_i32 s10, s13, s10
	s_mul_i32 s13, s10, s15
	s_ashr_i32 s15, s13, 31
	s_add_u32 s51, s14, s13
	s_addc_u32 s50, s12, s15
	s_mul_hi_u32 s12, s16, s33
	s_mul_i32 s11, s16, s11
	s_add_i32 s11, s12, s11
	s_mul_i32 s12, s17, s33
	s_add_i32 s11, s11, s12
	s_mul_i32 s12, s16, s33
	s_add_u32 s12, s20, s12
	s_mul_i32 s10, s10, s55
	s_addc_u32 s11, s21, s11
	s_ashr_i32 s13, s10, 31
	s_add_u32 s46, s12, s10
	s_addc_u32 s47, s11, s13
	s_lshl_b32 s48, s9, 5
	s_sub_i32 s52, s42, 32
	s_cmp_ge_i32 s48, s52
	v_lshl_add_u32 v69, v1, 5, v0
	v_lshrrev_b32_e32 v68, 1, v0
	v_lshlrev_b32_e32 v59, 2, v0
	v_lshrrev_b32_e32 v67, 2, v0
	v_lshlrev_b32_e32 v65, 7, v0
	v_lshrrev_b32_e32 v60, 3, v0
	v_mbcnt_lo_u32_b32 v63, -1, 0
	s_cbranch_scc1 .LBB65_31
; %bb.9:
	v_mul_hi_u32 v7, s36, v55
	v_lshl_add_u32 v9, v1, 4, v68
	v_and_b32_e32 v15, 4, v59
	v_lshl_add_u32 v11, v1, 3, v67
	v_add_u32_e32 v7, v55, v7
	v_lshrrev_b32_e32 v7, s37, v7
	v_mul_lo_u32 v8, v7, s38
	v_and_b32_e32 v14, 12, v59
	v_lshlrev_b32_e32 v6, 7, v9
	v_lshlrev_b32_e32 v10, 2, v15
	v_sub_u32_e32 v8, v55, v8
	v_mad_u64_u32 v[42:43], s[12:13], v8, s49, v[0:1]
	v_mul_u32_u24_e32 v16, 0xe0, v9
	v_cmp_gt_u32_e64 s[10:11], 32, v9
	v_lshlrev_b32_e32 v12, 2, v14
	v_or3_b32 v72, v6, v10, 64
	v_mul_lo_u32 v6, s43, v9
	v_mov_b32_e32 v8, 0x13c0
	v_cmp_gt_u32_e64 s[12:13], 16, v9
	v_lshl_add_u32 v13, v1, 2, v60
	v_or_b32_e32 v16, v16, v10
	v_mul_lo_u32 v10, s8, v9
	v_mul_u32_u24_e32 v9, 0xe0, v11
	s_movk_i32 s17, 0x80
	v_mul_lo_u32 v2, s43, v11
	v_mul_lo_u32 v4, s43, v69
	v_lshl_or_b32 v70, v11, 7, v12
	v_lshl_add_u32 v73, v1, 6, v8
	v_mul_lo_u32 v8, s8, v13
	v_add3_u32 v74, v9, v12, s17
	v_mul_lo_u32 v12, s8, v11
	v_and_b32_e32 v17, 28, v59
	s_movk_i32 s16, 0xe0
	v_lshlrev_b32_e32 v9, 2, v17
	v_ashrrev_i32_e32 v3, 31, v2
	v_ashrrev_i32_e32 v5, 31, v4
	;; [unrolled: 1-line block ×3, first 2 shown]
	s_cmp_lg_u64 s[40:41], 0
	v_cmp_gt_u32_e64 s[14:15], 16, v11
	v_mad_u32_u24 v75, v13, s16, v9
	v_ashrrev_i32_e32 v9, 31, v8
	v_ashrrev_i32_e32 v11, 31, v10
	;; [unrolled: 1-line block ×3, first 2 shown]
	s_cselect_b64 s[22:23], -1, 0
	s_add_u32 s26, s4, 0xd0
	v_lshlrev_b64 v[43:44], 2, v[4:5]
	v_lshlrev_b64 v[45:46], 2, v[6:7]
	v_lshlrev_b64 v[47:48], 2, v[2:3]
	v_lshlrev_b64 v[49:50], 2, v[10:11]
	v_lshlrev_b64 v[51:52], 2, v[12:13]
	v_lshlrev_b64 v[53:54], 2, v[8:9]
	v_cmp_gt_u32_e64 s[18:19], 32, v69
	v_mov_b32_e32 v57, 0
	v_or_b32_e32 v71, 0x60, v65
	v_add_u32_e32 v76, 0xc0, v16
	s_addc_u32 s27, s5, 0
	v_lshlrev_b32_e32 v77, 2, v14
	s_mov_b32 s53, 0x3fb8aa3b
	s_mov_b32 s54, 0xc2ce8ed0
	;; [unrolled: 1-line block ×4, first 2 shown]
	v_lshlrev_b32_e32 v78, 2, v17
	v_lshlrev_b32_e32 v79, 2, v15
	v_lshl_add_u32 v80, v0, 1, v73
	v_mov_b32_e32 v4, 0xfeffffff
	v_mbcnt_hi_u32_b32 v81, -1, v63
	v_mov_b32_e32 v82, 0x7f800000
	v_mov_b32_e32 v58, 0
	;; [unrolled: 1-line block ×3, first 2 shown]
.LBB65_10:                              ; =>This Inner Loop Header: Depth=1
	s_mul_hi_i32 s17, s48, s43
	s_mul_i32 s16, s48, s43
	s_lshl_b64 s[16:17], s[16:17], 2
	s_add_u32 s20, s51, s16
	s_addc_u32 s21, s50, s17
	s_and_saveexec_b64 s[16:17], s[18:19]
	s_cbranch_execz .LBB65_12
; %bb.11:                               ;   in Loop: Header=BB65_10 Depth=1
	v_mov_b32_e32 v3, s21
	v_add_co_u32_e32 v2, vcc, s20, v43
	v_addc_co_u32_e32 v3, vcc, v3, v44, vcc
	global_load_dwordx4 v[5:8], v[2:3], off offset:96
	s_waitcnt vmcnt(0)
	ds_write_b128 v71, v[5:8]
.LBB65_12:                              ;   in Loop: Header=BB65_10 Depth=1
	s_or_b64 exec, exec, s[16:17]
	s_and_saveexec_b64 s[16:17], s[10:11]
	s_cbranch_execz .LBB65_14
; %bb.13:                               ;   in Loop: Header=BB65_10 Depth=1
	v_mov_b32_e32 v2, s21
	v_add_co_u32_e32 v3, vcc, s20, v45
	v_addc_co_u32_e32 v5, vcc, v2, v46, vcc
	v_add_co_u32_e32 v2, vcc, v3, v79
	v_addc_co_u32_e32 v3, vcc, 0, v5, vcc
	global_load_dwordx4 v[5:8], v[2:3], off offset:64
	s_waitcnt vmcnt(0)
	ds_write_b128 v72, v[5:8]
.LBB65_14:                              ;   in Loop: Header=BB65_10 Depth=1
	s_or_b64 exec, exec, s[16:17]
	v_mov_b32_e32 v2, s21
	v_add_co_u32_e32 v3, vcc, s20, v47
	v_addc_co_u32_e32 v5, vcc, v2, v48, vcc
	v_add_co_u32_e32 v2, vcc, v3, v77
	v_addc_co_u32_e32 v3, vcc, 0, v5, vcc
	global_load_dwordx4 v[5:8], v[2:3], off
	s_waitcnt vmcnt(0)
	ds_write_b128 v70, v[5:8]
	s_waitcnt lgkmcnt(0)
	s_barrier
	ds_read_b128 v[6:9], v65
	ds_read_b128 v[10:13], v62
	v_mov_b32_e32 v5, 0
	s_waitcnt lgkmcnt(0)
	;;#ASMSTART
	v_dot2_f32_f16 v5, v6, v10, v5
	;;#ASMEND
	;;#ASMSTART
	v_dot2_f32_f16 v5, v7, v11, v5
	;;#ASMEND
	;;#ASMSTART
	v_dot2_f32_f16 v5, v8, v12, v5
	;;#ASMEND
	;;#ASMSTART
	v_dot2_f32_f16 v5, v9, v13, v5
	;;#ASMEND
	ds_read_b128 v[6:9], v65 offset:16
	ds_read_b128 v[10:13], v62 offset:16
	s_waitcnt lgkmcnt(0)
	;;#ASMSTART
	v_dot2_f32_f16 v5, v6, v10, v5
	;;#ASMEND
	;;#ASMSTART
	v_dot2_f32_f16 v5, v7, v11, v5
	;;#ASMEND
	;;#ASMSTART
	v_dot2_f32_f16 v5, v8, v12, v5
	;;#ASMEND
	;;#ASMSTART
	v_dot2_f32_f16 v5, v9, v13, v5
	;;#ASMEND
	ds_read_b128 v[6:9], v65 offset:32
	ds_read_b128 v[10:13], v62 offset:32
	s_waitcnt lgkmcnt(0)
	;;#ASMSTART
	v_dot2_f32_f16 v5, v6, v10, v5
	;;#ASMEND
	;;#ASMSTART
	v_dot2_f32_f16 v5, v7, v11, v5
	;;#ASMEND
	;;#ASMSTART
	v_dot2_f32_f16 v5, v8, v12, v5
	;;#ASMEND
	;;#ASMSTART
	v_dot2_f32_f16 v5, v9, v13, v5
	;;#ASMEND
	ds_read_b128 v[6:9], v65 offset:48
	ds_read_b128 v[10:13], v62 offset:48
	s_waitcnt lgkmcnt(0)
	;;#ASMSTART
	v_dot2_f32_f16 v5, v6, v10, v5
	;;#ASMEND
	;;#ASMSTART
	v_dot2_f32_f16 v5, v7, v11, v5
	;;#ASMEND
	;;#ASMSTART
	v_dot2_f32_f16 v5, v8, v12, v5
	;;#ASMEND
	;;#ASMSTART
	v_dot2_f32_f16 v5, v9, v13, v5
	;;#ASMEND
	ds_read_b128 v[6:9], v65 offset:64
	ds_read_b128 v[10:13], v62 offset:64
	s_waitcnt lgkmcnt(0)
	;;#ASMSTART
	v_dot2_f32_f16 v5, v6, v10, v5
	;;#ASMEND
	;;#ASMSTART
	v_dot2_f32_f16 v5, v7, v11, v5
	;;#ASMEND
	;;#ASMSTART
	v_dot2_f32_f16 v5, v8, v12, v5
	;;#ASMEND
	;;#ASMSTART
	v_dot2_f32_f16 v5, v9, v13, v5
	;;#ASMEND
	ds_read_b128 v[6:9], v65 offset:80
	ds_read_b128 v[10:13], v62 offset:80
	s_waitcnt lgkmcnt(0)
	;;#ASMSTART
	v_dot2_f32_f16 v5, v6, v10, v5
	;;#ASMEND
	;;#ASMSTART
	v_dot2_f32_f16 v5, v7, v11, v5
	;;#ASMEND
	;;#ASMSTART
	v_dot2_f32_f16 v5, v8, v12, v5
	;;#ASMEND
	;;#ASMSTART
	v_dot2_f32_f16 v5, v9, v13, v5
	;;#ASMEND
	ds_read_b128 v[6:9], v65 offset:96
	ds_read_b128 v[10:13], v62 offset:96
	s_waitcnt lgkmcnt(0)
	;;#ASMSTART
	v_dot2_f32_f16 v5, v6, v10, v5
	;;#ASMEND
	;;#ASMSTART
	v_dot2_f32_f16 v5, v7, v11, v5
	;;#ASMEND
	;; [unrolled: 3-line block ×4, first 2 shown]
	s_barrier
	s_and_saveexec_b64 s[16:17], s[18:19]
	s_cbranch_execz .LBB65_16
; %bb.15:                               ;   in Loop: Header=BB65_10 Depth=1
	v_mov_b32_e32 v7, s21
	v_add_co_u32_e32 v6, vcc, s20, v43
	v_addc_co_u32_e32 v7, vcc, v7, v44, vcc
	global_load_dwordx4 v[6:9], v[6:7], off offset:208
	s_waitcnt vmcnt(0)
	ds_write_b128 v71, v[6:9]
.LBB65_16:                              ;   in Loop: Header=BB65_10 Depth=1
	s_or_b64 exec, exec, s[16:17]
	s_and_saveexec_b64 s[16:17], s[10:11]
	s_cbranch_execz .LBB65_18
; %bb.17:                               ;   in Loop: Header=BB65_10 Depth=1
	v_mov_b32_e32 v6, s21
	v_add_co_u32_e32 v7, vcc, s20, v45
	v_addc_co_u32_e32 v8, vcc, v6, v46, vcc
	v_add_co_u32_e32 v6, vcc, v7, v79
	v_addc_co_u32_e32 v7, vcc, 0, v8, vcc
	global_load_dwordx4 v[6:9], v[6:7], off offset:176
	s_waitcnt vmcnt(0)
	ds_write_b128 v72, v[6:9]
.LBB65_18:                              ;   in Loop: Header=BB65_10 Depth=1
	s_or_b64 exec, exec, s[16:17]
	global_load_dwordx4 v[6:9], v[2:3], off offset:112
	s_andn2_b64 vcc, exec, s[22:23]
	s_waitcnt vmcnt(0)
	ds_write_b128 v70, v[6:9]
	s_waitcnt lgkmcnt(0)
	s_barrier
	ds_read_b128 v[6:9], v65
	ds_read_b128 v[10:13], v62 offset:112
	s_waitcnt lgkmcnt(0)
	;;#ASMSTART
	v_dot2_f32_f16 v5, v6, v10, v5
	;;#ASMEND
	;;#ASMSTART
	v_dot2_f32_f16 v5, v7, v11, v5
	;;#ASMEND
	;;#ASMSTART
	v_dot2_f32_f16 v5, v8, v12, v5
	;;#ASMEND
	;;#ASMSTART
	v_dot2_f32_f16 v5, v9, v13, v5
	;;#ASMEND
	ds_read_b128 v[6:9], v65 offset:16
	ds_read_b128 v[10:13], v62 offset:128
	s_waitcnt lgkmcnt(0)
	;;#ASMSTART
	v_dot2_f32_f16 v5, v6, v10, v5
	;;#ASMEND
	;;#ASMSTART
	v_dot2_f32_f16 v5, v7, v11, v5
	;;#ASMEND
	;;#ASMSTART
	v_dot2_f32_f16 v5, v8, v12, v5
	;;#ASMEND
	;;#ASMSTART
	v_dot2_f32_f16 v5, v9, v13, v5
	;;#ASMEND
	ds_read_b128 v[6:9], v65 offset:32
	;; [unrolled: 15-line block ×6, first 2 shown]
	ds_read_b128 v[10:13], v62 offset:208
	s_waitcnt lgkmcnt(0)
	;;#ASMSTART
	v_dot2_f32_f16 v5, v6, v10, v5
	;;#ASMEND
	;;#ASMSTART
	v_dot2_f32_f16 v5, v7, v11, v5
	;;#ASMEND
	;; [unrolled: 3-line block ×4, first 2 shown]
	s_cbranch_vccnz .LBB65_20
; %bb.19:                               ;   in Loop: Header=BB65_10 Depth=1
	v_add_u32_e32 v2, s48, v42
	v_ashrrev_i32_e32 v3, 31, v2
	v_lshlrev_b64 v[2:3], 1, v[2:3]
	v_mov_b32_e32 v6, s41
	v_add_co_u32_e32 v2, vcc, s40, v2
	v_addc_co_u32_e32 v3, vcc, v6, v3, vcc
	global_load_ushort v2, v[2:3], off
	s_waitcnt vmcnt(0)
	v_cvt_f32_f16_e32 v2, v2
	v_mul_f32_e32 v2, v61, v2
	s_branch .LBB65_21
.LBB65_20:                              ;   in Loop: Header=BB65_10 Depth=1
	v_mov_b32_e32 v2, 0
.LBB65_21:                              ;   in Loop: Header=BB65_10 Depth=1
	v_and_b32_e32 v3, 0x60, v81
	v_add_u32_e32 v3, 32, v3
	v_xor_b32_e32 v6, 16, v81
	v_cmp_lt_i32_e32 vcc, v6, v3
	v_add_f32_e32 v2, v5, v2
	v_cndmask_b32_e32 v6, v81, v6, vcc
	v_add_f32_e32 v5, 0x40051340, v2
	v_max_f32_e32 v7, v4, v4
	v_lshlrev_b32_e32 v6, 2, v6
	v_max_f32_e32 v5, v7, v5
	ds_bpermute_b32 v6, v6, v5
	v_xor_b32_e32 v7, 8, v81
	v_cmp_lt_i32_e32 vcc, v7, v3
	v_cndmask_b32_e32 v7, v81, v7, vcc
	v_lshlrev_b32_e32 v7, 2, v7
	s_waitcnt lgkmcnt(0)
	v_max_f32_e32 v6, v6, v6
	v_max_f32_e32 v5, v5, v6
	ds_bpermute_b32 v6, v7, v5
	v_xor_b32_e32 v7, 4, v81
	v_cmp_lt_i32_e32 vcc, v7, v3
	v_cndmask_b32_e32 v7, v81, v7, vcc
	v_lshlrev_b32_e32 v7, 2, v7
	s_waitcnt lgkmcnt(0)
	v_max_f32_e32 v6, v6, v6
	v_max_f32_e32 v5, v5, v6
	ds_bpermute_b32 v6, v7, v5
	v_xor_b32_e32 v7, 2, v81
	v_cmp_lt_i32_e32 vcc, v7, v3
	v_cndmask_b32_e32 v7, v81, v7, vcc
	v_lshlrev_b32_e32 v7, 2, v7
	s_waitcnt lgkmcnt(0)
	v_max_f32_e32 v6, v6, v6
	v_max_f32_e32 v5, v5, v6
	ds_bpermute_b32 v6, v7, v5
	v_xor_b32_e32 v7, 1, v81
	v_cmp_lt_i32_e32 vcc, v7, v3
	v_cndmask_b32_e32 v3, v81, v7, vcc
	v_lshlrev_b32_e32 v3, 2, v3
	s_waitcnt lgkmcnt(0)
	v_max_f32_e32 v6, v6, v6
	v_max_f32_e32 v5, v5, v6
	ds_bpermute_b32 v3, v3, v5
	s_mul_hi_i32 s17, s48, s8
	s_mul_i32 s16, s48, s8
	s_lshl_b64 s[16:17], s[16:17], 2
	s_add_u32 s20, s46, s16
	s_waitcnt lgkmcnt(0)
	v_max_f32_e32 v3, v3, v3
	v_max_f32_e32 v66, v5, v3
	v_sub_f32_e32 v2, v2, v66
	v_mul_f32_e32 v3, 0x3fb8aa3b, v2
	v_fma_f32 v5, v2, s53, -v3
	v_rndne_f32_e32 v6, v3
	v_fmac_f32_e32 v5, 0x32a5705f, v2
	v_sub_f32_e32 v3, v3, v6
	v_add_f32_e32 v3, v3, v5
	v_exp_f32_e32 v3, v3
	v_cvt_i32_f32_e32 v5, v6
	v_cmp_ngt_f32_e32 vcc, s54, v2
	s_addc_u32 s21, s47, s17
	v_ldexp_f32 v3, v3, v5
	v_cndmask_b32_e32 v3, 0, v3, vcc
	v_cmp_nlt_f32_e32 vcc, s55, v2
	v_cndmask_b32_e32 v64, v82, v3, vcc
	v_cvt_f16_f32_e32 v2, v64
	s_barrier
	ds_write_b16 v80, v2
	s_and_saveexec_b64 s[16:17], s[12:13]
	s_cbranch_execz .LBB65_23
; %bb.22:                               ;   in Loop: Header=BB65_10 Depth=1
	v_mov_b32_e32 v2, s21
	v_add_co_u32_e32 v3, vcc, s20, v49
	v_addc_co_u32_e32 v5, vcc, v2, v50, vcc
	v_add_co_u32_e32 v2, vcc, v3, v79
	v_addc_co_u32_e32 v3, vcc, 0, v5, vcc
	global_load_dwordx4 v[5:8], v[2:3], off offset:192
	s_waitcnt vmcnt(0)
	ds_write_b128 v76, v[5:8]
.LBB65_23:                              ;   in Loop: Header=BB65_10 Depth=1
	s_or_b64 exec, exec, s[16:17]
	s_and_saveexec_b64 s[16:17], s[14:15]
	s_cbranch_execz .LBB65_25
; %bb.24:                               ;   in Loop: Header=BB65_10 Depth=1
	v_mov_b32_e32 v2, s21
	v_add_co_u32_e32 v3, vcc, s20, v51
	v_addc_co_u32_e32 v5, vcc, v2, v52, vcc
	v_add_co_u32_e32 v2, vcc, v3, v77
	v_addc_co_u32_e32 v3, vcc, 0, v5, vcc
	global_load_dwordx4 v[5:8], v[2:3], off offset:128
	s_waitcnt vmcnt(0)
	ds_write_b128 v74, v[5:8]
.LBB65_25:                              ;   in Loop: Header=BB65_10 Depth=1
	s_or_b64 exec, exec, s[16:17]
	v_mov_b32_e32 v2, s21
	v_add_co_u32_e32 v3, vcc, s20, v53
	v_addc_co_u32_e32 v5, vcc, v2, v54, vcc
	v_add_co_u32_e32 v2, vcc, v3, v78
	v_addc_co_u32_e32 v3, vcc, 0, v5, vcc
	global_load_dwordx4 v[5:8], v[2:3], off
	v_sub_f32_e32 v85, v4, v66
	v_add_u32_e32 v84, 0x800, v56
	s_or_b32 s20, s48, 16
	s_mul_hi_i32 s21, s20, s8
	s_mul_i32 s20, s20, s8
	s_lshl_b64 s[20:21], s[20:21], 2
	s_add_u32 s57, s46, s20
	v_cmp_ngt_f32_e32 vcc, s54, v85
	v_cmp_nlt_f32_e64 s[16:17], s55, v85
	s_addc_u32 s58, s47, s21
	s_waitcnt vmcnt(0)
	ds_write_b128 v75, v[5:8]
	s_waitcnt lgkmcnt(0)
	s_barrier
	ds_read2_b64 v[30:33], v56 offset1:28
	ds_read_b128 v[38:41], v73
	ds_read_b128 v[34:37], v73 offset:16
	ds_read2_b64 v[26:29], v56 offset0:56 offset1:84
	ds_read2_b64 v[22:25], v56 offset0:112 offset1:140
	;; [unrolled: 1-line block ×7, first 2 shown]
	s_waitcnt lgkmcnt(0)
	s_barrier
	s_and_saveexec_b64 s[44:45], s[12:13]
	s_cbranch_execz .LBB65_27
; %bb.26:                               ;   in Loop: Header=BB65_10 Depth=1
	v_mov_b32_e32 v86, s58
	v_add_co_u32_e64 v87, s[20:21], s57, v49
	v_addc_co_u32_e64 v88, s[20:21], v86, v50, s[20:21]
	v_add_co_u32_e64 v86, s[20:21], v87, v79
	v_addc_co_u32_e64 v87, s[20:21], 0, v88, s[20:21]
	global_load_dwordx4 v[86:89], v[86:87], off offset:192
	s_waitcnt vmcnt(0)
	ds_write_b128 v76, v[86:89]
.LBB65_27:                              ;   in Loop: Header=BB65_10 Depth=1
	s_or_b64 exec, exec, s[44:45]
	s_and_saveexec_b64 s[44:45], s[14:15]
	s_cbranch_execz .LBB65_29
; %bb.28:                               ;   in Loop: Header=BB65_10 Depth=1
	v_mov_b32_e32 v86, s58
	v_add_co_u32_e64 v87, s[20:21], s57, v51
	v_addc_co_u32_e64 v88, s[20:21], v86, v52, s[20:21]
	v_add_co_u32_e64 v86, s[20:21], v87, v77
	v_addc_co_u32_e64 v87, s[20:21], 0, v88, s[20:21]
	global_load_dwordx4 v[86:89], v[86:87], off offset:128
	s_waitcnt vmcnt(0)
	ds_write_b128 v74, v[86:89]
.LBB65_29:                              ;   in Loop: Header=BB65_10 Depth=1
	s_or_b64 exec, exec, s[44:45]
	v_mov_b32_e32 v86, s58
	v_add_co_u32_e64 v87, s[20:21], s57, v53
	v_addc_co_u32_e64 v88, s[20:21], v86, v54, s[20:21]
	v_add_co_u32_e64 v86, s[20:21], v87, v78
	v_addc_co_u32_e64 v87, s[20:21], 0, v88, s[20:21]
	global_load_dwordx4 v[86:89], v[86:87], off
	v_mul_f32_e32 v90, 0x3fb8aa3b, v85
	v_fma_f32 v98, v85, s53, -v90
	v_rndne_f32_e32 v99, v90
	v_fmac_f32_e32 v98, 0x32a5705f, v85
	v_sub_f32_e32 v85, v90, v99
	v_add_f32_e32 v85, v85, v98
	v_cvt_i32_f32_e32 v90, v99
	v_exp_f32_e32 v85, v85
	v_mul_u32_u24_sdwa v91, v38, s56 dst_sel:DWORD dst_unused:UNUSED_PAD src0_sel:WORD_0 src1_sel:DWORD
	v_pk_mul_f16 v30, v30, v91
	v_pk_mul_f16 v31, v31, v91
	v_ldexp_f32 v85, v85, v90
	v_cndmask_b32_e32 v85, 0, v85, vcc
	v_cndmask_b32_e64 v85, v82, v85, s[16:17]
	v_cvt_f16_f32_e32 v90, v85
	v_fmac_f32_e32 v64, v83, v85
	v_mul_u32_u24_sdwa v38, v38, s56 dst_sel:DWORD dst_unused:UNUSED_PAD src0_sel:WORD_1 src1_sel:DWORD
	v_mul_u32_u24_sdwa v92, v39, s56 dst_sel:DWORD dst_unused:UNUSED_PAD src0_sel:WORD_0 src1_sel:DWORD
	v_mul_u32_u24_e32 v83, 0x10001, v90
	v_pk_fma_f16 v30, v57, v83, v30
	v_pk_fma_f16 v31, v58, v83, v31
	;; [unrolled: 1-line block ×4, first 2 shown]
	v_mul_u32_u24_sdwa v39, v39, s56 dst_sel:DWORD dst_unused:UNUSED_PAD src0_sel:WORD_1 src1_sel:DWORD
	v_pk_fma_f16 v26, v26, v92, v30
	v_pk_fma_f16 v27, v27, v92, v31
	v_mul_u32_u24_sdwa v93, v40, s56 dst_sel:DWORD dst_unused:UNUSED_PAD src0_sel:WORD_0 src1_sel:DWORD
	v_pk_fma_f16 v26, v28, v39, v26
	v_pk_fma_f16 v27, v29, v39, v27
	v_mul_u32_u24_sdwa v40, v40, s56 dst_sel:DWORD dst_unused:UNUSED_PAD src0_sel:WORD_1 src1_sel:DWORD
	v_pk_fma_f16 v22, v22, v93, v26
	v_pk_fma_f16 v23, v23, v93, v27
	v_mul_u32_u24_sdwa v94, v41, s56 dst_sel:DWORD dst_unused:UNUSED_PAD src0_sel:WORD_0 src1_sel:DWORD
	v_pk_fma_f16 v22, v24, v40, v22
	v_pk_fma_f16 v23, v25, v40, v23
	;; [unrolled: 6-line block ×6, first 2 shown]
	v_mul_u32_u24_sdwa v37, v37, s56 dst_sel:DWORD dst_unused:UNUSED_PAD src0_sel:WORD_1 src1_sel:DWORD
	v_pk_fma_f16 v2, v2, v98, v6
	v_pk_fma_f16 v3, v3, v98, v7
	;; [unrolled: 1-line block ×4, first 2 shown]
	s_waitcnt vmcnt(0)
	ds_write_b128 v75, v[86:89]
	s_waitcnt lgkmcnt(0)
	s_barrier
	ds_read_b128 v[2:5], v73 offset:32
	ds_read2_b64 v[6:9], v56 offset1:28
	ds_read_b128 v[10:13], v73 offset:48
	ds_read2_b64 v[14:17], v56 offset0:56 offset1:84
	ds_read2_b64 v[18:21], v56 offset0:112 offset1:140
	s_waitcnt lgkmcnt(4)
	v_mul_u32_u24_sdwa v24, v2, s56 dst_sel:DWORD dst_unused:UNUSED_PAD src0_sel:WORD_0 src1_sel:DWORD
	v_mul_u32_u24_sdwa v2, v2, s56 dst_sel:DWORD dst_unused:UNUSED_PAD src0_sel:WORD_1 src1_sel:DWORD
	s_waitcnt lgkmcnt(3)
	v_pk_fma_f16 v6, v6, v24, v22
	v_pk_fma_f16 v7, v7, v24, v23
	v_mul_u32_u24_sdwa v25, v3, s56 dst_sel:DWORD dst_unused:UNUSED_PAD src0_sel:WORD_0 src1_sel:DWORD
	v_pk_fma_f16 v6, v8, v2, v6
	v_pk_fma_f16 v2, v9, v2, v7
	s_waitcnt lgkmcnt(1)
	v_pk_fma_f16 v6, v14, v25, v6
	v_pk_fma_f16 v2, v15, v25, v2
	v_mul_u32_u24_sdwa v3, v3, s56 dst_sel:DWORD dst_unused:UNUSED_PAD src0_sel:WORD_1 src1_sel:DWORD
	v_pk_fma_f16 v6, v16, v3, v6
	v_pk_fma_f16 v2, v17, v3, v2
	v_mul_u32_u24_sdwa v3, v4, s56 dst_sel:DWORD dst_unused:UNUSED_PAD src0_sel:WORD_0 src1_sel:DWORD
	s_waitcnt lgkmcnt(0)
	v_pk_fma_f16 v14, v18, v3, v6
	ds_read2_b64 v[6:9], v56 offset0:168 offset1:196
	v_pk_fma_f16 v2, v19, v3, v2
	v_mul_u32_u24_sdwa v3, v4, s56 dst_sel:DWORD dst_unused:UNUSED_PAD src0_sel:WORD_1 src1_sel:DWORD
	v_pk_fma_f16 v4, v20, v3, v14
	ds_read2_b64 v[14:17], v56 offset0:224 offset1:252
	v_pk_fma_f16 v2, v21, v3, v2
	v_mul_u32_u24_sdwa v3, v5, s56 dst_sel:DWORD dst_unused:UNUSED_PAD src0_sel:WORD_0 src1_sel:DWORD
	s_waitcnt lgkmcnt(1)
	v_pk_fma_f16 v4, v6, v3, v4
	v_pk_fma_f16 v2, v7, v3, v2
	v_mul_u32_u24_sdwa v3, v5, s56 dst_sel:DWORD dst_unused:UNUSED_PAD src0_sel:WORD_1 src1_sel:DWORD
	v_pk_fma_f16 v4, v8, v3, v4
	v_pk_fma_f16 v2, v9, v3, v2
	v_mul_u32_u24_sdwa v3, v10, s56 dst_sel:DWORD dst_unused:UNUSED_PAD src0_sel:WORD_0 src1_sel:DWORD
	s_waitcnt lgkmcnt(0)
	v_pk_fma_f16 v6, v14, v3, v4
	v_pk_fma_f16 v7, v15, v3, v2
	ds_read2_b64 v[2:5], v84 offset0:24 offset1:52
	v_mul_u32_u24_sdwa v8, v10, s56 dst_sel:DWORD dst_unused:UNUSED_PAD src0_sel:WORD_1 src1_sel:DWORD
	v_pk_fma_f16 v6, v16, v8, v6
	v_pk_fma_f16 v7, v17, v8, v7
	v_mul_u32_u24_sdwa v8, v11, s56 dst_sel:DWORD dst_unused:UNUSED_PAD src0_sel:WORD_0 src1_sel:DWORD
	s_waitcnt lgkmcnt(0)
	v_pk_fma_f16 v2, v2, v8, v6
	v_pk_fma_f16 v3, v3, v8, v7
	ds_read2_b64 v[6:9], v84 offset0:80 offset1:108
	v_mul_u32_u24_sdwa v10, v11, s56 dst_sel:DWORD dst_unused:UNUSED_PAD src0_sel:WORD_1 src1_sel:DWORD
	v_pk_fma_f16 v2, v4, v10, v2
	v_pk_fma_f16 v3, v5, v10, v3
	v_mul_u32_u24_sdwa v4, v12, s56 dst_sel:DWORD dst_unused:UNUSED_PAD src0_sel:WORD_0 src1_sel:DWORD
	s_waitcnt lgkmcnt(0)
	v_pk_fma_f16 v2, v6, v4, v2
	v_pk_fma_f16 v3, v7, v4, v3
	v_mul_u32_u24_sdwa v4, v12, s56 dst_sel:DWORD dst_unused:UNUSED_PAD src0_sel:WORD_1 src1_sel:DWORD
	v_pk_fma_f16 v6, v8, v4, v2
	v_pk_fma_f16 v7, v9, v4, v3
	ds_read2_b64 v[2:5], v84 offset0:136 offset1:164
	s_waitcnt lgkmcnt(0)
	s_barrier
	s_load_dword s16, s[26:27], 0x4
	v_mul_u32_u24_sdwa v8, v13, s56 dst_sel:DWORD dst_unused:UNUSED_PAD src0_sel:WORD_0 src1_sel:DWORD
	v_pk_fma_f16 v2, v2, v8, v6
	v_pk_fma_f16 v3, v3, v8, v7
	v_mul_u32_u24_sdwa v6, v13, s56 dst_sel:DWORD dst_unused:UNUSED_PAD src0_sel:WORD_1 src1_sel:DWORD
	s_waitcnt lgkmcnt(0)
	s_lshl_b32 s16, s16, 5
	s_add_i32 s48, s16, s48
	v_pk_fma_f16 v57, v4, v6, v2
	s_cmp_lt_i32 s48, s52
	v_pk_fma_f16 v58, v5, v6, v3
	s_cbranch_scc0 .LBB65_32
; %bb.30:                               ;   in Loop: Header=BB65_10 Depth=1
	v_mov_b32_e32 v4, v66
	v_mov_b32_e32 v83, v64
	s_branch .LBB65_10
.LBB65_31:
	v_mov_b32_e32 v58, 0
	v_mov_b32_e32 v64, 0
	v_mov_b32_e32 v66, 0xfeffffff
	v_mov_b32_e32 v57, 0
.LBB65_32:
	s_cmp_gt_i32 s42, s48
	s_cbranch_scc1 .LBB65_35
; %bb.33:
	v_mbcnt_hi_u32_b32 v52, -1, v63
	v_and_b32_e32 v2, 0x60, v52
	v_add_u32_e32 v53, 32, v2
	v_xor_b32_e32 v54, 16, v52
	v_xor_b32_e32 v70, 8, v52
	;; [unrolled: 1-line block ×5, first 2 shown]
	s_cbranch_execz .LBB65_36
; %bb.34:
	v_mov_b32_e32 v41, v66
	s_branch .LBB65_57
.LBB65_35:
                                        ; implicit-def: $vgpr52
                                        ; implicit-def: $vgpr53
                                        ; implicit-def: $vgpr54
                                        ; implicit-def: $vgpr70
                                        ; implicit-def: $vgpr71
                                        ; implicit-def: $vgpr72
                                        ; implicit-def: $vgpr73
.LBB65_36:
	v_mul_lo_u32 v2, s43, v69
	s_mul_hi_i32 s11, s48, s43
	s_mul_i32 s10, s48, s43
	s_mov_b64 s[20:21], src_private_base
	s_sub_i32 s44, s42, s48
	s_lshl_b64 s[10:11], s[10:11], 2
	v_ashrrev_i32_e32 v3, 31, v2
	s_add_u32 s20, s51, s10
	v_lshlrev_b64 v[2:3], 2, v[2:3]
	s_addc_u32 s45, s50, s11
	v_cmp_gt_u32_e64 s[14:15], 32, v69
	v_or_b32_e32 v8, 0x60, v65
	v_cmp_gt_i32_e64 s[12:13], s44, v69
	s_and_saveexec_b64 s[10:11], s[14:15]
	s_cbranch_execz .LBB65_38
; %bb.37:
	v_mov_b32_e32 v4, 0
	buffer_store_dword v4, off, s[0:3], 0
	buffer_store_dword v4, off, s[0:3], 0 offset:4
	buffer_store_dword v4, off, s[0:3], 0 offset:8
	;; [unrolled: 1-line block ×3, first 2 shown]
	v_mov_b32_e32 v4, s45
	v_add_co_u32_e32 v5, vcc, s20, v2
	v_addc_co_u32_e32 v4, vcc, v4, v3, vcc
	v_add_co_u32_e32 v6, vcc, 0x60, v5
	v_addc_co_u32_e32 v4, vcc, 0, v4, vcc
	v_mov_b32_e32 v5, s21
	v_cndmask_b32_e64 v5, v5, v4, s[12:13]
	v_mov_b32_e32 v4, 0
	v_cndmask_b32_e64 v4, v4, v6, s[12:13]
	flat_load_dwordx4 v[4:7], v[4:5]
	s_waitcnt vmcnt(0) lgkmcnt(0)
	ds_write_b128 v8, v[4:7]
.LBB65_38:
	s_or_b64 exec, exec, s[10:11]
	v_lshl_add_u32 v49, v1, 4, v68
	v_mul_lo_u32 v4, s43, v49
	v_and_b32_e32 v6, 4, v59
	v_lshlrev_b32_e32 v5, 7, v49
	v_lshlrev_b32_e32 v50, 2, v6
	v_or3_b32 v9, v5, v50, 64
	v_ashrrev_i32_e32 v5, 31, v4
	v_lshlrev_b64 v[4:5], 2, v[4:5]
	s_mov_b64 s[22:23], src_private_base
	v_cmp_gt_u32_e64 s[16:17], 32, v49
	v_cmp_gt_i32_e64 s[18:19], s44, v49
	s_and_saveexec_b64 s[10:11], s[16:17]
	s_cbranch_execz .LBB65_40
; %bb.39:
	v_mov_b32_e32 v7, 0
	buffer_store_dword v7, off, s[0:3], 0
	buffer_store_dword v7, off, s[0:3], 0 offset:4
	buffer_store_dword v7, off, s[0:3], 0 offset:8
	;; [unrolled: 1-line block ×3, first 2 shown]
	v_mov_b32_e32 v7, s45
	v_add_co_u32_e32 v10, vcc, s20, v4
	v_addc_co_u32_e32 v7, vcc, v7, v5, vcc
	v_add_co_u32_e32 v10, vcc, v10, v50
	v_addc_co_u32_e32 v7, vcc, 0, v7, vcc
	v_add_co_u32_e32 v10, vcc, 64, v10
	v_addc_co_u32_e32 v7, vcc, 0, v7, vcc
	v_mov_b32_e32 v11, s23
	v_cndmask_b32_e64 v11, v11, v7, s[18:19]
	v_mov_b32_e32 v7, 0
	v_cndmask_b32_e64 v10, v7, v10, s[18:19]
	flat_load_dwordx4 v[10:13], v[10:11]
	s_waitcnt vmcnt(0) lgkmcnt(0)
	ds_write_b128 v9, v[10:13]
.LBB65_40:
	s_or_b64 exec, exec, s[10:11]
	v_lshl_add_u32 v48, v1, 3, v67
	v_mul_lo_u32 v10, s43, v48
	v_and_b32_e32 v7, 12, v59
	v_mov_b32_e32 v12, s45
	v_lshlrev_b32_e32 v51, 2, v7
	v_ashrrev_i32_e32 v11, 31, v10
	v_lshlrev_b64 v[10:11], 2, v[10:11]
	s_mov_b64 s[26:27], src_private_base
	v_add_co_u32_e32 v10, vcc, s20, v10
	v_addc_co_u32_e32 v11, vcc, v12, v11, vcc
	v_add_co_u32_e32 v12, vcc, v10, v51
	v_mov_b32_e32 v13, 0
	v_addc_co_u32_e32 v10, vcc, 0, v11, vcc
	v_mov_b32_e32 v7, s27
	v_cmp_gt_i32_e64 s[10:11], s44, v48
	v_mov_b32_e32 v14, 0
	buffer_store_dword v13, off, s[0:3], 0
	buffer_store_dword v13, off, s[0:3], 0 offset:4
	buffer_store_dword v13, off, s[0:3], 0 offset:8
	;; [unrolled: 1-line block ×3, first 2 shown]
	v_cndmask_b32_e64 v16, v7, v10, s[10:11]
	v_cndmask_b32_e64 v15, v14, v12, s[10:11]
	flat_load_dwordx4 v[15:18], v[15:16]
	v_lshl_or_b32 v11, v48, 7, v51
	v_mov_b32_e32 v7, 0
	s_waitcnt vmcnt(0) lgkmcnt(0)
	ds_write_b128 v11, v[15:18]
	s_waitcnt lgkmcnt(0)
	s_barrier
	ds_read_b128 v[15:18], v65
	ds_read_b128 v[19:22], v62
	s_waitcnt lgkmcnt(0)
	;;#ASMSTART
	v_dot2_f32_f16 v7, v15, v19, v7
	;;#ASMEND
	;;#ASMSTART
	v_dot2_f32_f16 v7, v16, v20, v7
	;;#ASMEND
	;;#ASMSTART
	v_dot2_f32_f16 v7, v17, v21, v7
	;;#ASMEND
	;;#ASMSTART
	v_dot2_f32_f16 v7, v18, v22, v7
	;;#ASMEND
	ds_read_b128 v[15:18], v65 offset:16
	ds_read_b128 v[19:22], v62 offset:16
	s_waitcnt lgkmcnt(0)
	;;#ASMSTART
	v_dot2_f32_f16 v7, v15, v19, v7
	;;#ASMEND
	;;#ASMSTART
	v_dot2_f32_f16 v7, v16, v20, v7
	;;#ASMEND
	;;#ASMSTART
	v_dot2_f32_f16 v7, v17, v21, v7
	;;#ASMEND
	;;#ASMSTART
	v_dot2_f32_f16 v7, v18, v22, v7
	;;#ASMEND
	ds_read_b128 v[15:18], v65 offset:32
	ds_read_b128 v[19:22], v62 offset:32
	;; [unrolled: 15-line block ×6, first 2 shown]
	s_waitcnt lgkmcnt(0)
	;;#ASMSTART
	v_dot2_f32_f16 v7, v15, v19, v7
	;;#ASMEND
	;;#ASMSTART
	v_dot2_f32_f16 v7, v16, v20, v7
	;;#ASMEND
	;; [unrolled: 3-line block ×4, first 2 shown]
	s_barrier
	s_and_saveexec_b64 s[42:43], s[14:15]
	s_cbranch_execz .LBB65_42
; %bb.41:
	buffer_store_dword v13, off, s[0:3], 0
	buffer_store_dword v13, off, s[0:3], 0 offset:4
	buffer_store_dword v13, off, s[0:3], 0 offset:8
	;; [unrolled: 1-line block ×3, first 2 shown]
	v_mov_b32_e32 v13, s45
	v_add_co_u32_e32 v2, vcc, s20, v2
	v_addc_co_u32_e32 v3, vcc, v13, v3, vcc
	v_add_co_u32_e32 v2, vcc, 0xd0, v2
	v_addc_co_u32_e32 v3, vcc, 0, v3, vcc
	v_mov_b32_e32 v13, s21
	v_cndmask_b32_e64 v3, v13, v3, s[12:13]
	v_cndmask_b32_e64 v2, v14, v2, s[12:13]
	flat_load_dwordx4 v[13:16], v[2:3]
	s_waitcnt vmcnt(0) lgkmcnt(0)
	ds_write_b128 v8, v[13:16]
.LBB65_42:
	s_or_b64 exec, exec, s[42:43]
	s_and_saveexec_b64 s[12:13], s[16:17]
	s_cbranch_execz .LBB65_44
; %bb.43:
	v_mov_b32_e32 v2, 0
	buffer_store_dword v2, off, s[0:3], 0
	buffer_store_dword v2, off, s[0:3], 0 offset:4
	buffer_store_dword v2, off, s[0:3], 0 offset:8
	;; [unrolled: 1-line block ×3, first 2 shown]
	v_mov_b32_e32 v2, s45
	v_add_co_u32_e32 v3, vcc, s20, v4
	v_addc_co_u32_e32 v2, vcc, v2, v5, vcc
	v_add_co_u32_e32 v3, vcc, v3, v50
	v_addc_co_u32_e32 v2, vcc, 0, v2, vcc
	v_add_co_u32_e32 v4, vcc, 0xb0, v3
	v_addc_co_u32_e32 v2, vcc, 0, v2, vcc
	v_mov_b32_e32 v3, s23
	v_cndmask_b32_e64 v3, v3, v2, s[18:19]
	v_mov_b32_e32 v2, 0
	v_cndmask_b32_e64 v2, v2, v4, s[18:19]
	flat_load_dwordx4 v[2:5], v[2:3]
	s_waitcnt vmcnt(0) lgkmcnt(0)
	ds_write_b128 v9, v[2:5]
.LBB65_44:
	s_or_b64 exec, exec, s[12:13]
	v_add_co_u32_e32 v3, vcc, 0x70, v12
	v_addc_co_u32_e32 v4, vcc, 0, v10, vcc
	v_mov_b32_e32 v5, s27
	v_mov_b32_e32 v2, 0
	v_cndmask_b32_e64 v4, v5, v4, s[10:11]
	v_mov_b32_e32 v5, 0
	buffer_store_dword v2, off, s[0:3], 0
	buffer_store_dword v2, off, s[0:3], 0 offset:4
	buffer_store_dword v2, off, s[0:3], 0 offset:8
	;; [unrolled: 1-line block ×3, first 2 shown]
	v_cndmask_b32_e64 v3, v5, v3, s[10:11]
	flat_load_dwordx4 v[12:15], v[3:4]
	v_cmp_gt_i32_e32 vcc, s44, v0
	v_mov_b32_e32 v3, v66
	s_waitcnt vmcnt(0) lgkmcnt(0)
	ds_write_b128 v11, v[12:15]
	s_waitcnt lgkmcnt(0)
	s_barrier
	ds_read_b128 v[8:11], v65
	ds_read_b128 v[12:15], v62 offset:112
	s_waitcnt lgkmcnt(0)
	;;#ASMSTART
	v_dot2_f32_f16 v7, v8, v12, v7
	;;#ASMEND
	;;#ASMSTART
	v_dot2_f32_f16 v7, v9, v13, v7
	;;#ASMEND
	;;#ASMSTART
	v_dot2_f32_f16 v7, v10, v14, v7
	;;#ASMEND
	;;#ASMSTART
	v_dot2_f32_f16 v7, v11, v15, v7
	;;#ASMEND
	ds_read_b128 v[8:11], v65 offset:16
	ds_read_b128 v[12:15], v62 offset:128
	s_waitcnt lgkmcnt(0)
	;;#ASMSTART
	v_dot2_f32_f16 v7, v8, v12, v7
	;;#ASMEND
	;;#ASMSTART
	v_dot2_f32_f16 v7, v9, v13, v7
	;;#ASMEND
	;;#ASMSTART
	v_dot2_f32_f16 v7, v10, v14, v7
	;;#ASMEND
	;;#ASMSTART
	v_dot2_f32_f16 v7, v11, v15, v7
	;;#ASMEND
	ds_read_b128 v[8:11], v65 offset:32
	;; [unrolled: 15-line block ×6, first 2 shown]
	ds_read_b128 v[12:15], v62 offset:208
	s_waitcnt lgkmcnt(0)
	;;#ASMSTART
	v_dot2_f32_f16 v7, v8, v12, v7
	;;#ASMEND
	;;#ASMSTART
	v_dot2_f32_f16 v7, v9, v13, v7
	;;#ASMEND
	;; [unrolled: 3-line block ×4, first 2 shown]
	s_and_saveexec_b64 s[12:13], vcc
	s_cbranch_execz .LBB65_48
; %bb.45:
	s_cmp_eq_u64 s[40:41], 0
	s_cbranch_scc1 .LBB65_47
; %bb.46:
	v_mul_hi_u32 v2, s36, v55
	v_mov_b32_e32 v4, s41
	v_add_u32_e32 v2, v55, v2
	v_lshrrev_b32_e32 v2, s37, v2
	v_mul_lo_u32 v2, v2, s38
	v_sub_u32_e32 v2, v55, v2
	v_mul_lo_u32 v2, v2, s49
	v_add3_u32 v2, v2, v0, s48
	v_ashrrev_i32_e32 v3, 31, v2
	v_lshlrev_b64 v[2:3], 1, v[2:3]
	v_add_co_u32_e32 v2, vcc, s40, v2
	v_addc_co_u32_e32 v3, vcc, v4, v3, vcc
	global_load_ushort v2, v[2:3], off
	s_waitcnt vmcnt(0)
	v_cvt_f32_f16_e32 v2, v2
	v_mul_f32_e32 v2, v61, v2
.LBB65_47:
	v_add_f32_e32 v7, v7, v2
	v_add_f32_e32 v2, 0x40051340, v7
	v_max_f32_e32 v3, v66, v66
	v_max_f32_e32 v3, v3, v2
.LBB65_48:
	s_or_b64 exec, exec, s[12:13]
	v_mbcnt_hi_u32_b32 v52, -1, v63
	v_and_b32_e32 v2, 0x60, v52
	v_add_u32_e32 v53, 32, v2
	v_xor_b32_e32 v54, 16, v52
	v_cmp_lt_i32_e32 vcc, v54, v53
	v_cndmask_b32_e32 v2, v52, v54, vcc
	v_lshlrev_b32_e32 v2, 2, v2
	ds_bpermute_b32 v2, v2, v3
	v_xor_b32_e32 v70, 8, v52
	v_cmp_lt_i32_e32 vcc, v70, v53
	v_cndmask_b32_e32 v4, v52, v70, vcc
	v_max_f32_e32 v3, v3, v3
	s_waitcnt lgkmcnt(0)
	v_max_f32_e32 v2, v2, v2
	v_lshlrev_b32_e32 v4, 2, v4
	v_max_f32_e32 v2, v3, v2
	ds_bpermute_b32 v3, v4, v2
	v_xor_b32_e32 v71, 4, v52
	v_cmp_lt_i32_e32 vcc, v71, v53
	v_cndmask_b32_e32 v4, v52, v71, vcc
	v_lshlrev_b32_e32 v4, 2, v4
	s_waitcnt lgkmcnt(0)
	v_max_f32_e32 v3, v3, v3
	v_max_f32_e32 v2, v2, v3
	ds_bpermute_b32 v3, v4, v2
	v_xor_b32_e32 v72, 2, v52
	v_cmp_lt_i32_e32 vcc, v72, v53
	v_cndmask_b32_e32 v4, v52, v72, vcc
	v_lshlrev_b32_e32 v4, 2, v4
	s_waitcnt lgkmcnt(0)
	v_max_f32_e32 v3, v3, v3
	;; [unrolled: 8-line block ×3, first 2 shown]
	v_max_f32_e32 v2, v2, v3
	ds_bpermute_b32 v3, v4, v2
	s_mov_b32 s12, 0x3fb8aa3b
	s_waitcnt lgkmcnt(0)
	s_barrier
	v_max_f32_e32 v3, v3, v3
	v_max_f32_e32 v41, v2, v3
	v_sub_f32_e32 v2, v7, v41
	v_mul_f32_e32 v3, 0x3fb8aa3b, v2
	v_fma_f32 v4, v2, s12, -v3
	v_rndne_f32_e32 v5, v3
	v_fmac_f32_e32 v4, 0x32a5705f, v2
	v_sub_f32_e32 v3, v3, v5
	v_add_f32_e32 v3, v3, v4
	v_exp_f32_e32 v3, v3
	v_cvt_i32_f32_e32 v4, v5
	s_mov_b32 s12, 0xc2ce8ed0
	v_cmp_ngt_f32_e32 vcc, s12, v2
	s_mov_b32 s12, 0x42b17218
	v_ldexp_f32 v3, v3, v4
	v_cndmask_b32_e32 v3, 0, v3, vcc
	v_mov_b32_e32 v4, 0x7f800000
	v_cmp_nlt_f32_e32 vcc, s12, v2
	v_cndmask_b32_e32 v2, v4, v3, vcc
	v_cmp_gt_u32_e32 vcc, s44, v0
	v_cndmask_b32_e32 v61, 0, v2, vcc
	v_cvt_f16_f32_e32 v2, v61
	v_mov_b32_e32 v3, 0x13c0
	v_lshl_add_u32 v62, v1, 6, v3
	v_lshl_add_u32 v3, v0, 1, v62
	ds_write_b16 v3, v2
	v_mul_lo_u32 v2, s8, v49
	v_mul_u32_u24_e32 v3, 0xe0, v49
	v_lshl_or_b32 v3, v6, 2, v3
	s_mul_hi_i32 s15, s48, s8
	s_mul_i32 s14, s48, s8
	s_mov_b64 s[16:17], src_private_base
	v_add_u32_e32 v63, 0xc0, v3
	v_ashrrev_i32_e32 v3, 31, v2
	s_lshl_b64 s[14:15], s[14:15], 2
	s_add_u32 s16, s46, s14
	v_lshlrev_b64 v[44:45], 2, v[2:3]
	v_cmp_gt_u32_e64 s[12:13], 16, v49
	s_addc_u32 s22, s47, s15
	s_and_saveexec_b64 s[14:15], s[12:13]
	s_cbranch_execz .LBB65_50
; %bb.49:
	v_mov_b32_e32 v2, 0
	buffer_store_dword v2, off, s[0:3], 0
	buffer_store_dword v2, off, s[0:3], 0 offset:4
	buffer_store_dword v2, off, s[0:3], 0 offset:8
	;; [unrolled: 1-line block ×3, first 2 shown]
	v_mov_b32_e32 v2, s22
	v_add_co_u32_e32 v3, vcc, s16, v44
	v_addc_co_u32_e32 v2, vcc, v2, v45, vcc
	v_add_co_u32_e32 v3, vcc, v3, v50
	v_addc_co_u32_e32 v2, vcc, 0, v2, vcc
	;; [unrolled: 2-line block ×3, first 2 shown]
	v_mov_b32_e32 v3, s17
	v_cndmask_b32_e64 v3, v3, v2, s[18:19]
	v_mov_b32_e32 v2, 0
	v_cndmask_b32_e64 v2, v2, v4, s[18:19]
	flat_load_dwordx4 v[2:5], v[2:3]
	s_waitcnt vmcnt(0) lgkmcnt(0)
	ds_write_b128 v63, v[2:5]
.LBB65_50:
	s_or_b64 exec, exec, s[14:15]
	v_mul_lo_u32 v2, s8, v48
	s_mov_b64 s[18:19], src_private_base
	v_mul_u32_u24_e32 v4, 0xe0, v48
	s_movk_i32 s18, 0x80
	v_ashrrev_i32_e32 v3, 31, v2
	v_lshlrev_b64 v[42:43], 2, v[2:3]
	v_cmp_gt_u32_e64 s[14:15], 16, v48
	v_add3_u32 v65, v4, v51, s18
	s_and_saveexec_b64 s[20:21], s[14:15]
	s_cbranch_execz .LBB65_52
; %bb.51:
	v_mov_b32_e32 v2, 0
	buffer_store_dword v2, off, s[0:3], 0
	buffer_store_dword v2, off, s[0:3], 0 offset:4
	buffer_store_dword v2, off, s[0:3], 0 offset:8
	;; [unrolled: 1-line block ×3, first 2 shown]
	v_mov_b32_e32 v2, s22
	v_add_co_u32_e32 v3, vcc, s16, v42
	v_addc_co_u32_e32 v2, vcc, v2, v43, vcc
	v_add_co_u32_e32 v3, vcc, v3, v51
	v_addc_co_u32_e32 v2, vcc, 0, v2, vcc
	;; [unrolled: 2-line block ×3, first 2 shown]
	v_mov_b32_e32 v3, s19
	v_cndmask_b32_e64 v3, v3, v2, s[10:11]
	v_mov_b32_e32 v2, 0
	v_cndmask_b32_e64 v2, v2, v4, s[10:11]
	flat_load_dwordx4 v[2:5], v[2:3]
	s_waitcnt vmcnt(0) lgkmcnt(0)
	ds_write_b128 v65, v[2:5]
.LBB65_52:
	s_or_b64 exec, exec, s[20:21]
	v_lshl_add_u32 v60, v1, 2, v60
	v_mul_lo_u32 v1, s8, v60
	v_and_b32_e32 v3, 28, v59
	v_lshlrev_b32_e32 v67, 2, v3
	s_mov_b64 s[10:11], src_private_base
	v_ashrrev_i32_e32 v2, 31, v1
	v_lshlrev_b64 v[46:47], 2, v[1:2]
	v_mov_b32_e32 v1, s22
	v_add_co_u32_e32 v2, vcc, s16, v46
	v_addc_co_u32_e32 v1, vcc, v1, v47, vcc
	v_add_co_u32_e32 v3, vcc, v2, v67
	v_addc_co_u32_e32 v1, vcc, 0, v1, vcc
	v_mov_b32_e32 v69, 0
	v_mov_b32_e32 v2, s11
	v_cmp_gt_i32_e32 vcc, s44, v60
	v_mov_b32_e32 v74, 0
	buffer_store_dword v69, off, s[0:3], 0
	buffer_store_dword v69, off, s[0:3], 0 offset:4
	buffer_store_dword v69, off, s[0:3], 0 offset:8
	;; [unrolled: 1-line block ×3, first 2 shown]
	v_cndmask_b32_e32 v2, v2, v1, vcc
	v_cndmask_b32_e32 v1, v74, v3, vcc
	flat_load_dwordx4 v[1:4], v[1:2]
	v_sub_f32_e32 v5, v66, v41
	s_mov_b32 s10, 0x3fb8aa3b
	v_mul_f32_e32 v7, 0x3fb8aa3b, v5
	v_fma_f32 v8, v5, s10, -v7
	v_rndne_f32_e32 v9, v7
	v_fmac_f32_e32 v8, 0x32a5705f, v5
	v_sub_f32_e32 v7, v7, v9
	v_add_f32_e32 v7, v7, v8
	v_cvt_i32_f32_e32 v9, v9
	v_exp_f32_e32 v7, v7
	s_mov_b32 s18, 0xc2ce8ed0
	s_mov_b32 s20, 0x42b17218
	s_movk_i32 s22, 0xe0
	v_ldexp_f32 v7, v7, v9
	v_cmp_ngt_f32_e32 vcc, s18, v5
	v_mov_b32_e32 v6, 0x7f800000
	v_mad_u32_u24 v59, v60, s22, v67
	v_cndmask_b32_e32 v7, 0, v7, vcc
	v_cmp_nlt_f32_e32 vcc, s20, v5
	v_add_u32_e32 v75, 0x800, v56
	v_cndmask_b32_e32 v68, v6, v7, vcc
	s_or_b32 s10, s48, 16
	s_mul_hi_i32 s21, s10, s8
	v_cvt_f16_f32_e32 v66, v68
	s_mul_i32 s20, s10, s8
	s_lshl_b64 s[20:21], s[20:21], 2
	s_add_u32 s8, s46, s20
	s_mov_b32 s16, 0x10001
	s_addc_u32 s10, s47, s21
	s_add_i32 s44, s44, -16
	s_waitcnt vmcnt(0) lgkmcnt(0)
	ds_write_b128 v59, v[1:4]
	s_waitcnt lgkmcnt(0)
	s_barrier
	ds_read2_b64 v[29:32], v56 offset1:28
	ds_read_b128 v[37:40], v62
	ds_read_b128 v[33:36], v62 offset:16
	ds_read2_b64 v[25:28], v56 offset0:56 offset1:84
	ds_read2_b64 v[21:24], v56 offset0:112 offset1:140
	;; [unrolled: 1-line block ×7, first 2 shown]
	s_waitcnt lgkmcnt(0)
	s_barrier
	s_and_saveexec_b64 s[20:21], s[12:13]
	s_cbranch_execz .LBB65_54
; %bb.53:
	buffer_store_dword v69, off, s[0:3], 0
	buffer_store_dword v69, off, s[0:3], 0 offset:4
	buffer_store_dword v69, off, s[0:3], 0 offset:8
	buffer_store_dword v69, off, s[0:3], 0 offset:12
	v_mov_b32_e32 v69, s10
	v_add_co_u32_e32 v44, vcc, s8, v44
	v_addc_co_u32_e32 v45, vcc, v69, v45, vcc
	v_add_co_u32_e32 v44, vcc, v44, v50
	v_addc_co_u32_e32 v45, vcc, 0, v45, vcc
	;; [unrolled: 2-line block ×3, first 2 shown]
	v_mov_b32_e32 v50, s17
	v_cmp_gt_i32_e32 vcc, s44, v49
	v_cndmask_b32_e32 v45, v50, v45, vcc
	v_cndmask_b32_e32 v44, v74, v44, vcc
	flat_load_dwordx4 v[74:77], v[44:45]
	s_waitcnt vmcnt(0) lgkmcnt(0)
	ds_write_b128 v63, v[74:77]
.LBB65_54:
	s_or_b64 exec, exec, s[20:21]
	v_mul_u32_u24_e32 v74, 0x10001, v66
	v_mul_u32_u24_sdwa v76, v37, s16 dst_sel:DWORD dst_unused:UNUSED_PAD src0_sel:WORD_0 src1_sel:DWORD
	v_mul_u32_u24_sdwa v75, v37, s16 dst_sel:DWORD dst_unused:UNUSED_PAD src0_sel:WORD_1 src1_sel:DWORD
	v_mul_u32_u24_sdwa v69, v38, s16 dst_sel:DWORD dst_unused:UNUSED_PAD src0_sel:WORD_0 src1_sel:DWORD
	v_mul_u32_u24_sdwa v66, v38, s16 dst_sel:DWORD dst_unused:UNUSED_PAD src0_sel:WORD_1 src1_sel:DWORD
	;; [unrolled: 2-line block ×8, first 2 shown]
	s_and_saveexec_b64 s[12:13], s[14:15]
	s_cbranch_execz .LBB65_56
; %bb.55:
	v_mov_b32_e32 v36, 0
	buffer_store_dword v36, off, s[0:3], 0
	buffer_store_dword v36, off, s[0:3], 0 offset:4
	buffer_store_dword v36, off, s[0:3], 0 offset:8
	;; [unrolled: 1-line block ×3, first 2 shown]
	v_mov_b32_e32 v36, s10
	v_add_co_u32_e32 v42, vcc, s8, v42
	v_addc_co_u32_e32 v36, vcc, v36, v43, vcc
	v_add_co_u32_e32 v42, vcc, v42, v51
	v_addc_co_u32_e32 v36, vcc, 0, v36, vcc
	;; [unrolled: 2-line block ×3, first 2 shown]
	v_mov_b32_e32 v43, s19
	v_cmp_gt_i32_e32 vcc, s44, v48
	v_cndmask_b32_e32 v43, v43, v36, vcc
	v_mov_b32_e32 v36, 0
	v_cndmask_b32_e32 v42, v36, v42, vcc
	flat_load_dwordx4 v[77:80], v[42:43]
	s_waitcnt vmcnt(0) lgkmcnt(0)
	ds_write_b128 v65, v[77:80]
.LBB65_56:
	s_or_b64 exec, exec, s[12:13]
	v_mov_b32_e32 v36, 0
	buffer_store_dword v36, off, s[0:3], 0
	buffer_store_dword v36, off, s[0:3], 0 offset:4
	buffer_store_dword v36, off, s[0:3], 0 offset:8
	;; [unrolled: 1-line block ×3, first 2 shown]
	v_mov_b32_e32 v36, s10
	v_add_co_u32_e32 v42, vcc, s8, v46
	v_addc_co_u32_e32 v36, vcc, v36, v47, vcc
	v_add_co_u32_e32 v42, vcc, v42, v67
	v_addc_co_u32_e32 v36, vcc, 0, v36, vcc
	v_mov_b32_e32 v43, s11
	v_cmp_gt_i32_e32 vcc, s44, v60
	v_cndmask_b32_e32 v43, v43, v36, vcc
	v_mov_b32_e32 v36, 0
	v_cndmask_b32_e32 v42, v36, v42, vcc
	flat_load_dwordx4 v[77:80], v[42:43]
	v_pk_mul_f16 v29, v29, v76
	v_pk_mul_f16 v30, v30, v76
	v_pk_fma_f16 v29, v57, v74, v29
	v_pk_fma_f16 v30, v58, v74, v30
	;; [unrolled: 1-line block ×28, first 2 shown]
	s_mov_b32 s8, 0x10001
	v_pk_fma_f16 v1, v1, v34, v5
	v_pk_fma_f16 v2, v2, v34, v6
	v_add_u32_e32 v36, 0x800, v56
	v_pk_fma_f16 v34, v3, v33, v1
	v_pk_fma_f16 v33, v4, v33, v2
	v_fmac_f32_e32 v61, v64, v68
	v_mov_b32_e32 v64, v61
	s_waitcnt vmcnt(0) lgkmcnt(0)
	ds_write_b128 v59, v[77:80]
	s_waitcnt lgkmcnt(0)
	s_barrier
	ds_read2_b64 v[1:4], v56 offset1:28
	ds_read_b128 v[5:8], v62 offset:32
	ds_read_b128 v[9:12], v62 offset:48
	ds_read2_b64 v[13:16], v56 offset0:56 offset1:84
	ds_read2_b64 v[17:20], v56 offset0:112 offset1:140
	;; [unrolled: 1-line block ×5, first 2 shown]
	s_waitcnt lgkmcnt(6)
	v_mul_u32_u24_sdwa v35, v5, s8 dst_sel:DWORD dst_unused:UNUSED_PAD src0_sel:WORD_0 src1_sel:DWORD
	v_mul_u32_u24_sdwa v5, v5, s8 dst_sel:DWORD dst_unused:UNUSED_PAD src0_sel:WORD_1 src1_sel:DWORD
	v_pk_fma_f16 v1, v1, v35, v34
	v_pk_fma_f16 v2, v2, v35, v33
	v_mul_u32_u24_sdwa v37, v6, s8 dst_sel:DWORD dst_unused:UNUSED_PAD src0_sel:WORD_0 src1_sel:DWORD
	v_pk_fma_f16 v1, v3, v5, v1
	v_pk_fma_f16 v2, v4, v5, v2
	v_mul_u32_u24_sdwa v6, v6, s8 dst_sel:DWORD dst_unused:UNUSED_PAD src0_sel:WORD_1 src1_sel:DWORD
	s_waitcnt lgkmcnt(4)
	v_pk_fma_f16 v1, v13, v37, v1
	v_pk_fma_f16 v2, v14, v37, v2
	v_mul_u32_u24_sdwa v38, v7, s8 dst_sel:DWORD dst_unused:UNUSED_PAD src0_sel:WORD_0 src1_sel:DWORD
	v_pk_fma_f16 v1, v15, v6, v1
	v_pk_fma_f16 v2, v16, v6, v2
	v_mul_u32_u24_sdwa v7, v7, s8 dst_sel:DWORD dst_unused:UNUSED_PAD src0_sel:WORD_1 src1_sel:DWORD
	s_waitcnt lgkmcnt(3)
	;; [unrolled: 7-line block ×4, first 2 shown]
	v_pk_fma_f16 v1, v25, v40, v1
	v_pk_fma_f16 v2, v26, v40, v2
	v_mul_u32_u24_sdwa v42, v10, s8 dst_sel:DWORD dst_unused:UNUSED_PAD src0_sel:WORD_0 src1_sel:DWORD
	v_pk_fma_f16 v1, v27, v9, v1
	v_pk_fma_f16 v2, v28, v9, v2
	s_waitcnt lgkmcnt(0)
	v_pk_fma_f16 v5, v29, v42, v1
	v_pk_fma_f16 v6, v30, v42, v2
	ds_read2_b64 v[1:4], v36 offset0:80 offset1:108
	v_mul_u32_u24_sdwa v7, v10, s8 dst_sel:DWORD dst_unused:UNUSED_PAD src0_sel:WORD_1 src1_sel:DWORD
	v_pk_fma_f16 v5, v31, v7, v5
	v_pk_fma_f16 v6, v32, v7, v6
	v_mul_u32_u24_sdwa v7, v11, s8 dst_sel:DWORD dst_unused:UNUSED_PAD src0_sel:WORD_0 src1_sel:DWORD
	s_waitcnt lgkmcnt(0)
	v_pk_fma_f16 v1, v1, v7, v5
	v_pk_fma_f16 v2, v2, v7, v6
	ds_read2_b64 v[5:8], v36 offset0:136 offset1:164
	v_mul_u32_u24_sdwa v9, v11, s8 dst_sel:DWORD dst_unused:UNUSED_PAD src0_sel:WORD_1 src1_sel:DWORD
	v_pk_fma_f16 v1, v3, v9, v1
	v_pk_fma_f16 v2, v4, v9, v2
	v_mul_u32_u24_sdwa v3, v12, s8 dst_sel:DWORD dst_unused:UNUSED_PAD src0_sel:WORD_0 src1_sel:DWORD
	s_waitcnt lgkmcnt(0)
	v_pk_fma_f16 v1, v5, v3, v1
	v_pk_fma_f16 v2, v6, v3, v2
	v_mul_u32_u24_sdwa v3, v12, s8 dst_sel:DWORD dst_unused:UNUSED_PAD src0_sel:WORD_1 src1_sel:DWORD
	v_pk_fma_f16 v57, v7, v3, v1
	v_pk_fma_f16 v58, v8, v3, v2
	s_barrier
.LBB65_57:
	v_cmp_lt_i32_e32 vcc, v54, v53
	v_cndmask_b32_e32 v1, v52, v54, vcc
	v_lshlrev_b32_e32 v1, 2, v1
	ds_bpermute_b32 v1, v1, v64
	v_cmp_lt_i32_e32 vcc, v70, v53
	v_cndmask_b32_e32 v2, v52, v70, vcc
	v_lshlrev_b32_e32 v2, 2, v2
	v_cmp_lt_i32_e32 vcc, v71, v53
	s_waitcnt lgkmcnt(0)
	v_add_f32_e32 v1, v64, v1
	ds_bpermute_b32 v2, v2, v1
	v_cndmask_b32_e32 v3, v52, v71, vcc
	v_lshlrev_b32_e32 v3, 2, v3
	v_cmp_lt_i32_e32 vcc, v72, v53
	s_cmp_eq_u64 s[24:25], 0
	s_waitcnt lgkmcnt(0)
	v_add_f32_e32 v1, v1, v2
	ds_bpermute_b32 v2, v3, v1
	v_cndmask_b32_e32 v3, v52, v72, vcc
	v_lshlrev_b32_e32 v3, 2, v3
	v_cmp_lt_i32_e32 vcc, v73, v53
	s_cselect_b64 s[10:11], -1, 0
	s_waitcnt lgkmcnt(0)
	v_add_f32_e32 v1, v1, v2
	ds_bpermute_b32 v2, v3, v1
	v_cndmask_b32_e32 v3, v52, v73, vcc
	v_lshlrev_b32_e32 v3, 2, v3
	s_cmp_lg_u32 s9, 0
	s_cselect_b64 s[12:13], -1, 0
	s_waitcnt lgkmcnt(0)
	v_add_f32_e32 v1, v1, v2
	ds_bpermute_b32 v2, v3, v1
	s_or_b64 s[10:11], s[12:13], s[10:11]
	s_and_b64 vcc, exec, s[10:11]
	s_waitcnt lgkmcnt(0)
	v_add_f32_e32 v42, v1, v2
	s_cbranch_vccnz .LBB65_59
; %bb.58:
	s_lshl_b64 s[10:11], s[34:35], 2
	s_add_u32 s10, s24, s10
	s_addc_u32 s11, s25, s11
	v_mov_b32_e32 v1, 0
	global_load_dword v1, v1, s[10:11]
	v_max_f32_e32 v2, v41, v41
	s_mov_b32 s8, 0x3fb8aa3b
	s_mov_b32 s10, 0xc2ce8ed0
	s_waitcnt vmcnt(0)
	v_max_f32_e32 v3, v1, v1
	v_max_f32_e32 v2, v2, v3
	v_sub_f32_e32 v3, v41, v2
	v_sub_f32_e32 v1, v1, v2
	v_mul_f32_e32 v4, 0x3fb8aa3b, v3
	v_mul_f32_e32 v5, 0x3fb8aa3b, v1
	v_fma_f32 v6, v3, s8, -v4
	v_rndne_f32_e32 v7, v4
	v_fma_f32 v8, v1, s8, -v5
	v_rndne_f32_e32 v9, v5
	v_fmac_f32_e32 v6, 0x32a5705f, v3
	v_sub_f32_e32 v4, v4, v7
	v_fmac_f32_e32 v8, 0x32a5705f, v1
	v_sub_f32_e32 v5, v5, v9
	v_add_f32_e32 v4, v4, v6
	v_cvt_i32_f32_e32 v7, v7
	v_add_f32_e32 v5, v5, v8
	v_exp_f32_e32 v4, v4
	v_cvt_i32_f32_e32 v9, v9
	v_exp_f32_e32 v5, v5
	v_cmp_ngt_f32_e32 vcc, s10, v3
	v_ldexp_f32 v4, v4, v7
	s_mov_b32 s8, 0x42b17218
	v_ldexp_f32 v5, v5, v9
	v_cndmask_b32_e32 v4, 0, v4, vcc
	v_cmp_ngt_f32_e32 vcc, s10, v1
	v_mov_b32_e32 v6, 0x7f800000
	v_cndmask_b32_e32 v5, 0, v5, vcc
	v_cmp_nlt_f32_e32 vcc, s8, v3
	v_cndmask_b32_e32 v3, v6, v4, vcc
	v_cvt_f16_f32_e32 v4, v3
	v_cmp_nlt_f32_e32 vcc, s8, v1
	v_cndmask_b32_e32 v1, v6, v5, vcc
	v_fmac_f32_e32 v1, v42, v3
	v_mov_b32_e32 v42, v1
	v_mul_u32_u24_e32 v1, 0x10001, v4
	v_pk_mul_f16 v57, v57, v1
	v_pk_mul_f16 v58, v58, v1
	v_mov_b32_e32 v41, v2
.LBB65_59:
	v_cmp_gt_i32_e32 vcc, s38, v55
	s_and_saveexec_b64 s[10:11], vcc
	s_cbranch_execz .LBB65_64
; %bb.60:
	s_mul_i32 s33, s33, s38
	v_add_u32_e32 v1, s33, v55
	s_load_dword s4, s[4:5], 0xd4
	v_mul_lo_u32 v1, v1, s39
	s_waitcnt lgkmcnt(0)
	s_cmp_lg_u32 s4, 1
	v_add_u32_e32 v1, s34, v1
	v_mul_lo_u32 v1, s4, v1
	s_cselect_b64 s[4:5], -1, 0
	v_add_u32_e32 v1, s9, v1
	s_and_saveexec_b64 s[8:9], s[6:7]
	s_cbranch_execz .LBB65_62
; %bb.61:
	v_div_scale_f32 v2, s[6:7], v42, v42, 1.0
	v_div_scale_f32 v3, vcc, 1.0, v42, 1.0
	s_movk_i32 s6, 0x70
	v_cvt_f32_f16_e32 v8, v58
	v_cvt_f32_f16_sdwa v9, v57 dst_sel:DWORD dst_unused:UNUSED_PAD src0_sel:WORD_1
	v_cvt_f32_f16_e32 v10, v57
	v_mov_b32_e32 v11, s29
	v_rcp_f32_e32 v4, v2
	v_fma_f32 v5, -v2, v4, 1.0
	v_fmac_f32_e32 v4, v5, v4
	v_mul_f32_e32 v5, v3, v4
	v_fma_f32 v6, -v2, v5, v3
	v_fmac_f32_e32 v5, v6, v4
	v_fma_f32 v2, -v2, v5, v3
	v_div_fmas_f32 v4, v2, v4, v5
	v_mul_lo_u32 v2, v1, s6
	v_cvt_f32_f16_sdwa v5, v58 dst_sel:DWORD dst_unused:UNUSED_PAD src0_sel:WORD_1
	v_mov_b32_e32 v3, 0
	v_lshl_add_u32 v2, v0, 2, v2
	v_lshlrev_b64 v[6:7], 2, v[2:3]
	v_add_co_u32_e32 v6, vcc, s28, v6
	v_addc_co_u32_e32 v7, vcc, v11, v7, vcc
	v_div_fixup_f32 v2, v4, v42, 1.0
	v_cndmask_b32_e64 v2, v2, 1.0, s[4:5]
	v_mul_f32_e32 v5, v2, v5
	v_mul_f32_e32 v4, v2, v8
	;; [unrolled: 1-line block ×4, first 2 shown]
	global_store_dwordx4 v[6:7], v[2:5], off
.LBB65_62:
	s_or_b64 exec, exec, s[8:9]
	v_cmp_eq_u32_e32 vcc, 0, v0
	s_and_b64 s[4:5], vcc, s[4:5]
	s_and_b64 exec, exec, s[4:5]
	s_cbranch_execz .LBB65_64
; %bb.63:
	v_ashrrev_i32_e32 v2, 31, v1
	v_lshlrev_b64 v[0:1], 3, v[1:2]
	v_mov_b32_e32 v2, s31
	v_add_co_u32_e32 v0, vcc, s30, v0
	v_addc_co_u32_e32 v1, vcc, v2, v1, vcc
	global_store_dwordx2 v[0:1], v[41:42], off
.LBB65_64:
	s_endpgm
	.section	.rodata,"a",@progbits
	.p2align	6, 0x0
	.amdhsa_kernel _ZL15flash_attn_tileILi112ELi112ELi4ELi1ELb0EEvPKcS1_S1_S1_S1_PKiPfP15HIP_vector_typeIfLj2EEffffjfiS5_IjLj3EEiiiiiiiiiiiliiliiiiil
		.amdhsa_group_segment_fixed_size 5312
		.amdhsa_private_segment_fixed_size 32
		.amdhsa_kernarg_size 464
		.amdhsa_user_sgpr_count 8
		.amdhsa_user_sgpr_private_segment_buffer 1
		.amdhsa_user_sgpr_dispatch_ptr 0
		.amdhsa_user_sgpr_queue_ptr 0
		.amdhsa_user_sgpr_kernarg_segment_ptr 1
		.amdhsa_user_sgpr_dispatch_id 0
		.amdhsa_user_sgpr_flat_scratch_init 1
		.amdhsa_user_sgpr_private_segment_size 0
		.amdhsa_uses_dynamic_stack 0
		.amdhsa_system_sgpr_private_segment_wavefront_offset 1
		.amdhsa_system_sgpr_workgroup_id_x 1
		.amdhsa_system_sgpr_workgroup_id_y 1
		.amdhsa_system_sgpr_workgroup_id_z 1
		.amdhsa_system_sgpr_workgroup_info 0
		.amdhsa_system_vgpr_workitem_id 1
		.amdhsa_next_free_vgpr 100
		.amdhsa_next_free_sgpr 91
		.amdhsa_reserve_vcc 1
		.amdhsa_reserve_flat_scratch 1
		.amdhsa_float_round_mode_32 0
		.amdhsa_float_round_mode_16_64 0
		.amdhsa_float_denorm_mode_32 3
		.amdhsa_float_denorm_mode_16_64 3
		.amdhsa_dx10_clamp 1
		.amdhsa_ieee_mode 1
		.amdhsa_fp16_overflow 0
		.amdhsa_exception_fp_ieee_invalid_op 0
		.amdhsa_exception_fp_denorm_src 0
		.amdhsa_exception_fp_ieee_div_zero 0
		.amdhsa_exception_fp_ieee_overflow 0
		.amdhsa_exception_fp_ieee_underflow 0
		.amdhsa_exception_fp_ieee_inexact 0
		.amdhsa_exception_int_div_zero 0
	.end_amdhsa_kernel
	.section	.text._ZL15flash_attn_tileILi112ELi112ELi4ELi1ELb0EEvPKcS1_S1_S1_S1_PKiPfP15HIP_vector_typeIfLj2EEffffjfiS5_IjLj3EEiiiiiiiiiiiliiliiiiil,"axG",@progbits,_ZL15flash_attn_tileILi112ELi112ELi4ELi1ELb0EEvPKcS1_S1_S1_S1_PKiPfP15HIP_vector_typeIfLj2EEffffjfiS5_IjLj3EEiiiiiiiiiiiliiliiiiil,comdat
.Lfunc_end65:
	.size	_ZL15flash_attn_tileILi112ELi112ELi4ELi1ELb0EEvPKcS1_S1_S1_S1_PKiPfP15HIP_vector_typeIfLj2EEffffjfiS5_IjLj3EEiiiiiiiiiiiliiliiiiil, .Lfunc_end65-_ZL15flash_attn_tileILi112ELi112ELi4ELi1ELb0EEvPKcS1_S1_S1_S1_PKiPfP15HIP_vector_typeIfLj2EEffffjfiS5_IjLj3EEiiiiiiiiiiiliiliiiiil
                                        ; -- End function
	.set _ZL15flash_attn_tileILi112ELi112ELi4ELi1ELb0EEvPKcS1_S1_S1_S1_PKiPfP15HIP_vector_typeIfLj2EEffffjfiS5_IjLj3EEiiiiiiiiiiiliiliiiiil.num_vgpr, 100
	.set _ZL15flash_attn_tileILi112ELi112ELi4ELi1ELb0EEvPKcS1_S1_S1_S1_PKiPfP15HIP_vector_typeIfLj2EEffffjfiS5_IjLj3EEiiiiiiiiiiiliiliiiiil.num_agpr, 0
	.set _ZL15flash_attn_tileILi112ELi112ELi4ELi1ELb0EEvPKcS1_S1_S1_S1_PKiPfP15HIP_vector_typeIfLj2EEffffjfiS5_IjLj3EEiiiiiiiiiiiliiliiiiil.numbered_sgpr, 59
	.set _ZL15flash_attn_tileILi112ELi112ELi4ELi1ELb0EEvPKcS1_S1_S1_S1_PKiPfP15HIP_vector_typeIfLj2EEffffjfiS5_IjLj3EEiiiiiiiiiiiliiliiiiil.num_named_barrier, 0
	.set _ZL15flash_attn_tileILi112ELi112ELi4ELi1ELb0EEvPKcS1_S1_S1_S1_PKiPfP15HIP_vector_typeIfLj2EEffffjfiS5_IjLj3EEiiiiiiiiiiiliiliiiiil.private_seg_size, 32
	.set _ZL15flash_attn_tileILi112ELi112ELi4ELi1ELb0EEvPKcS1_S1_S1_S1_PKiPfP15HIP_vector_typeIfLj2EEffffjfiS5_IjLj3EEiiiiiiiiiiiliiliiiiil.uses_vcc, 1
	.set _ZL15flash_attn_tileILi112ELi112ELi4ELi1ELb0EEvPKcS1_S1_S1_S1_PKiPfP15HIP_vector_typeIfLj2EEffffjfiS5_IjLj3EEiiiiiiiiiiiliiliiiiil.uses_flat_scratch, 1
	.set _ZL15flash_attn_tileILi112ELi112ELi4ELi1ELb0EEvPKcS1_S1_S1_S1_PKiPfP15HIP_vector_typeIfLj2EEffffjfiS5_IjLj3EEiiiiiiiiiiiliiliiiiil.has_dyn_sized_stack, 0
	.set _ZL15flash_attn_tileILi112ELi112ELi4ELi1ELb0EEvPKcS1_S1_S1_S1_PKiPfP15HIP_vector_typeIfLj2EEffffjfiS5_IjLj3EEiiiiiiiiiiiliiliiiiil.has_recursion, 0
	.set _ZL15flash_attn_tileILi112ELi112ELi4ELi1ELb0EEvPKcS1_S1_S1_S1_PKiPfP15HIP_vector_typeIfLj2EEffffjfiS5_IjLj3EEiiiiiiiiiiiliiliiiiil.has_indirect_call, 0
	.section	.AMDGPU.csdata,"",@progbits
; Kernel info:
; codeLenInByte = 10316
; TotalNumSgprs: 65
; NumVgprs: 100
; ScratchSize: 32
; MemoryBound: 0
; FloatMode: 240
; IeeeMode: 1
; LDSByteSize: 5312 bytes/workgroup (compile time only)
; SGPRBlocks: 12
; VGPRBlocks: 24
; NumSGPRsForWavesPerEU: 97
; NumVGPRsForWavesPerEU: 100
; Occupancy: 2
; WaveLimiterHint : 1
; COMPUTE_PGM_RSRC2:SCRATCH_EN: 1
; COMPUTE_PGM_RSRC2:USER_SGPR: 8
; COMPUTE_PGM_RSRC2:TRAP_HANDLER: 0
; COMPUTE_PGM_RSRC2:TGID_X_EN: 1
; COMPUTE_PGM_RSRC2:TGID_Y_EN: 1
; COMPUTE_PGM_RSRC2:TGID_Z_EN: 1
; COMPUTE_PGM_RSRC2:TIDIG_COMP_CNT: 1
	.section	.text._ZL33flash_attn_stream_k_fixup_uniformILi112ELi4ELi1EEvPfPK15HIP_vector_typeIfLj2EEiiiiiiS1_IjLj3EES5_S5_,"axG",@progbits,_ZL33flash_attn_stream_k_fixup_uniformILi112ELi4ELi1EEvPfPK15HIP_vector_typeIfLj2EEiiiiiiS1_IjLj3EES5_S5_,comdat
	.globl	_ZL33flash_attn_stream_k_fixup_uniformILi112ELi4ELi1EEvPfPK15HIP_vector_typeIfLj2EEiiiiiiS1_IjLj3EES5_S5_ ; -- Begin function _ZL33flash_attn_stream_k_fixup_uniformILi112ELi4ELi1EEvPfPK15HIP_vector_typeIfLj2EEiiiiiiS1_IjLj3EES5_S5_
	.p2align	8
	.type	_ZL33flash_attn_stream_k_fixup_uniformILi112ELi4ELi1EEvPfPK15HIP_vector_typeIfLj2EEiiiiiiS1_IjLj3EES5_S5_,@function
_ZL33flash_attn_stream_k_fixup_uniformILi112ELi4ELi1EEvPfPK15HIP_vector_typeIfLj2EEiiiiiiS1_IjLj3EES5_S5_: ; @_ZL33flash_attn_stream_k_fixup_uniformILi112ELi4ELi1EEvPfPK15HIP_vector_typeIfLj2EEiiiiiiS1_IjLj3EES5_S5_
; %bb.0:
	s_load_dwordx8 s[12:19], s[4:5], 0x1c
	s_load_dwordx2 s[10:11], s[4:5], 0x10
	s_load_dwordx4 s[0:3], s[4:5], 0x3c
	s_waitcnt lgkmcnt(0)
	s_mul_hi_u32 s9, s15, s6
	s_add_i32 s9, s6, s9
	s_lshr_b32 s9, s9, s16
	s_mul_i32 s15, s9, s17
	s_sub_i32 s16, s6, s15
	s_mul_hi_u32 s15, s16, s18
	s_add_i32 s15, s16, s15
	s_lshr_b32 s15, s15, s19
	s_mul_i32 s0, s15, s0
	s_sub_i32 s0, s16, s0
	s_mul_hi_u32 s1, s0, s1
	s_add_i32 s1, s0, s1
	s_lshr_b32 s17, s1, s2
	s_mul_i32 s1, s17, s3
	s_sub_i32 s16, s0, s1
	s_lshl_b32 s0, s16, 2
	s_add_i32 s0, s0, s7
	s_cmp_lt_i32 s0, s10
	s_cselect_b64 s[0:1], -1, 0
	s_add_i32 s17, s17, s8
	s_cmp_lt_i32 s17, s13
	s_cselect_b64 s[2:3], -1, 0
	s_and_b64 s[0:1], s[0:1], s[2:3]
	s_andn2_b64 vcc, exec, s[0:1]
	s_cbranch_vccnz .LBB66_6
; %bb.1:
	s_load_dwordx4 s[0:3], s[4:5], 0x0
	s_mul_i32 s4, s9, s10
	s_mul_i32 s15, s15, s13
	s_add_i32 s4, s4, s7
	s_mul_i32 s4, s4, s11
	s_add_i32 s9, s17, s15
	;; [unrolled: 2-line block ×3, first 2 shown]
	s_mulk_i32 s5, 0x1c0
	s_mulk_i32 s4, 0x70
	s_add_i32 s4, s4, s5
	v_add_u32_e32 v1, s4, v0
	v_ashrrev_i32_e32 v2, 31, v1
	v_lshlrev_b64 v[1:2], 2, v[1:2]
	s_waitcnt lgkmcnt(0)
	v_mov_b32_e32 v3, s1
	v_add_co_u32_e32 v1, vcc, s0, v1
	v_addc_co_u32_e32 v2, vcc, v3, v2, vcc
	global_load_dword v8, v[1:2], off
	s_add_i32 s4, s7, s8
	s_mul_i32 s7, s14, s6
	s_add_i32 s5, s7, s14
	s_lshl_b32 s0, s5, 2
	s_add_i32 s0, s4, s0
	s_add_i32 s0, s0, -4
	s_ashr_i32 s1, s0, 31
	s_lshl_b64 s[0:1], s[0:1], 3
	s_add_u32 s0, s2, s0
	s_addc_u32 s1, s3, s1
	s_load_dword s10, s[0:1], 0x4
	s_add_i32 s8, s5, -2
	s_cmp_lt_i32 s8, s7
	s_cbranch_scc1 .LBB66_4
; %bb.2:
	s_lshl_b32 s8, s12, 4
	s_ashr_i32 s9, s8, 31
	s_lshl_b64 s[8:9], s[8:9], 2
	s_add_u32 s8, s2, s8
	s_addc_u32 s11, s3, s9
	s_load_dword s0, s[0:1], 0x0
	s_add_i32 s6, s6, 1
	s_add_i32 s9, s5, -1
	s_mul_i32 s5, s14, s6
	s_mul_i32 s1, s4, 0x70
	s_lshl_b32 s6, s5, 2
	s_mulk_i32 s5, 0x1c0
	s_add_i32 s4, s4, s6
	s_lshl_b32 s6, s12, 2
	s_add_i32 s1, s1, s5
	s_add_i32 s4, s4, s6
	v_add_u32_e32 v0, s1, v0
	s_add_i32 s4, s4, -8
	v_add_u32_e32 v3, 0xfffffc80, v0
	s_waitcnt lgkmcnt(0)
	v_mov_b32_e32 v7, s10
	v_mov_b32_e32 v6, s0
	v_mov_b32_e32 v0, s11
	s_mov_b32 s6, 0x3fb8aa3b
	s_mov_b32 s10, 0xc2ce8ed0
	;; [unrolled: 1-line block ×3, first 2 shown]
	v_mov_b32_e32 v5, 0x7f800000
	s_mov_b32 s12, 0xc1a00000
.LBB66_3:                               ; =>This Inner Loop Header: Depth=1
	v_ashrrev_i32_e32 v4, 31, v3
	v_lshlrev_b64 v[9:10], 2, v[3:4]
	s_ashr_i32 s5, s4, 31
	v_add_co_u32_e32 v9, vcc, s8, v9
	v_addc_co_u32_e32 v10, vcc, v0, v10, vcc
	global_load_dword v4, v[9:10], off
	s_lshl_b64 s[0:1], s[4:5], 3
	s_add_u32 s0, s2, s0
	s_addc_u32 s1, s3, s1
	s_load_dwordx2 s[14:15], s[0:1], 0x0
	s_waitcnt vmcnt(1)
	v_mov_b32_e32 v9, v8
	v_max_f32_e32 v8, v6, v6
	v_mov_b32_e32 v10, v7
	s_add_i32 s9, s9, -1
	s_waitcnt lgkmcnt(0)
	v_max_f32_e64 v7, s14, s14
	v_max_f32_e32 v7, v8, v7
	v_sub_f32_e32 v11, s14, v7
	v_sub_f32_e32 v8, v6, v7
	v_mul_f32_e32 v12, 0x3fb8aa3b, v11
	v_mov_b32_e32 v6, v7
	v_mul_f32_e32 v7, 0x3fb8aa3b, v8
	v_fma_f32 v15, v11, s6, -v12
	v_rndne_f32_e32 v16, v12
	v_fma_f32 v13, v8, s6, -v7
	v_rndne_f32_e32 v14, v7
	v_fmac_f32_e32 v15, 0x32a5705f, v11
	v_sub_f32_e32 v12, v12, v16
	v_fmac_f32_e32 v13, 0x32a5705f, v8
	v_sub_f32_e32 v7, v7, v14
	v_add_f32_e32 v12, v12, v15
	v_cvt_i32_f32_e32 v16, v16
	v_add_f32_e32 v7, v7, v13
	v_exp_f32_e32 v12, v12
	v_cvt_i32_f32_e32 v14, v14
	v_exp_f32_e32 v7, v7
	v_cmp_ngt_f32_e32 vcc, s10, v11
	v_ldexp_f32 v12, v12, v16
	v_cmp_ngt_f32_e64 s[0:1], s10, v8
	v_ldexp_f32 v7, v7, v14
	v_cndmask_b32_e32 v12, 0, v12, vcc
	v_cmp_nlt_f32_e32 vcc, s11, v11
	v_cndmask_b32_e64 v7, 0, v7, s[0:1]
	v_cmp_nlt_f32_e64 s[0:1], s11, v8
	v_cndmask_b32_e32 v12, v5, v12, vcc
	v_cmp_le_f32_e32 vcc, s12, v11
	v_cndmask_b32_e64 v7, v5, v7, s[0:1]
	v_cmp_le_f32_e64 s[0:1], s12, v8
	v_cndmask_b32_e32 v8, 0, v12, vcc
	s_add_i32 s4, s4, -4
	v_cndmask_b32_e64 v11, 0, v7, s[0:1]
	v_mul_f32_e32 v7, s15, v8
	v_add_u32_e32 v3, 0xfffffe40, v3
	s_cmp_le_i32 s9, s7
	v_fmac_f32_e32 v7, v10, v11
	s_waitcnt vmcnt(0)
	v_mul_f32_e32 v8, v4, v8
	v_fmac_f32_e32 v8, v9, v11
	s_cbranch_scc0 .LBB66_3
	s_branch .LBB66_5
.LBB66_4:
	s_waitcnt lgkmcnt(0)
	v_mov_b32_e32 v7, s10
.LBB66_5:
	s_waitcnt vmcnt(0)
	v_div_scale_f32 v0, s[0:1], v7, v7, v8
	v_div_scale_f32 v3, vcc, v8, v7, v8
	v_rcp_f32_e32 v4, v0
	v_fma_f32 v5, -v0, v4, 1.0
	v_fmac_f32_e32 v4, v5, v4
	v_mul_f32_e32 v5, v3, v4
	v_fma_f32 v6, -v0, v5, v3
	v_fmac_f32_e32 v5, v6, v4
	v_fma_f32 v0, -v0, v5, v3
	v_div_fmas_f32 v0, v0, v4, v5
	v_div_fixup_f32 v0, v0, v7, v8
	global_store_dword v[1:2], v0, off
.LBB66_6:
	s_endpgm
	.section	.rodata,"a",@progbits
	.p2align	6, 0x0
	.amdhsa_kernel _ZL33flash_attn_stream_k_fixup_uniformILi112ELi4ELi1EEvPfPK15HIP_vector_typeIfLj2EEiiiiiiS1_IjLj3EES5_S5_
		.amdhsa_group_segment_fixed_size 0
		.amdhsa_private_segment_fixed_size 0
		.amdhsa_kernarg_size 76
		.amdhsa_user_sgpr_count 6
		.amdhsa_user_sgpr_private_segment_buffer 1
		.amdhsa_user_sgpr_dispatch_ptr 0
		.amdhsa_user_sgpr_queue_ptr 0
		.amdhsa_user_sgpr_kernarg_segment_ptr 1
		.amdhsa_user_sgpr_dispatch_id 0
		.amdhsa_user_sgpr_flat_scratch_init 0
		.amdhsa_user_sgpr_private_segment_size 0
		.amdhsa_uses_dynamic_stack 0
		.amdhsa_system_sgpr_private_segment_wavefront_offset 0
		.amdhsa_system_sgpr_workgroup_id_x 1
		.amdhsa_system_sgpr_workgroup_id_y 1
		.amdhsa_system_sgpr_workgroup_id_z 1
		.amdhsa_system_sgpr_workgroup_info 0
		.amdhsa_system_vgpr_workitem_id 0
		.amdhsa_next_free_vgpr 17
		.amdhsa_next_free_sgpr 20
		.amdhsa_reserve_vcc 1
		.amdhsa_reserve_flat_scratch 0
		.amdhsa_float_round_mode_32 0
		.amdhsa_float_round_mode_16_64 0
		.amdhsa_float_denorm_mode_32 3
		.amdhsa_float_denorm_mode_16_64 3
		.amdhsa_dx10_clamp 1
		.amdhsa_ieee_mode 1
		.amdhsa_fp16_overflow 0
		.amdhsa_exception_fp_ieee_invalid_op 0
		.amdhsa_exception_fp_denorm_src 0
		.amdhsa_exception_fp_ieee_div_zero 0
		.amdhsa_exception_fp_ieee_overflow 0
		.amdhsa_exception_fp_ieee_underflow 0
		.amdhsa_exception_fp_ieee_inexact 0
		.amdhsa_exception_int_div_zero 0
	.end_amdhsa_kernel
	.section	.text._ZL33flash_attn_stream_k_fixup_uniformILi112ELi4ELi1EEvPfPK15HIP_vector_typeIfLj2EEiiiiiiS1_IjLj3EES5_S5_,"axG",@progbits,_ZL33flash_attn_stream_k_fixup_uniformILi112ELi4ELi1EEvPfPK15HIP_vector_typeIfLj2EEiiiiiiS1_IjLj3EES5_S5_,comdat
.Lfunc_end66:
	.size	_ZL33flash_attn_stream_k_fixup_uniformILi112ELi4ELi1EEvPfPK15HIP_vector_typeIfLj2EEiiiiiiS1_IjLj3EES5_S5_, .Lfunc_end66-_ZL33flash_attn_stream_k_fixup_uniformILi112ELi4ELi1EEvPfPK15HIP_vector_typeIfLj2EEiiiiiiS1_IjLj3EES5_S5_
                                        ; -- End function
	.set _ZL33flash_attn_stream_k_fixup_uniformILi112ELi4ELi1EEvPfPK15HIP_vector_typeIfLj2EEiiiiiiS1_IjLj3EES5_S5_.num_vgpr, 17
	.set _ZL33flash_attn_stream_k_fixup_uniformILi112ELi4ELi1EEvPfPK15HIP_vector_typeIfLj2EEiiiiiiS1_IjLj3EES5_S5_.num_agpr, 0
	.set _ZL33flash_attn_stream_k_fixup_uniformILi112ELi4ELi1EEvPfPK15HIP_vector_typeIfLj2EEiiiiiiS1_IjLj3EES5_S5_.numbered_sgpr, 20
	.set _ZL33flash_attn_stream_k_fixup_uniformILi112ELi4ELi1EEvPfPK15HIP_vector_typeIfLj2EEiiiiiiS1_IjLj3EES5_S5_.num_named_barrier, 0
	.set _ZL33flash_attn_stream_k_fixup_uniformILi112ELi4ELi1EEvPfPK15HIP_vector_typeIfLj2EEiiiiiiS1_IjLj3EES5_S5_.private_seg_size, 0
	.set _ZL33flash_attn_stream_k_fixup_uniformILi112ELi4ELi1EEvPfPK15HIP_vector_typeIfLj2EEiiiiiiS1_IjLj3EES5_S5_.uses_vcc, 1
	.set _ZL33flash_attn_stream_k_fixup_uniformILi112ELi4ELi1EEvPfPK15HIP_vector_typeIfLj2EEiiiiiiS1_IjLj3EES5_S5_.uses_flat_scratch, 0
	.set _ZL33flash_attn_stream_k_fixup_uniformILi112ELi4ELi1EEvPfPK15HIP_vector_typeIfLj2EEiiiiiiS1_IjLj3EES5_S5_.has_dyn_sized_stack, 0
	.set _ZL33flash_attn_stream_k_fixup_uniformILi112ELi4ELi1EEvPfPK15HIP_vector_typeIfLj2EEiiiiiiS1_IjLj3EES5_S5_.has_recursion, 0
	.set _ZL33flash_attn_stream_k_fixup_uniformILi112ELi4ELi1EEvPfPK15HIP_vector_typeIfLj2EEiiiiiiS1_IjLj3EES5_S5_.has_indirect_call, 0
	.section	.AMDGPU.csdata,"",@progbits
; Kernel info:
; codeLenInByte = 836
; TotalNumSgprs: 24
; NumVgprs: 17
; ScratchSize: 0
; MemoryBound: 0
; FloatMode: 240
; IeeeMode: 1
; LDSByteSize: 0 bytes/workgroup (compile time only)
; SGPRBlocks: 2
; VGPRBlocks: 4
; NumSGPRsForWavesPerEU: 24
; NumVGPRsForWavesPerEU: 17
; Occupancy: 10
; WaveLimiterHint : 0
; COMPUTE_PGM_RSRC2:SCRATCH_EN: 0
; COMPUTE_PGM_RSRC2:USER_SGPR: 6
; COMPUTE_PGM_RSRC2:TRAP_HANDLER: 0
; COMPUTE_PGM_RSRC2:TGID_X_EN: 1
; COMPUTE_PGM_RSRC2:TGID_Y_EN: 1
; COMPUTE_PGM_RSRC2:TGID_Z_EN: 1
; COMPUTE_PGM_RSRC2:TIDIG_COMP_CNT: 0
	.section	.text._ZL33flash_attn_stream_k_fixup_generalILi112ELi4ELi1EEvPfPK15HIP_vector_typeIfLj2EEiiiiS1_IjLj3EES5_S5_S5_,"axG",@progbits,_ZL33flash_attn_stream_k_fixup_generalILi112ELi4ELi1EEvPfPK15HIP_vector_typeIfLj2EEiiiiS1_IjLj3EES5_S5_S5_,comdat
	.globl	_ZL33flash_attn_stream_k_fixup_generalILi112ELi4ELi1EEvPfPK15HIP_vector_typeIfLj2EEiiiiS1_IjLj3EES5_S5_S5_ ; -- Begin function _ZL33flash_attn_stream_k_fixup_generalILi112ELi4ELi1EEvPfPK15HIP_vector_typeIfLj2EEiiiiS1_IjLj3EES5_S5_S5_
	.p2align	8
	.type	_ZL33flash_attn_stream_k_fixup_generalILi112ELi4ELi1EEvPfPK15HIP_vector_typeIfLj2EEiiiiS1_IjLj3EES5_S5_S5_,@function
_ZL33flash_attn_stream_k_fixup_generalILi112ELi4ELi1EEvPfPK15HIP_vector_typeIfLj2EEiiiiS1_IjLj3EES5_S5_S5_: ; @_ZL33flash_attn_stream_k_fixup_generalILi112ELi4ELi1EEvPfPK15HIP_vector_typeIfLj2EEiiiiS1_IjLj3EES5_S5_S5_
; %bb.0:
	s_load_dwordx4 s[0:3], s[4:5], 0x10
	s_load_dword s22, s[4:5], 0x50
	s_mov_b32 s12, 0
	s_waitcnt lgkmcnt(0)
	s_mul_hi_i32 s13, s3, s6
	s_cmp_lg_u64 s[12:13], 0
	s_mul_i32 s9, s3, s6
	s_cbranch_scc0 .LBB67_20
; %bb.1:
	s_add_u32 s10, s22, 0
	s_addc_u32 s11, 0, 0
	s_xor_b64 s[10:11], s[10:11], 0
	v_cvt_f32_u32_e32 v1, s10
	v_cvt_f32_u32_e32 v2, s11
	s_sub_u32 s12, 0, s10
	s_subb_u32 s18, 0, s11
	v_madmk_f32 v1, v2, 0x4f800000, v1
	v_rcp_f32_e32 v1, v1
	v_mul_f32_e32 v1, 0x5f7ffffc, v1
	v_mul_f32_e32 v2, 0x2f800000, v1
	v_trunc_f32_e32 v2, v2
	v_madmk_f32 v1, v2, 0xcf800000, v1
	v_cvt_u32_f32_e32 v2, v2
	v_cvt_u32_f32_e32 v1, v1
	v_readfirstlane_b32 s19, v2
	v_readfirstlane_b32 s14, v1
	s_mul_i32 s15, s12, s19
	s_mul_hi_u32 s21, s12, s14
	s_mul_i32 s20, s18, s14
	s_add_i32 s15, s21, s15
	s_add_i32 s15, s15, s20
	s_mul_i32 s23, s12, s14
	s_mul_i32 s21, s14, s15
	s_mul_hi_u32 s24, s14, s23
	s_mul_hi_u32 s20, s14, s15
	s_add_u32 s21, s24, s21
	s_addc_u32 s20, 0, s20
	s_mul_hi_u32 s25, s19, s23
	s_mul_i32 s23, s19, s23
	s_add_u32 s21, s21, s23
	s_mul_hi_u32 s24, s19, s15
	s_addc_u32 s20, s20, s25
	s_addc_u32 s21, s24, 0
	s_mul_i32 s15, s19, s15
	s_add_u32 s15, s20, s15
	s_addc_u32 s20, 0, s21
	s_add_u32 s21, s14, s15
	s_cselect_b64 s[14:15], -1, 0
	s_cmp_lg_u64 s[14:15], 0
	s_addc_u32 s19, s19, s20
	s_mul_i32 s14, s12, s19
	s_mul_hi_u32 s15, s12, s21
	s_add_i32 s14, s15, s14
	s_mul_i32 s18, s18, s21
	s_add_i32 s14, s14, s18
	s_mul_i32 s12, s12, s21
	s_mul_hi_u32 s18, s19, s12
	s_mul_i32 s20, s19, s12
	s_mul_i32 s24, s21, s14
	s_mul_hi_u32 s12, s21, s12
	s_mul_hi_u32 s23, s21, s14
	s_add_u32 s12, s12, s24
	s_addc_u32 s23, 0, s23
	s_add_u32 s12, s12, s20
	s_mul_hi_u32 s15, s19, s14
	s_addc_u32 s12, s23, s18
	s_addc_u32 s15, s15, 0
	s_mul_i32 s14, s19, s14
	s_add_u32 s12, s12, s14
	s_addc_u32 s18, 0, s15
	s_add_u32 s20, s21, s12
	s_cselect_b64 s[14:15], -1, 0
	s_cmp_lg_u64 s[14:15], 0
	s_addc_u32 s18, s19, s18
	s_ashr_i32 s14, s13, 31
	s_add_u32 s12, s9, s14
	s_mov_b32 s15, s14
	s_addc_u32 s13, s13, s14
	s_xor_b64 s[12:13], s[12:13], s[14:15]
	s_mul_i32 s21, s12, s18
	s_mul_hi_u32 s23, s12, s20
	s_mul_hi_u32 s19, s12, s18
	s_add_u32 s21, s23, s21
	s_addc_u32 s19, 0, s19
	s_mul_hi_u32 s24, s13, s20
	s_mul_i32 s20, s13, s20
	s_add_u32 s20, s21, s20
	s_mul_hi_u32 s23, s13, s18
	s_addc_u32 s19, s19, s24
	s_addc_u32 s20, s23, 0
	s_mul_i32 s18, s13, s18
	s_add_u32 s23, s19, s18
	s_addc_u32 s24, 0, s20
	s_mul_i32 s18, s10, s24
	s_mul_hi_u32 s19, s10, s23
	s_add_i32 s18, s19, s18
	s_mul_i32 s19, s11, s23
	s_add_i32 s25, s18, s19
	s_sub_i32 s20, s13, s25
	s_mul_i32 s18, s10, s23
	s_sub_u32 s12, s12, s18
	s_cselect_b64 s[18:19], -1, 0
	s_cmp_lg_u64 s[18:19], 0
	s_subb_u32 s26, s20, s11
	s_sub_u32 s27, s12, s10
	s_cselect_b64 s[20:21], -1, 0
	s_cmp_lg_u64 s[20:21], 0
	s_subb_u32 s20, s26, 0
	s_cmp_ge_u32 s20, s11
	s_cselect_b32 s21, -1, 0
	s_cmp_ge_u32 s27, s10
	s_cselect_b32 s26, -1, 0
	s_cmp_eq_u32 s20, s11
	s_cselect_b32 s20, s26, s21
	s_add_u32 s21, s23, 1
	s_addc_u32 s26, s24, 0
	s_add_u32 s27, s23, 2
	s_addc_u32 s28, s24, 0
	s_cmp_lg_u32 s20, 0
	s_cselect_b32 s20, s27, s21
	s_cselect_b32 s21, s28, s26
	s_cmp_lg_u64 s[18:19], 0
	s_subb_u32 s13, s13, s25
	s_cmp_ge_u32 s13, s11
	s_cselect_b32 s18, -1, 0
	s_cmp_ge_u32 s12, s10
	s_cselect_b32 s10, -1, 0
	s_cmp_eq_u32 s13, s11
	s_cselect_b32 s10, s10, s18
	s_cmp_lg_u32 s10, 0
	s_cselect_b32 s11, s21, s24
	s_cselect_b32 s10, s20, s23
	s_xor_b64 s[12:13], s[14:15], 0
	s_xor_b64 s[10:11], s[10:11], s[12:13]
	s_sub_u32 s10, s10, s12
	s_load_dwordx4 s[12:15], s[4:5], 0x44
	s_cbranch_execnz .LBB67_3
.LBB67_2:
	v_cvt_f32_u32_e32 v1, s22
	s_sub_i32 s10, 0, s22
	v_rcp_iflag_f32_e32 v1, v1
	v_mul_f32_e32 v1, 0x4f7ffffe, v1
	v_cvt_u32_f32_e32 v1, v1
	v_readfirstlane_b32 s11, v1
	s_mul_i32 s10, s10, s11
	s_mul_hi_u32 s10, s11, s10
	s_add_i32 s11, s11, s10
	s_mul_hi_u32 s10, s9, s11
	s_waitcnt lgkmcnt(0)
	s_mul_i32 s15, s10, s22
	s_sub_i32 s9, s9, s15
	s_add_i32 s11, s10, 1
	s_sub_i32 s15, s9, s22
	s_cmp_ge_u32 s9, s22
	s_cselect_b32 s10, s11, s10
	s_cselect_b32 s9, s15, s9
	s_add_i32 s11, s10, 1
	s_cmp_ge_u32 s9, s22
	s_cselect_b32 s10, s11, s10
.LBB67_3:
	s_add_i32 s9, s6, 1
	s_mul_hi_i32 s21, s3, s9
	s_mov_b32 s20, 0
	s_cmp_lg_u64 s[20:21], 0
	s_mul_i32 s9, s3, s9
	s_cbranch_scc0 .LBB67_21
; %bb.4:
	s_add_u32 s16, s22, 0
	s_addc_u32 s17, 0, 0
	s_xor_b64 s[18:19], s[16:17], 0
	v_cvt_f32_u32_e32 v1, s18
	v_cvt_f32_u32_e32 v2, s19
	s_sub_u32 s11, 0, s18
	s_waitcnt lgkmcnt(0)
	s_subb_u32 s15, 0, s19
	v_madmk_f32 v1, v2, 0x4f800000, v1
	v_rcp_f32_e32 v1, v1
	v_mul_f32_e32 v1, 0x5f7ffffc, v1
	v_mul_f32_e32 v2, 0x2f800000, v1
	v_trunc_f32_e32 v2, v2
	v_madmk_f32 v1, v2, 0xcf800000, v1
	v_cvt_u32_f32_e32 v2, v2
	v_cvt_u32_f32_e32 v1, v1
	v_readfirstlane_b32 s20, v2
	v_readfirstlane_b32 s23, v1
	s_mul_i32 s24, s11, s20
	s_mul_hi_u32 s26, s11, s23
	s_mul_i32 s25, s15, s23
	s_add_i32 s24, s26, s24
	s_add_i32 s24, s24, s25
	s_mul_i32 s27, s11, s23
	s_mul_i32 s26, s23, s24
	s_mul_hi_u32 s28, s23, s27
	s_mul_hi_u32 s25, s23, s24
	s_add_u32 s26, s28, s26
	s_addc_u32 s25, 0, s25
	s_mul_hi_u32 s29, s20, s27
	s_mul_i32 s27, s20, s27
	s_add_u32 s26, s26, s27
	s_mul_hi_u32 s28, s20, s24
	s_addc_u32 s25, s25, s29
	s_addc_u32 s26, s28, 0
	s_mul_i32 s24, s20, s24
	s_add_u32 s24, s25, s24
	s_addc_u32 s26, 0, s26
	s_add_u32 s23, s23, s24
	s_cselect_b64 s[24:25], -1, 0
	s_cmp_lg_u64 s[24:25], 0
	s_addc_u32 s20, s20, s26
	s_mul_i32 s24, s11, s20
	s_mul_hi_u32 s25, s11, s23
	s_add_i32 s24, s25, s24
	s_mul_i32 s15, s15, s23
	s_add_i32 s24, s24, s15
	s_mul_i32 s11, s11, s23
	s_mul_hi_u32 s25, s20, s11
	s_mul_i32 s26, s20, s11
	s_mul_i32 s28, s23, s24
	s_mul_hi_u32 s11, s23, s11
	s_mul_hi_u32 s27, s23, s24
	s_add_u32 s11, s11, s28
	s_addc_u32 s27, 0, s27
	s_add_u32 s11, s11, s26
	s_mul_hi_u32 s15, s20, s24
	s_addc_u32 s11, s27, s25
	s_addc_u32 s15, s15, 0
	s_mul_i32 s24, s20, s24
	s_add_u32 s11, s11, s24
	s_addc_u32 s15, 0, s15
	s_add_u32 s11, s23, s11
	s_cselect_b64 s[24:25], -1, 0
	s_cmp_lg_u64 s[24:25], 0
	s_addc_u32 s15, s20, s15
	s_ashr_i32 s24, s21, 31
	s_add_u32 s20, s9, s24
	s_mov_b32 s25, s24
	s_addc_u32 s21, s21, s24
	s_xor_b64 s[20:21], s[20:21], s[24:25]
	s_mul_i32 s26, s20, s15
	s_mul_hi_u32 s27, s20, s11
	s_mul_hi_u32 s23, s20, s15
	s_add_u32 s26, s27, s26
	s_addc_u32 s23, 0, s23
	s_mul_hi_u32 s28, s21, s11
	s_mul_i32 s11, s21, s11
	s_add_u32 s11, s26, s11
	s_mul_hi_u32 s27, s21, s15
	s_addc_u32 s11, s23, s28
	s_addc_u32 s23, s27, 0
	s_mul_i32 s15, s21, s15
	s_add_u32 s11, s11, s15
	s_addc_u32 s15, 0, s23
	s_mul_i32 s23, s18, s15
	s_mul_hi_u32 s26, s18, s11
	s_add_i32 s23, s26, s23
	s_mul_i32 s26, s19, s11
	s_add_i32 s23, s23, s26
	s_sub_i32 s28, s21, s23
	s_mul_i32 s26, s18, s11
	s_sub_u32 s20, s20, s26
	s_cselect_b64 s[26:27], -1, 0
	s_cmp_lg_u64 s[26:27], 0
	s_subb_u32 s30, s28, s19
	s_sub_u32 s31, s20, s18
	s_cselect_b64 s[28:29], -1, 0
	s_cmp_lg_u64 s[28:29], 0
	s_subb_u32 s28, s30, 0
	s_cmp_ge_u32 s28, s19
	s_cselect_b32 s29, -1, 0
	s_cmp_ge_u32 s31, s18
	s_cselect_b32 s30, -1, 0
	s_cmp_eq_u32 s28, s19
	s_cselect_b32 s28, s30, s29
	s_add_u32 s29, s11, 1
	s_addc_u32 s30, s15, 0
	s_add_u32 s31, s11, 2
	s_addc_u32 s33, s15, 0
	s_cmp_lg_u32 s28, 0
	s_cselect_b32 s28, s31, s29
	s_cselect_b32 s29, s33, s30
	s_cmp_lg_u64 s[26:27], 0
	s_subb_u32 s21, s21, s23
	s_cmp_ge_u32 s21, s19
	s_cselect_b32 s23, -1, 0
	s_cmp_ge_u32 s20, s18
	s_cselect_b32 s18, -1, 0
	s_cmp_eq_u32 s21, s19
	s_cselect_b32 s18, s18, s23
	s_cmp_lg_u32 s18, 0
	s_cselect_b32 s19, s29, s15
	s_cselect_b32 s18, s28, s11
	s_xor_b64 s[20:21], s[24:25], 0
	s_xor_b64 s[18:19], s[18:19], s[20:21]
	s_sub_u32 s18, s18, s20
	s_cbranch_execnz .LBB67_6
.LBB67_5:
	v_cvt_f32_u32_e32 v1, s22
	s_sub_i32 s11, 0, s22
	v_rcp_iflag_f32_e32 v1, v1
	v_mul_f32_e32 v1, 0x4f7ffffe, v1
	v_cvt_u32_f32_e32 v1, v1
	s_waitcnt lgkmcnt(0)
	v_readfirstlane_b32 s15, v1
	s_mul_i32 s11, s11, s15
	s_mul_hi_u32 s11, s15, s11
	s_add_i32 s15, s15, s11
	s_mul_hi_u32 s11, s9, s15
	s_mul_i32 s16, s11, s22
	s_sub_i32 s9, s9, s16
	s_add_i32 s15, s11, 1
	s_sub_i32 s16, s9, s22
	s_cmp_ge_u32 s9, s22
	s_cselect_b32 s11, s15, s11
	s_cselect_b32 s9, s16, s9
	s_add_i32 s15, s11, 1
	s_cmp_ge_u32 s9, s22
	s_cselect_b32 s18, s15, s11
.LBB67_6:
	s_cmp_eq_u32 s10, s18
	s_waitcnt lgkmcnt(0)
	s_mul_hi_u32 s9, s10, s12
	s_cselect_b64 s[16:17], -1, 0
	s_add_i32 s9, s9, s10
	s_lshr_b32 s11, s9, s13
	s_mul_i32 s9, s11, s14
	s_cmp_eq_u32 s9, s10
	s_mul_hi_u32 s9, s18, s12
	s_cselect_b64 s[20:21], -1, 0
	s_add_i32 s9, s9, s18
	s_lshr_b32 s9, s9, s13
	s_cmp_eq_u32 s11, s9
	s_mul_i32 s9, s9, s14
	s_cselect_b64 s[24:25], -1, 0
	s_cmp_lg_u32 s9, s18
	s_cselect_b64 s[18:19], -1, 0
	s_and_b64 s[18:19], s[24:25], s[18:19]
	s_or_b64 s[16:17], s[16:17], s[20:21]
	s_or_b64 s[16:17], s[16:17], s[18:19]
	s_and_b64 vcc, exec, s[16:17]
	s_cbranch_vccnz .LBB67_23
; %bb.7:
	s_load_dwordx8 s[24:31], s[4:5], 0x20
	s_load_dword s15, s[4:5], 0x40
	s_waitcnt lgkmcnt(0)
	s_mul_hi_u32 s9, s10, s24
	s_add_i32 s9, s9, s10
	s_lshr_b32 s9, s9, s25
	s_mul_i32 s16, s9, s26
	s_sub_i32 s16, s10, s16
	s_mul_hi_u32 s17, s16, s27
	s_add_i32 s17, s16, s17
	s_lshr_b32 s23, s17, s28
	s_mul_i32 s17, s23, s29
	s_sub_i32 s16, s16, s17
	;; [unrolled: 5-line block ×3, first 2 shown]
	s_mul_hi_u32 s16, s15, s12
	s_add_i32 s15, s15, s16
	s_lshr_b32 s24, s15, s13
	s_lshl_b32 s15, s24, 2
	s_add_i32 s15, s15, s7
	s_cmp_lt_i32 s15, s0
	s_cselect_b64 s[16:17], -1, 0
	s_add_i32 s25, s25, s8
	s_cmp_lt_i32 s25, s2
	s_cselect_b64 s[18:19], -1, 0
	s_and_b64 s[16:17], s[16:17], s[18:19]
	s_andn2_b64 vcc, exec, s[16:17]
	s_cbranch_vccnz .LBB67_23
; %bb.8:
	s_load_dwordx4 s[16:19], s[4:5], 0x0
	s_mov_b32 s4, 0
	s_lshl_b32 s20, s22, 4
	s_mov_b32 s21, s4
	s_add_i32 s15, s7, s8
	s_lshl_b64 s[20:21], s[20:21], 2
	s_waitcnt lgkmcnt(0)
	s_add_u32 s20, s18, s20
	s_mul_i32 s0, s9, s0
	s_addc_u32 s21, s19, s21
	s_mul_i32 s23, s23, s2
	s_add_i32 s0, s0, s7
	s_mul_i32 s2, s1, s24
	s_mul_i32 s0, s0, s1
	s_add_i32 s1, s25, s23
	s_add_i32 s0, s1, s0
	s_mulk_i32 s2, 0x1c0
	s_mulk_i32 s0, 0x70
	s_add_i32 s2, s2, s0
	v_add_u32_e32 v1, s2, v0
	v_ashrrev_i32_e32 v2, 31, v1
	v_lshlrev_b64 v[1:2], 2, v[1:2]
	v_mov_b32_e32 v3, s17
	v_add_co_u32_e32 v1, vcc, s16, v1
	v_addc_co_u32_e32 v2, vcc, v3, v2, vcc
	global_load_dword v3, v[1:2], off
	v_cvt_f32_u32_e32 v4, s22
	s_lshl_b32 s0, s6, 2
	s_add_i32 s0, s0, s15
	s_ashr_i32 s1, s0, 31
	s_lshl_b64 s[0:1], s[0:1], 3
	v_rcp_iflag_f32_e32 v4, v4
	s_add_u32 s0, s18, s0
	s_addc_u32 s1, s19, s1
	s_load_dwordx2 s[0:1], s[0:1], 0x0
	v_mul_f32_e32 v4, 0x4f7ffffe, v4
	v_cvt_u32_f32_e32 v4, v4
	s_mul_i32 s2, s15, 0x70
	s_add_i32 s24, s6, -1
	v_add_u32_e32 v0, s2, v0
	s_waitcnt lgkmcnt(0)
	v_mov_b32_e32 v6, s1
	v_mov_b32_e32 v7, s0
	s_mov_b32 s2, 0x3fb8aa3b
	s_mov_b32 s16, 0xc2ce8ed0
	;; [unrolled: 1-line block ×4, first 2 shown]
	v_mov_b32_e32 v5, 0x7f800000
	s_mul_hi_i32 s5, s24, s3
	s_cmp_lg_u64 s[4:5], 0
	s_mul_i32 s8, s24, s3
	s_cbranch_scc0 .LBB67_19
.LBB67_9:
	s_add_u32 s0, s22, 0
	s_addc_u32 s1, 0, 0
	s_xor_b64 s[0:1], s[0:1], 0
	v_cvt_f32_u32_e32 v8, s0
	v_cvt_f32_u32_e32 v9, s1
	s_sub_u32 s9, 0, s0
	s_subb_u32 s25, 0, s1
	v_mac_f32_e32 v8, 0x4f800000, v9
	v_rcp_f32_e32 v8, v8
	v_mul_f32_e32 v8, 0x5f7ffffc, v8
	v_mul_f32_e32 v9, 0x2f800000, v8
	v_trunc_f32_e32 v9, v9
	v_mac_f32_e32 v8, 0xcf800000, v9
	v_cvt_u32_f32_e32 v9, v9
	v_cvt_u32_f32_e32 v8, v8
	v_readfirstlane_b32 s26, v9
	v_readfirstlane_b32 s6, v8
	s_mul_i32 s7, s9, s26
	s_mul_hi_u32 s28, s9, s6
	s_mul_i32 s27, s25, s6
	s_add_i32 s7, s28, s7
	s_mul_i32 s29, s9, s6
	s_add_i32 s7, s7, s27
	s_mul_i32 s28, s6, s7
	s_mul_hi_u32 s30, s6, s29
	s_mul_hi_u32 s27, s6, s7
	s_add_u32 s28, s30, s28
	s_addc_u32 s27, 0, s27
	s_mul_hi_u32 s31, s26, s29
	s_mul_i32 s29, s26, s29
	s_add_u32 s28, s28, s29
	s_mul_hi_u32 s30, s26, s7
	s_addc_u32 s27, s27, s31
	s_addc_u32 s28, s30, 0
	s_mul_i32 s7, s26, s7
	s_add_u32 s7, s27, s7
	s_addc_u32 s27, 0, s28
	s_add_u32 s28, s6, s7
	s_cselect_b64 s[6:7], -1, 0
	s_cmp_lg_u64 s[6:7], 0
	s_addc_u32 s26, s26, s27
	s_mul_i32 s6, s9, s26
	s_mul_hi_u32 s7, s9, s28
	s_add_i32 s6, s7, s6
	s_mul_i32 s25, s25, s28
	s_add_i32 s6, s6, s25
	s_mul_i32 s9, s9, s28
	s_mul_hi_u32 s25, s26, s9
	s_mul_i32 s27, s26, s9
	s_mul_i32 s30, s28, s6
	s_mul_hi_u32 s9, s28, s9
	s_mul_hi_u32 s29, s28, s6
	s_add_u32 s9, s9, s30
	s_addc_u32 s29, 0, s29
	s_add_u32 s9, s9, s27
	s_mul_hi_u32 s7, s26, s6
	s_addc_u32 s9, s29, s25
	s_addc_u32 s7, s7, 0
	s_mul_i32 s6, s26, s6
	s_add_u32 s6, s9, s6
	s_addc_u32 s9, 0, s7
	s_add_u32 s25, s28, s6
	s_cselect_b64 s[6:7], -1, 0
	s_cmp_lg_u64 s[6:7], 0
	s_addc_u32 s9, s26, s9
	s_ashr_i32 s6, s5, 31
	s_add_u32 s26, s8, s6
	s_mov_b32 s7, s6
	s_addc_u32 s27, s5, s6
	s_xor_b64 s[26:27], s[26:27], s[6:7]
	s_mul_i32 s28, s26, s9
	s_mul_hi_u32 s29, s26, s25
	s_mul_hi_u32 s5, s26, s9
	s_add_u32 s28, s29, s28
	s_addc_u32 s5, 0, s5
	s_mul_hi_u32 s30, s27, s25
	s_mul_i32 s25, s27, s25
	s_add_u32 s25, s28, s25
	s_mul_hi_u32 s29, s27, s9
	s_addc_u32 s5, s5, s30
	s_addc_u32 s25, s29, 0
	s_mul_i32 s9, s27, s9
	s_add_u32 s5, s5, s9
	s_addc_u32 s9, 0, s25
	s_mul_i32 s25, s0, s9
	s_mul_hi_u32 s28, s0, s5
	s_add_i32 s25, s28, s25
	s_mul_i32 s28, s1, s5
	s_add_i32 s25, s25, s28
	s_sub_i32 s30, s27, s25
	s_mul_i32 s28, s0, s5
	s_sub_u32 s26, s26, s28
	s_cselect_b64 s[28:29], -1, 0
	s_cmp_lg_u64 s[28:29], 0
	s_subb_u32 s33, s30, s1
	s_sub_u32 s34, s26, s0
	s_cselect_b64 s[30:31], -1, 0
	s_cmp_lg_u64 s[30:31], 0
	s_subb_u32 s30, s33, 0
	s_cmp_ge_u32 s30, s1
	s_cselect_b32 s31, -1, 0
	s_cmp_ge_u32 s34, s0
	s_cselect_b32 s33, -1, 0
	s_cmp_eq_u32 s30, s1
	s_cselect_b32 s30, s33, s31
	s_add_u32 s31, s5, 1
	s_addc_u32 s33, s9, 0
	s_add_u32 s34, s5, 2
	s_addc_u32 s35, s9, 0
	s_cmp_lg_u32 s30, 0
	s_cselect_b32 s30, s34, s31
	s_cselect_b32 s31, s35, s33
	s_cmp_lg_u64 s[28:29], 0
	s_subb_u32 s25, s27, s25
	s_cmp_ge_u32 s25, s1
	s_cselect_b32 s27, -1, 0
	s_cmp_ge_u32 s26, s0
	s_cselect_b32 s0, -1, 0
	s_cmp_eq_u32 s25, s1
	s_cselect_b32 s0, s0, s27
	s_cmp_lg_u32 s0, 0
	s_cselect_b32 s1, s31, s9
	s_cselect_b32 s0, s30, s5
	s_xor_b64 s[6:7], s[6:7], 0
	s_xor_b64 s[0:1], s[0:1], s[6:7]
	s_sub_u32 s6, s0, s6
	s_cbranch_execnz .LBB67_11
.LBB67_10:
	s_sub_i32 s0, 0, s22
	v_readfirstlane_b32 s1, v4
	s_mul_i32 s0, s0, s1
	s_mul_hi_u32 s0, s1, s0
	s_add_i32 s1, s1, s0
	s_mul_hi_u32 s0, s8, s1
	s_mul_i32 s5, s0, s22
	s_sub_i32 s5, s8, s5
	s_add_i32 s1, s0, 1
	s_sub_i32 s6, s5, s22
	s_cmp_ge_u32 s5, s22
	s_cselect_b32 s0, s1, s0
	s_cselect_b32 s5, s6, s5
	s_add_i32 s1, s0, 1
	s_cmp_ge_u32 s5, s22
	s_cselect_b32 s6, s1, s0
.LBB67_11:
	s_cmp_lg_u32 s10, s6
	s_mov_b64 s[8:9], -1
                                        ; implicit-def: $sgpr0_sgpr1
                                        ; implicit-def: $vgpr10
                                        ; implicit-def: $vgpr8
                                        ; implicit-def: $vgpr9
                                        ; implicit-def: $sgpr5
                                        ; implicit-def: $sgpr7
	s_cbranch_scc1 .LBB67_14
; %bb.12:
	s_andn2_b64 vcc, exec, s[8:9]
	s_cbranch_vccz .LBB67_17
.LBB67_13:
	s_andn2_b64 vcc, exec, s[0:1]
	s_cbranch_vccnz .LBB67_18
	s_branch .LBB67_22
.LBB67_14:
	s_add_i32 s0, s24, s22
	s_lshl_b32 s0, s0, 2
	s_add_i32 s0, s0, s15
	s_mov_b32 s1, s4
	s_lshl_b64 s[0:1], s[0:1], 3
	s_add_u32 s8, s18, s0
	s_mul_hi_u32 s0, s6, s12
	s_addc_u32 s9, s19, s1
	s_add_i32 s0, s0, s6
	s_lshr_b32 s5, s0, s13
	s_mul_i32 s0, s5, s14
	s_cmp_eq_u32 s0, s6
	s_cselect_b64 s[0:1], -1, 0
	s_cmp_lt_u32 s5, s11
	s_cselect_b64 s[26:27], -1, 0
	s_or_b64 s[26:27], s[26:27], s[0:1]
	s_mov_b64 s[0:1], -1
	s_and_b64 vcc, exec, s[26:27]
	s_mov_b32 s5, s24
	s_mov_b32 s7, s10
	s_cbranch_vccnz .LBB67_16
; %bb.15:
	s_add_i32 s5, s24, -1
	s_mov_b64 s[0:1], 0
	s_mov_b32 s7, s6
.LBB67_16:
	s_mul_i32 s6, s24, 0x1c0
	v_add_u32_e32 v8, s6, v0
	v_ashrrev_i32_e32 v9, 31, v8
	v_lshlrev_b64 v[8:9], 2, v[8:9]
	v_mov_b32_e32 v10, s21
	v_add_co_u32_e32 v8, vcc, s20, v8
	v_addc_co_u32_e32 v9, vcc, v10, v9, vcc
	global_load_dword v10, v[8:9], off
	s_load_dwordx2 s[8:9], s[8:9], 0x0
	v_max_f32_e32 v8, v7, v7
	s_waitcnt lgkmcnt(0)
	v_max_f32_e64 v9, s8, s8
	v_max_f32_e32 v8, v8, v9
	v_sub_f32_e32 v9, v7, v8
	v_sub_f32_e32 v11, s8, v8
	v_mul_f32_e32 v12, 0x3fb8aa3b, v9
	v_mul_f32_e32 v13, 0x3fb8aa3b, v11
	v_fma_f32 v14, v9, s2, -v12
	v_rndne_f32_e32 v15, v12
	v_fma_f32 v16, v11, s2, -v13
	v_rndne_f32_e32 v17, v13
	v_fmac_f32_e32 v14, 0x32a5705f, v9
	v_sub_f32_e32 v12, v12, v15
	v_fmac_f32_e32 v16, 0x32a5705f, v11
	v_sub_f32_e32 v13, v13, v17
	v_add_f32_e32 v12, v12, v14
	v_cvt_i32_f32_e32 v15, v15
	v_add_f32_e32 v13, v13, v16
	v_exp_f32_e32 v12, v12
	v_cvt_i32_f32_e32 v17, v17
	v_exp_f32_e32 v13, v13
	v_cmp_ngt_f32_e32 vcc, s16, v9
	v_ldexp_f32 v12, v12, v15
	v_cndmask_b32_e32 v12, 0, v12, vcc
	v_ldexp_f32 v13, v13, v17
	v_cmp_ngt_f32_e32 vcc, s16, v11
	v_cndmask_b32_e32 v13, 0, v13, vcc
	v_cmp_nlt_f32_e32 vcc, s17, v9
	v_cndmask_b32_e32 v12, v5, v12, vcc
	v_cmp_nlt_f32_e32 vcc, s17, v11
	v_cndmask_b32_e32 v13, v5, v13, vcc
	v_cmp_le_f32_e32 vcc, s23, v9
	v_cndmask_b32_e32 v12, 0, v12, vcc
	v_cmp_le_f32_e32 vcc, s23, v11
	v_cndmask_b32_e32 v11, 0, v13, vcc
	v_mul_f32_e32 v9, s9, v11
	v_fmac_f32_e32 v9, v6, v12
	s_waitcnt vmcnt(0)
	v_mul_f32_e32 v10, v10, v11
	v_fmac_f32_e32 v10, v3, v12
	s_cbranch_execnz .LBB67_13
.LBB67_17:
	s_add_i32 s5, s24, -1
	s_mov_b32 s7, s10
	v_mov_b32_e32 v9, v6
	v_mov_b32_e32 v8, v7
	s_waitcnt vmcnt(0)
	v_mov_b32_e32 v10, v3
	s_cbranch_execz .LBB67_22
.LBB67_18:
	s_mov_b32 s10, s7
	s_mov_b32 s24, s5
	v_mov_b32_e32 v6, v9
	v_mov_b32_e32 v7, v8
	s_waitcnt vmcnt(0)
	v_mov_b32_e32 v3, v10
	s_mul_hi_i32 s5, s24, s3
	s_cmp_lg_u64 s[4:5], 0
	s_mul_i32 s8, s24, s3
	s_cbranch_scc1 .LBB67_9
.LBB67_19:
                                        ; implicit-def: $sgpr6_sgpr7
	s_branch .LBB67_10
.LBB67_20:
                                        ; implicit-def: $sgpr10_sgpr11
	s_load_dwordx4 s[12:15], s[4:5], 0x44
	s_branch .LBB67_2
.LBB67_21:
                                        ; implicit-def: $sgpr18_sgpr19
	s_branch .LBB67_5
.LBB67_22:
	v_div_scale_f32 v0, s[0:1], v9, v9, v10
	s_waitcnt vmcnt(0)
	v_div_scale_f32 v3, vcc, v10, v9, v10
	v_rcp_f32_e32 v4, v0
	v_fma_f32 v5, -v0, v4, 1.0
	v_fmac_f32_e32 v4, v5, v4
	v_mul_f32_e32 v5, v3, v4
	v_fma_f32 v6, -v0, v5, v3
	v_fmac_f32_e32 v5, v6, v4
	v_fma_f32 v0, -v0, v5, v3
	v_div_fmas_f32 v0, v0, v4, v5
	v_div_fixup_f32 v0, v0, v9, v10
	global_store_dword v[1:2], v0, off
.LBB67_23:
	s_endpgm
	.section	.rodata,"a",@progbits
	.p2align	6, 0x0
	.amdhsa_kernel _ZL33flash_attn_stream_k_fixup_generalILi112ELi4ELi1EEvPfPK15HIP_vector_typeIfLj2EEiiiiS1_IjLj3EES5_S5_S5_
		.amdhsa_group_segment_fixed_size 0
		.amdhsa_private_segment_fixed_size 0
		.amdhsa_kernarg_size 336
		.amdhsa_user_sgpr_count 6
		.amdhsa_user_sgpr_private_segment_buffer 1
		.amdhsa_user_sgpr_dispatch_ptr 0
		.amdhsa_user_sgpr_queue_ptr 0
		.amdhsa_user_sgpr_kernarg_segment_ptr 1
		.amdhsa_user_sgpr_dispatch_id 0
		.amdhsa_user_sgpr_flat_scratch_init 0
		.amdhsa_user_sgpr_private_segment_size 0
		.amdhsa_uses_dynamic_stack 0
		.amdhsa_system_sgpr_private_segment_wavefront_offset 0
		.amdhsa_system_sgpr_workgroup_id_x 1
		.amdhsa_system_sgpr_workgroup_id_y 1
		.amdhsa_system_sgpr_workgroup_id_z 1
		.amdhsa_system_sgpr_workgroup_info 0
		.amdhsa_system_vgpr_workitem_id 0
		.amdhsa_next_free_vgpr 18
		.amdhsa_next_free_sgpr 36
		.amdhsa_reserve_vcc 1
		.amdhsa_reserve_flat_scratch 0
		.amdhsa_float_round_mode_32 0
		.amdhsa_float_round_mode_16_64 0
		.amdhsa_float_denorm_mode_32 3
		.amdhsa_float_denorm_mode_16_64 3
		.amdhsa_dx10_clamp 1
		.amdhsa_ieee_mode 1
		.amdhsa_fp16_overflow 0
		.amdhsa_exception_fp_ieee_invalid_op 0
		.amdhsa_exception_fp_denorm_src 0
		.amdhsa_exception_fp_ieee_div_zero 0
		.amdhsa_exception_fp_ieee_overflow 0
		.amdhsa_exception_fp_ieee_underflow 0
		.amdhsa_exception_fp_ieee_inexact 0
		.amdhsa_exception_int_div_zero 0
	.end_amdhsa_kernel
	.section	.text._ZL33flash_attn_stream_k_fixup_generalILi112ELi4ELi1EEvPfPK15HIP_vector_typeIfLj2EEiiiiS1_IjLj3EES5_S5_S5_,"axG",@progbits,_ZL33flash_attn_stream_k_fixup_generalILi112ELi4ELi1EEvPfPK15HIP_vector_typeIfLj2EEiiiiS1_IjLj3EES5_S5_S5_,comdat
.Lfunc_end67:
	.size	_ZL33flash_attn_stream_k_fixup_generalILi112ELi4ELi1EEvPfPK15HIP_vector_typeIfLj2EEiiiiS1_IjLj3EES5_S5_S5_, .Lfunc_end67-_ZL33flash_attn_stream_k_fixup_generalILi112ELi4ELi1EEvPfPK15HIP_vector_typeIfLj2EEiiiiS1_IjLj3EES5_S5_S5_
                                        ; -- End function
	.set _ZL33flash_attn_stream_k_fixup_generalILi112ELi4ELi1EEvPfPK15HIP_vector_typeIfLj2EEiiiiS1_IjLj3EES5_S5_S5_.num_vgpr, 18
	.set _ZL33flash_attn_stream_k_fixup_generalILi112ELi4ELi1EEvPfPK15HIP_vector_typeIfLj2EEiiiiS1_IjLj3EES5_S5_S5_.num_agpr, 0
	.set _ZL33flash_attn_stream_k_fixup_generalILi112ELi4ELi1EEvPfPK15HIP_vector_typeIfLj2EEiiiiS1_IjLj3EES5_S5_S5_.numbered_sgpr, 36
	.set _ZL33flash_attn_stream_k_fixup_generalILi112ELi4ELi1EEvPfPK15HIP_vector_typeIfLj2EEiiiiS1_IjLj3EES5_S5_S5_.num_named_barrier, 0
	.set _ZL33flash_attn_stream_k_fixup_generalILi112ELi4ELi1EEvPfPK15HIP_vector_typeIfLj2EEiiiiS1_IjLj3EES5_S5_S5_.private_seg_size, 0
	.set _ZL33flash_attn_stream_k_fixup_generalILi112ELi4ELi1EEvPfPK15HIP_vector_typeIfLj2EEiiiiS1_IjLj3EES5_S5_S5_.uses_vcc, 1
	.set _ZL33flash_attn_stream_k_fixup_generalILi112ELi4ELi1EEvPfPK15HIP_vector_typeIfLj2EEiiiiS1_IjLj3EES5_S5_S5_.uses_flat_scratch, 0
	.set _ZL33flash_attn_stream_k_fixup_generalILi112ELi4ELi1EEvPfPK15HIP_vector_typeIfLj2EEiiiiS1_IjLj3EES5_S5_S5_.has_dyn_sized_stack, 0
	.set _ZL33flash_attn_stream_k_fixup_generalILi112ELi4ELi1EEvPfPK15HIP_vector_typeIfLj2EEiiiiS1_IjLj3EES5_S5_S5_.has_recursion, 0
	.set _ZL33flash_attn_stream_k_fixup_generalILi112ELi4ELi1EEvPfPK15HIP_vector_typeIfLj2EEiiiiS1_IjLj3EES5_S5_S5_.has_indirect_call, 0
	.section	.AMDGPU.csdata,"",@progbits
; Kernel info:
; codeLenInByte = 2936
; TotalNumSgprs: 40
; NumVgprs: 18
; ScratchSize: 0
; MemoryBound: 0
; FloatMode: 240
; IeeeMode: 1
; LDSByteSize: 0 bytes/workgroup (compile time only)
; SGPRBlocks: 4
; VGPRBlocks: 4
; NumSGPRsForWavesPerEU: 40
; NumVGPRsForWavesPerEU: 18
; Occupancy: 10
; WaveLimiterHint : 0
; COMPUTE_PGM_RSRC2:SCRATCH_EN: 0
; COMPUTE_PGM_RSRC2:USER_SGPR: 6
; COMPUTE_PGM_RSRC2:TRAP_HANDLER: 0
; COMPUTE_PGM_RSRC2:TGID_X_EN: 1
; COMPUTE_PGM_RSRC2:TGID_Y_EN: 1
; COMPUTE_PGM_RSRC2:TGID_Z_EN: 1
; COMPUTE_PGM_RSRC2:TIDIG_COMP_CNT: 0
	.section	.text._ZL15flash_attn_tileILi112ELi112ELi2ELi1ELb0EEvPKcS1_S1_S1_S1_PKiPfP15HIP_vector_typeIfLj2EEffffjfiS5_IjLj3EEiiiiiiiiiiiliiliiiiil,"axG",@progbits,_ZL15flash_attn_tileILi112ELi112ELi2ELi1ELb0EEvPKcS1_S1_S1_S1_PKiPfP15HIP_vector_typeIfLj2EEffffjfiS5_IjLj3EEiiiiiiiiiiiliiliiiiil,comdat
	.globl	_ZL15flash_attn_tileILi112ELi112ELi2ELi1ELb0EEvPKcS1_S1_S1_S1_PKiPfP15HIP_vector_typeIfLj2EEffffjfiS5_IjLj3EEiiiiiiiiiiiliiliiiiil ; -- Begin function _ZL15flash_attn_tileILi112ELi112ELi2ELi1ELb0EEvPKcS1_S1_S1_S1_PKiPfP15HIP_vector_typeIfLj2EEffffjfiS5_IjLj3EEiiiiiiiiiiiliiliiiiil
	.p2align	8
	.type	_ZL15flash_attn_tileILi112ELi112ELi2ELi1ELb0EEvPKcS1_S1_S1_S1_PKiPfP15HIP_vector_typeIfLj2EEffffjfiS5_IjLj3EEiiiiiiiiiiiliiliiiiil,@function
_ZL15flash_attn_tileILi112ELi112ELi2ELi1ELb0EEvPKcS1_S1_S1_S1_PKiPfP15HIP_vector_typeIfLj2EEffffjfiS5_IjLj3EEiiiiiiiiiiiliiliiiiil: ; @_ZL15flash_attn_tileILi112ELi112ELi2ELi1ELb0EEvPKcS1_S1_S1_S1_PKiPfP15HIP_vector_typeIfLj2EEffffjfiS5_IjLj3EEiiiiiiiiiiiliiliiiiil
; %bb.0:
	s_load_dwordx4 s[28:31], s[4:5], 0x5c
	s_load_dwordx2 s[42:43], s[4:5], 0x80
	s_add_u32 flat_scratch_lo, s6, s11
	s_addc_u32 flat_scratch_hi, s7, 0
	s_add_u32 s0, s0, s11
	s_waitcnt lgkmcnt(0)
	v_cvt_f32_u32_e32 v2, s31
	s_addc_u32 s1, s1, 0
	s_sub_i32 s6, 0, s31
	s_load_dwordx2 s[44:45], s[4:5], 0xb8
	v_rcp_iflag_f32_e32 v2, v2
	s_mov_b64 s[40:41], 0
	v_mul_f32_e32 v2, 0x4f7ffffe, v2
	v_cvt_u32_f32_e32 v2, v2
	v_readfirstlane_b32 s7, v2
	s_mul_i32 s6, s6, s7
	s_mul_hi_u32 s6, s7, s6
	s_add_i32 s7, s7, s6
	s_mul_hi_u32 s6, s10, s7
	s_mul_i32 s7, s6, s31
	s_sub_i32 s7, s10, s7
	s_add_i32 s11, s6, 1
	s_sub_i32 s12, s7, s31
	s_cmp_ge_u32 s7, s31
	s_cselect_b32 s6, s11, s6
	s_cselect_b32 s7, s12, s7
	s_add_i32 s11, s6, 1
	s_cmp_ge_u32 s7, s31
	s_cselect_b32 s33, s11, s6
	s_abs_i32 s6, s43
	v_cvt_f32_u32_e32 v2, s6
	s_mul_i32 s12, s33, s31
	s_sub_i32 s13, 0, s6
	s_sub_i32 s34, s10, s12
	v_rcp_iflag_f32_e32 v2, v2
	s_abs_i32 s11, s31
	s_xor_b32 s7, s31, s43
	s_ashr_i32 s7, s7, 31
	v_mul_f32_e32 v2, 0x4f7ffffe, v2
	v_cvt_u32_f32_e32 v2, v2
	v_readfirstlane_b32 s10, v2
	s_mul_i32 s13, s13, s10
	s_mul_hi_u32 s12, s10, s13
	s_add_i32 s10, s10, s12
	s_mul_hi_u32 s10, s11, s10
	s_mul_i32 s12, s10, s6
	s_sub_i32 s11, s11, s12
	s_add_i32 s13, s10, 1
	s_sub_i32 s12, s11, s6
	s_cmp_ge_u32 s11, s6
	s_cselect_b32 s10, s13, s10
	s_cselect_b32 s11, s12, s11
	s_add_i32 s12, s10, 1
	s_cmp_ge_u32 s11, s6
	s_cselect_b32 s6, s12, s10
	s_xor_b32 s6, s6, s7
	s_sub_i32 s46, s6, s7
	s_abs_i32 s43, s46
	v_cvt_f32_u32_e32 v2, s43
	s_load_dwordx16 s[12:27], s[4:5], 0x0
	s_sub_i32 s7, 0, s43
	v_rcp_iflag_f32_e32 v2, v2
	s_waitcnt lgkmcnt(0)
	s_cmp_eq_u64 s[18:19], 0
	v_mul_f32_e32 v2, 0x4f7ffffe, v2
	v_cvt_u32_f32_e32 v2, v2
	v_readfirstlane_b32 s6, v2
	s_mul_i32 s7, s7, s6
	s_mul_hi_u32 s7, s6, s7
	s_cbranch_scc1 .LBB68_2
; %bb.1:
	s_abs_i32 s35, s44
	v_cvt_f32_u32_e32 v2, s35
	s_sub_i32 s38, 0, s35
	s_abs_i32 s37, s33
	s_ashr_i32 s36, s33, 31
	v_rcp_iflag_f32_e32 v2, v2
	s_load_dwordx2 s[10:11], s[4:5], 0xc8
	v_mul_f32_e32 v2, 0x4f7ffffe, v2
	v_cvt_u32_f32_e32 v2, v2
	v_readfirstlane_b32 s39, v2
	s_mul_i32 s38, s38, s39
	s_mul_hi_u32 s38, s39, s38
	s_add_i32 s39, s39, s38
	s_mul_hi_u32 s38, s37, s39
	s_mul_i32 s38, s38, s35
	s_sub_i32 s37, s37, s38
	s_sub_i32 s38, s37, s35
	s_cmp_ge_u32 s37, s35
	s_cselect_b32 s37, s38, s37
	s_sub_i32 s38, s37, s35
	s_cmp_ge_u32 s37, s35
	s_cselect_b32 s35, s38, s37
	s_xor_b32 s35, s35, s36
	s_sub_i32 s35, s35, s36
	s_ashr_i32 s36, s35, 31
	s_waitcnt lgkmcnt(0)
	s_mul_hi_u32 s37, s10, s35
	s_mul_i32 s36, s10, s36
	s_mul_i32 s11, s11, s35
	s_add_i32 s36, s37, s36
	s_add_i32 s36, s36, s11
	s_mul_i32 s10, s10, s35
	s_add_u32 s40, s18, s10
	s_addc_u32 s41, s19, s36
.LBB68_2:
	s_load_dwordx4 s[36:39], s[4:5], 0x40
	s_add_i32 s19, s6, s7
	s_load_dword s6, s[4:5], 0x50
	s_abs_i32 s18, s34
	v_mov_b32_e32 v65, 1.0
	s_waitcnt lgkmcnt(0)
	v_cmp_le_f32_e64 s[10:11], s37, 0
	s_and_b64 vcc, exec, s[10:11]
	s_cbranch_vccnz .LBB68_4
; %bb.3:
	v_mov_b32_e32 v2, s6
	v_sub_co_u32_e32 v2, vcc, s34, v2
	v_mov_b32_e32 v3, s39
	v_mov_b32_e32 v4, s38
	s_add_i32 s6, s34, 1
	v_lshlrev_b32_e32 v2, 1, v2
	v_cndmask_b32_e32 v3, v3, v4, vcc
	v_or_b32_e32 v2, 1, v2
	v_mov_b32_e32 v4, s6
	v_cndmask_b32_e32 v2, v2, v4, vcc
	v_cvt_f32_i32_e32 v2, v2
	v_cmp_neq_f32_e32 vcc, 1.0, v3
	s_mov_b32 s6, 0x3f2aaaab
	s_movk_i32 s10, 0x204
	v_cndmask_b32_e32 v4, 1.0, v2, vcc
	v_cmp_neq_f32_e32 vcc, 0, v4
	v_cndmask_b32_e32 v5, 1.0, v3, vcc
	v_frexp_mant_f32_e64 v2, |v5|
	v_cmp_gt_f32_e32 vcc, s6, v2
	v_cndmask_b32_e64 v3, 1.0, 2.0, vcc
	v_mul_f32_e32 v2, v2, v3
	v_add_f32_e32 v3, 1.0, v2
	v_rcp_f32_e32 v6, v3
	v_add_f32_e32 v7, -1.0, v2
	v_add_f32_e32 v8, -1.0, v3
	v_sub_f32_e32 v2, v2, v8
	v_mul_f32_e32 v8, v7, v6
	v_mul_f32_e32 v9, v3, v8
	v_fma_f32 v3, v8, v3, -v9
	v_fmac_f32_e32 v3, v8, v2
	v_add_f32_e32 v2, v9, v3
	v_sub_f32_e32 v10, v7, v2
	v_sub_f32_e32 v9, v2, v9
	;; [unrolled: 1-line block ×5, first 2 shown]
	v_add_f32_e32 v2, v3, v2
	v_add_f32_e32 v2, v10, v2
	v_mul_f32_e32 v2, v6, v2
	v_add_f32_e32 v6, v8, v2
	v_sub_f32_e32 v3, v6, v8
	v_sub_f32_e32 v7, v2, v3
	v_mul_f32_e32 v2, v6, v6
	v_fma_f32 v3, v6, v6, -v2
	v_add_f32_e32 v8, v7, v7
	v_fmac_f32_e32 v3, v6, v8
	v_add_f32_e32 v8, v2, v3
	v_mov_b32_e32 v9, 0x3e91f4c4
	v_sub_f32_e32 v2, v8, v2
	v_fmac_f32_e32 v9, 0x3e76c4e1, v8
	v_mov_b32_e32 v10, 0x3ecccdef
	v_sub_f32_e32 v2, v3, v2
	v_mul_f32_e32 v3, v6, v8
	v_fmac_f32_e32 v10, v8, v9
	v_fma_f32 v9, v8, v6, -v3
	v_fmac_f32_e32 v9, v8, v7
	v_fmac_f32_e32 v9, v2, v6
	v_add_f32_e32 v11, v3, v9
	v_sub_f32_e32 v3, v11, v3
	v_sub_f32_e32 v9, v9, v3
	v_mul_f32_e32 v3, v8, v10
	v_fma_f32 v8, v8, v10, -v3
	v_fmac_f32_e32 v8, v2, v10
	v_add_f32_e32 v10, v3, v8
	v_sub_f32_e32 v2, v10, v3
	v_sub_f32_e32 v8, v8, v2
	v_cvt_f64_f32_e64 v[2:3], |v5|
	v_add_f32_e32 v12, 0x3f2aaaaa, v10
	v_add_f32_e32 v13, 0xbf2aaaaa, v12
	v_add_f32_e32 v8, 0x31739010, v8
	v_frexp_exp_i32_f64_e32 v2, v[2:3]
	v_sub_f32_e32 v10, v10, v13
	v_add_f32_e32 v3, v8, v10
	v_add_f32_e32 v8, v12, v3
	v_sub_f32_e32 v10, v12, v8
	v_add_f32_e32 v3, v3, v10
	v_mul_f32_e32 v10, v11, v8
	v_fma_f32 v12, v11, v8, -v10
	v_subbrev_co_u32_e32 v2, vcc, 0, v2, vcc
	v_cvt_f32_i32_e32 v2, v2
	v_fmac_f32_e32 v12, v11, v3
	s_mov_b32 s6, 0x3f317218
	v_fmac_f32_e32 v12, v9, v8
	v_mul_f32_e32 v3, 0x3f317218, v2
	v_fma_f32 v8, v2, s6, -v3
	v_fmac_f32_e32 v8, 0xb102e308, v2
	v_ldexp_f32 v2, v7, 1
	v_add_f32_e32 v7, v3, v8
	v_sub_f32_e32 v3, v7, v3
	v_ldexp_f32 v6, v6, 1
	v_sub_f32_e32 v3, v8, v3
	v_add_f32_e32 v8, v10, v12
	v_sub_f32_e32 v9, v8, v10
	v_add_f32_e32 v10, v6, v8
	v_sub_f32_e32 v9, v12, v9
	v_sub_f32_e32 v6, v10, v6
	v_sub_f32_e32 v6, v8, v6
	v_add_f32_e32 v2, v2, v9
	v_add_f32_e32 v2, v2, v6
	;; [unrolled: 1-line block ×3, first 2 shown]
	v_sub_f32_e32 v8, v6, v10
	v_sub_f32_e32 v2, v2, v8
	v_add_f32_e32 v8, v7, v6
	v_sub_f32_e32 v9, v8, v7
	v_sub_f32_e32 v10, v8, v9
	;; [unrolled: 1-line block ×4, first 2 shown]
	v_add_f32_e32 v6, v6, v7
	v_add_f32_e32 v7, v3, v2
	v_sub_f32_e32 v9, v7, v3
	v_sub_f32_e32 v10, v7, v9
	;; [unrolled: 1-line block ×4, first 2 shown]
	v_add_f32_e32 v2, v2, v3
	v_add_f32_e32 v3, v7, v6
	;; [unrolled: 1-line block ×3, first 2 shown]
	v_sub_f32_e32 v7, v6, v8
	v_sub_f32_e32 v3, v3, v7
	v_add_f32_e32 v2, v2, v3
	v_add_f32_e32 v3, v6, v2
	v_sub_f32_e32 v6, v3, v6
	v_sub_f32_e32 v2, v2, v6
	v_mul_f32_e32 v6, v4, v3
	v_fma_f32 v3, v4, v3, -v6
	v_fmac_f32_e32 v3, v4, v2
	v_add_f32_e32 v2, v6, v3
	v_cmp_class_f32_e64 vcc, v6, s10
	v_sub_f32_e32 v7, v2, v6
	v_cndmask_b32_e32 v2, v2, v6, vcc
	s_mov_b32 s7, 0x42b17218
	v_mov_b32_e32 v6, 0x37000000
	v_cmp_eq_f32_e32 vcc, s7, v2
	v_cndmask_b32_e32 v6, 0, v6, vcc
	v_sub_f32_e32 v3, v3, v7
	v_sub_f32_e32 v7, v2, v6
	s_mov_b32 s11, 0x3fb8aa3b
	v_mul_f32_e32 v8, 0x3fb8aa3b, v7
	v_fma_f32 v9, v7, s11, -v8
	v_rndne_f32_e32 v10, v8
	v_fmac_f32_e32 v9, 0x32a5705f, v7
	v_sub_f32_e32 v8, v8, v10
	v_add_f32_e32 v8, v8, v9
	v_exp_f32_e32 v8, v8
	v_cvt_i32_f32_e32 v9, v10
	s_mov_b32 s6, 0x7f800000
	v_cmp_neq_f32_e64 vcc, |v2|, s6
	s_mov_b32 s6, 0xc2ce8ed0
	v_cndmask_b32_e32 v2, 0, v3, vcc
	v_ldexp_f32 v3, v8, v9
	v_cmp_ngt_f32_e32 vcc, s6, v7
	v_add_f32_e32 v2, v6, v2
	v_cndmask_b32_e32 v3, 0, v3, vcc
	v_mov_b32_e32 v6, 0x7f800000
	v_cmp_nlt_f32_e32 vcc, s7, v7
	v_cndmask_b32_e32 v3, v6, v3, vcc
	v_fma_f32 v2, v3, v2, v3
	v_cmp_class_f32_e64 vcc, v3, s10
	v_cndmask_b32_e32 v2, v2, v3, vcc
	v_trunc_f32_e32 v3, v4
	v_cmp_eq_f32_e32 vcc, v3, v4
	v_mul_f32_e32 v3, 0.5, v4
	v_trunc_f32_e32 v8, v3
	v_cmp_neq_f32_e64 s[6:7], v8, v3
	s_and_b64 s[6:7], vcc, s[6:7]
	v_cndmask_b32_e64 v3, 1.0, v5, s[6:7]
	s_brev_b32 s35, -2
	v_mov_b32_e32 v7, 0x7fc00000
	v_bfi_b32 v2, s35, v2, v3
	v_cndmask_b32_e32 v3, v7, v2, vcc
	v_cmp_gt_f32_e32 vcc, 0, v5
	v_cndmask_b32_e32 v2, v2, v3, vcc
	v_cmp_class_f32_e64 s[38:39], v5, s10
	v_cmp_eq_f32_e32 vcc, 0, v5
	v_cmp_gt_f32_e64 s[10:11], 0, v4
	s_xor_b64 s[10:11], s[10:11], vcc
	v_cndmask_b32_e64 v3, v6, 0, s[10:11]
	v_cndmask_b32_e64 v4, 0, v5, s[6:7]
	v_bfi_b32 v3, s35, v3, v4
	s_or_b64 vcc, vcc, s[38:39]
	v_cndmask_b32_e32 v2, v2, v3, vcc
	v_cmp_o_f32_e32 vcc, v5, v5
	v_cndmask_b32_e32 v65, v7, v2, vcc
.LBB68_4:
	s_lshl_b32 s10, s8, 1
	s_movk_i32 s11, 0xe0
	v_mov_b32_e32 v2, 0x1040
	s_mul_hi_u32 s19, s18, s19
	v_cmp_gt_u32_e64 s[6:7], 28, v0
	v_mad_u32_u24 v66, v1, s11, v2
	v_lshlrev_b32_e32 v60, 3, v0
	v_add_u32_e32 v59, s10, v1
	s_and_saveexec_b64 s[10:11], s[6:7]
	s_cbranch_execz .LBB68_6
; %bb.5:
	s_load_dwordx4 s[48:51], s[4:5], 0x70
	v_mul_hi_u32 v2, s28, v59
	v_add_u32_e32 v6, v66, v60
	v_add_u32_e32 v2, v59, v2
	s_waitcnt lgkmcnt(0)
	s_mul_i32 s35, s33, s50
	s_ashr_i32 s38, s35, 31
	v_lshrrev_b32_e32 v2, s29, v2
	s_mul_i32 s37, s34, s49
	s_add_u32 s12, s12, s35
	v_mul_lo_u32 v2, v2, s30
	s_addc_u32 s13, s13, s38
	s_ashr_i32 s35, s37, 31
	s_add_u32 s37, s12, s37
	s_addc_u32 s35, s13, s35
	s_ashr_i32 s49, s48, 31
	s_lshr_b64 s[12:13], s[48:49], 2
	v_sub_u32_e32 v4, v59, v2
	v_mad_u64_u32 v[2:3], s[12:13], s12, v4, 0
	s_lshr_b32 s12, s49, 2
	v_mad_u64_u32 v[3:4], s[12:13], s12, v4, v[3:4]
	v_mov_b32_e32 v4, s35
	v_lshlrev_b64 v[2:3], 2, v[2:3]
	v_add_co_u32_e32 v2, vcc, s37, v2
	v_addc_co_u32_e32 v3, vcc, v4, v3, vcc
	v_lshlrev_b32_e32 v4, 4, v0
	v_add_co_u32_e32 v2, vcc, v2, v4
	v_addc_co_u32_e32 v3, vcc, 0, v3, vcc
	global_load_dwordx4 v[2:5], v[2:3], off
	s_waitcnt vmcnt(0)
	v_fma_mixlo_f16 v2, s36, v2, 0
	v_fma_mixlo_f16 v3, s36, v3, 0
	;; [unrolled: 1-line block ×4, first 2 shown]
	v_lshlrev_b32_e32 v3, 16, v3
	v_and_b32_e32 v2, 0xffff, v2
	v_lshlrev_b32_e32 v5, 16, v5
	v_and_b32_e32 v4, 0xffff, v4
	v_or_b32_e32 v2, v3, v2
	v_or3_b32 v3, v5, v4, 0
	v_or3_b32 v2, 0, 0, v2
	ds_write_b64 v6, v[2:3]
.LBB68_6:
	s_or_b64 exec, exec, s[10:11]
	s_ashr_i32 s35, s34, 31
	s_ashr_i32 s10, s46, 31
	s_cmp_eq_u64 s[22:23], 0
	s_waitcnt lgkmcnt(0)
	; wave barrier
	s_cbranch_scc1 .LBB68_8
; %bb.7:
	s_load_dword s11, s[4:5], 0xd0
	s_mov_b32 s13, 0
	s_waitcnt lgkmcnt(0)
	s_mul_i32 s11, s11, s33
	s_add_i32 s12, s11, s8
	s_lshl_b64 s[12:13], s[12:13], 2
	s_add_u32 s12, s22, s12
	s_addc_u32 s13, s23, s13
	s_load_dword s42, s[12:13], 0x0
.LBB68_8:
	s_nop 0
	s_load_dwordx2 s[12:13], s[4:5], 0x8c
	s_load_dwordx4 s[48:51], s[4:5], 0x98
	s_load_dwordx2 s[22:23], s[4:5], 0xa8
	s_ashr_i32 s11, s33, 31
	s_ashr_i32 s46, s45, 1
	s_waitcnt lgkmcnt(0)
	s_ashr_i32 s38, s12, 2
	s_mul_hi_u32 s12, s48, s33
	s_mul_i32 s36, s48, s11
	s_add_i32 s12, s12, s36
	s_mul_i32 s36, s49, s33
	s_ashr_i32 s8, s50, 2
	s_add_i32 s12, s12, s36
	s_mul_i32 s36, s48, s33
	s_add_u32 s14, s14, s36
	s_addc_u32 s12, s15, s12
	s_mul_i32 s15, s19, s43
	s_sub_i32 s15, s18, s15
	s_xor_b32 s10, s35, s10
	s_add_i32 s18, s19, 1
	s_sub_i32 s36, s15, s43
	s_cmp_ge_u32 s15, s43
	s_cselect_b32 s18, s18, s19
	s_cselect_b32 s15, s36, s15
	s_add_i32 s19, s18, 1
	s_cmp_ge_u32 s15, s43
	s_cselect_b32 s15, s19, s18
	s_xor_b32 s15, s15, s10
	s_sub_i32 s10, s15, s10
	s_mul_i32 s13, s10, s13
	s_ashr_i32 s15, s13, 31
	s_add_u32 s47, s14, s13
	s_addc_u32 s39, s12, s15
	s_mul_hi_u32 s12, s22, s33
	s_mul_i32 s11, s22, s11
	s_add_i32 s11, s12, s11
	s_mul_i32 s12, s23, s33
	s_add_i32 s11, s11, s12
	s_mul_i32 s12, s22, s33
	s_add_u32 s12, s16, s12
	s_mul_i32 s10, s10, s51
	s_addc_u32 s11, s17, s11
	s_ashr_i32 s13, s10, 31
	s_add_u32 s43, s12, s10
	s_addc_u32 s44, s11, s13
	s_lshl_b32 s45, s9, 5
	s_sub_i32 s48, s42, 32
	s_cmp_ge_i32 s45, s48
	v_lshl_add_u32 v73, v1, 5, v0
	v_lshlrev_b32_e32 v69, 7, v0
	v_lshrrev_b32_e32 v72, 1, v0
	v_lshlrev_b32_e32 v63, 2, v0
	v_lshrrev_b32_e32 v71, 2, v0
	v_lshrrev_b32_e32 v64, 3, v0
	v_mbcnt_lo_u32_b32 v67, -1, 0
	s_cbranch_scc1 .LBB68_23
; %bb.9:
	v_mul_hi_u32 v11, s28, v59
	v_lshl_add_u32 v12, v1, 3, v71
	v_lshl_add_u32 v22, v1, 2, v64
	;; [unrolled: 1-line block ×3, first 2 shown]
	v_add_u32_e32 v11, v59, v11
	v_lshrrev_b32_e32 v11, s29, v11
	v_mul_lo_u32 v11, v11, s30
	v_mul_lo_u32 v4, s38, v12
	;; [unrolled: 1-line block ×4, first 2 shown]
	v_sub_u32_e32 v11, v59, v11
	v_mad_u64_u32 v[42:43], s[10:11], v11, s46, v[0:1]
	v_mov_b32_e32 v11, 0x1200
	v_mul_lo_u32 v6, s38, v73
	v_lshl_add_u32 v78, v1, 6, v11
	v_mul_lo_u32 v11, s8, v12
	v_mul_lo_u32 v17, s8, v8
	v_and_b32_e32 v19, 4, v63
	v_and_b32_e32 v20, 12, v63
	v_lshlrev_b32_e32 v3, 7, v8
	v_lshlrev_b32_e32 v18, 2, v19
	;; [unrolled: 1-line block ×3, first 2 shown]
	v_cmp_gt_u32_e64 s[10:11], 16, v8
	v_mul_u32_u24_e32 v23, 0xe0, v12
	v_mul_u32_u24_e32 v8, 0xe0, v8
	s_movk_i32 s13, 0x80
	v_lshl_or_b32 v75, v12, 7, v21
	v_lshl_add_u32 v9, s38, 4, v4
	v_lshl_add_u32 v15, s8, 3, v13
	v_or_b32_e32 v8, v8, v18
	v_add3_u32 v81, v23, v21, s13
	v_and_b32_e32 v21, 28, v63
	v_or3_b32 v74, v3, v18, 64
	v_ashrrev_i32_e32 v3, 31, v2
	v_ashrrev_i32_e32 v5, 31, v4
	;; [unrolled: 1-line block ×4, first 2 shown]
	s_cmp_lg_u64 s[40:41], 0
	s_movk_i32 s12, 0xe0
	v_ashrrev_i32_e32 v12, 31, v11
	v_ashrrev_i32_e32 v14, 31, v13
	;; [unrolled: 1-line block ×3, first 2 shown]
	v_add_u32_e32 v80, 0xc0, v8
	v_ashrrev_i32_e32 v18, 31, v17
	v_lshlrev_b32_e32 v8, 2, v21
	s_cselect_b64 s[18:19], -1, 0
	v_mad_u32_u24 v82, v22, s12, v8
	s_add_u32 s22, s4, 0xd0
	v_lshlrev_b64 v[43:44], 2, v[6:7]
	v_lshlrev_b64 v[45:46], 2, v[2:3]
	;; [unrolled: 1-line block ×8, first 2 shown]
	v_cmp_gt_u32_e64 s[14:15], 32, v73
	v_mov_b32_e32 v61, 0
	v_add_u32_e32 v76, 0x800, v75
	v_or_b32_e32 v77, 0x60, v69
	v_lshl_add_u32 v79, v0, 1, v78
	v_add_u32_e32 v83, 0x700, v82
	s_addc_u32 s23, s5, 0
	v_mov_b32_e32 v8, 0xfeffffff
	v_lshlrev_b32_e32 v84, 2, v19
	v_lshlrev_b32_e32 v85, 2, v20
	s_mov_b32 s49, 0x3fb8aa3b
	s_mov_b32 s50, 0xc2ce8ed0
	;; [unrolled: 1-line block ×4, first 2 shown]
	v_lshlrev_b32_e32 v86, 2, v21
	v_mbcnt_hi_u32_b32 v87, -1, v67
	v_mov_b32_e32 v88, 0x7f800000
	v_mov_b32_e32 v62, 0
	;; [unrolled: 1-line block ×3, first 2 shown]
.LBB68_10:                              ; =>This Inner Loop Header: Depth=1
	s_mul_hi_i32 s13, s45, s38
	s_mul_i32 s12, s45, s38
	s_lshl_b64 s[12:13], s[12:13], 2
	s_add_u32 s16, s47, s12
	s_addc_u32 s17, s39, s13
	s_and_saveexec_b64 s[12:13], s[14:15]
	s_cbranch_execz .LBB68_12
; %bb.11:                               ;   in Loop: Header=BB68_10 Depth=1
	v_mov_b32_e32 v3, s17
	v_add_co_u32_e32 v2, vcc, s16, v43
	v_addc_co_u32_e32 v3, vcc, v3, v44, vcc
	global_load_dwordx4 v[2:5], v[2:3], off offset:96
	s_waitcnt vmcnt(0)
	ds_write_b128 v77, v[2:5]
.LBB68_12:                              ;   in Loop: Header=BB68_10 Depth=1
	s_or_b64 exec, exec, s[12:13]
	v_add_co_u32_e32 v2, vcc, s16, v45
	v_mov_b32_e32 v3, s17
	v_addc_co_u32_e32 v3, vcc, v3, v46, vcc
	v_add_co_u32_e32 v2, vcc, v2, v84
	v_addc_co_u32_e32 v3, vcc, 0, v3, vcc
	global_load_dwordx4 v[4:7], v[2:3], off offset:64
	s_waitcnt vmcnt(0)
	ds_write_b128 v74, v[4:7]
	v_add_co_u32_e32 v4, vcc, s16, v47
	v_mov_b32_e32 v5, s17
	v_addc_co_u32_e32 v5, vcc, v5, v48, vcc
	v_add_co_u32_e32 v4, vcc, v4, v85
	v_addc_co_u32_e32 v5, vcc, 0, v5, vcc
	global_load_dwordx4 v[9:12], v[4:5], off
	v_add_co_u32_e32 v6, vcc, s16, v49
	v_mov_b32_e32 v7, s17
	v_addc_co_u32_e32 v7, vcc, v7, v50, vcc
	v_add_co_u32_e32 v6, vcc, v6, v85
	v_addc_co_u32_e32 v7, vcc, 0, v7, vcc
	s_waitcnt vmcnt(0)
	ds_write_b128 v75, v[9:12]
	global_load_dwordx4 v[9:12], v[6:7], off
	s_waitcnt vmcnt(0)
	ds_write_b128 v76, v[9:12]
	s_waitcnt lgkmcnt(0)
	; wave barrier
	ds_read_b128 v[10:13], v69
	ds_read_b128 v[14:17], v66
	v_mov_b32_e32 v9, 0
	s_waitcnt lgkmcnt(0)
	;;#ASMSTART
	v_dot2_f32_f16 v9, v10, v14, v9
	;;#ASMEND
	;;#ASMSTART
	v_dot2_f32_f16 v9, v11, v15, v9
	;;#ASMEND
	;;#ASMSTART
	v_dot2_f32_f16 v9, v12, v16, v9
	;;#ASMEND
	;;#ASMSTART
	v_dot2_f32_f16 v9, v13, v17, v9
	;;#ASMEND
	ds_read_b128 v[10:13], v69 offset:16
	ds_read_b128 v[14:17], v66 offset:16
	s_waitcnt lgkmcnt(0)
	;;#ASMSTART
	v_dot2_f32_f16 v9, v10, v14, v9
	;;#ASMEND
	;;#ASMSTART
	v_dot2_f32_f16 v9, v11, v15, v9
	;;#ASMEND
	;;#ASMSTART
	v_dot2_f32_f16 v9, v12, v16, v9
	;;#ASMEND
	;;#ASMSTART
	v_dot2_f32_f16 v9, v13, v17, v9
	;;#ASMEND
	ds_read_b128 v[10:13], v69 offset:32
	ds_read_b128 v[14:17], v66 offset:32
	;; [unrolled: 15-line block ×6, first 2 shown]
	s_waitcnt lgkmcnt(0)
	;;#ASMSTART
	v_dot2_f32_f16 v9, v10, v14, v9
	;;#ASMEND
	;;#ASMSTART
	v_dot2_f32_f16 v9, v11, v15, v9
	;;#ASMEND
	;; [unrolled: 3-line block ×4, first 2 shown]
	; wave barrier
	s_and_saveexec_b64 s[12:13], s[14:15]
	s_cbranch_execz .LBB68_14
; %bb.13:                               ;   in Loop: Header=BB68_10 Depth=1
	v_mov_b32_e32 v11, s17
	v_add_co_u32_e32 v10, vcc, s16, v43
	v_addc_co_u32_e32 v11, vcc, v11, v44, vcc
	global_load_dwordx4 v[10:13], v[10:11], off offset:208
	s_waitcnt vmcnt(0)
	ds_write_b128 v77, v[10:13]
.LBB68_14:                              ;   in Loop: Header=BB68_10 Depth=1
	s_or_b64 exec, exec, s[12:13]
	global_load_dwordx4 v[10:13], v[2:3], off offset:176
	global_load_dwordx4 v[14:17], v[4:5], off offset:112
                                        ; kill: killed $vgpr2 killed $vgpr3
                                        ; kill: killed $vgpr4 killed $vgpr5
	s_nop 0
	global_load_dwordx4 v[2:5], v[6:7], off offset:112
	s_andn2_b64 vcc, exec, s[18:19]
	s_waitcnt vmcnt(2)
	ds_write_b128 v74, v[10:13]
	s_waitcnt vmcnt(1)
	ds_write_b128 v75, v[14:17]
	;; [unrolled: 2-line block ×3, first 2 shown]
	s_waitcnt lgkmcnt(0)
	; wave barrier
	ds_read_b128 v[2:5], v69
	ds_read_b128 v[10:13], v66 offset:112
	s_waitcnt lgkmcnt(0)
	;;#ASMSTART
	v_dot2_f32_f16 v9, v2, v10, v9
	;;#ASMEND
	;;#ASMSTART
	v_dot2_f32_f16 v9, v3, v11, v9
	;;#ASMEND
	;;#ASMSTART
	v_dot2_f32_f16 v9, v4, v12, v9
	;;#ASMEND
	;;#ASMSTART
	v_dot2_f32_f16 v9, v5, v13, v9
	;;#ASMEND
	ds_read_b128 v[2:5], v69 offset:16
	ds_read_b128 v[10:13], v66 offset:128
	s_waitcnt lgkmcnt(0)
	;;#ASMSTART
	v_dot2_f32_f16 v9, v2, v10, v9
	;;#ASMEND
	;;#ASMSTART
	v_dot2_f32_f16 v9, v3, v11, v9
	;;#ASMEND
	;;#ASMSTART
	v_dot2_f32_f16 v9, v4, v12, v9
	;;#ASMEND
	;;#ASMSTART
	v_dot2_f32_f16 v9, v5, v13, v9
	;;#ASMEND
	ds_read_b128 v[2:5], v69 offset:32
	;; [unrolled: 15-line block ×6, first 2 shown]
	ds_read_b128 v[10:13], v66 offset:208
	s_waitcnt lgkmcnt(0)
	;;#ASMSTART
	v_dot2_f32_f16 v9, v2, v10, v9
	;;#ASMEND
	;;#ASMSTART
	v_dot2_f32_f16 v9, v3, v11, v9
	;;#ASMEND
	;; [unrolled: 3-line block ×4, first 2 shown]
	s_cbranch_vccnz .LBB68_16
; %bb.15:                               ;   in Loop: Header=BB68_10 Depth=1
	v_add_u32_e32 v2, s45, v42
	v_ashrrev_i32_e32 v3, 31, v2
	v_lshlrev_b64 v[2:3], 1, v[2:3]
	v_mov_b32_e32 v4, s41
	v_add_co_u32_e32 v2, vcc, s40, v2
	v_addc_co_u32_e32 v3, vcc, v4, v3, vcc
	global_load_ushort v2, v[2:3], off
	s_waitcnt vmcnt(0)
	v_cvt_f32_f16_e32 v2, v2
	v_mul_f32_e32 v2, v65, v2
	s_branch .LBB68_17
.LBB68_16:                              ;   in Loop: Header=BB68_10 Depth=1
	v_mov_b32_e32 v2, 0
.LBB68_17:                              ;   in Loop: Header=BB68_10 Depth=1
	v_and_b32_e32 v3, 0x60, v87
	v_add_u32_e32 v3, 32, v3
	v_xor_b32_e32 v4, 16, v87
	v_cmp_lt_i32_e32 vcc, v4, v3
	v_add_f32_e32 v2, v9, v2
	v_cndmask_b32_e32 v4, v87, v4, vcc
	v_add_f32_e32 v5, 0x40051340, v2
	v_max_f32_e32 v6, v8, v8
	v_lshlrev_b32_e32 v4, 2, v4
	v_max_f32_e32 v5, v6, v5
	ds_bpermute_b32 v4, v4, v5
	v_xor_b32_e32 v6, 8, v87
	v_cmp_lt_i32_e32 vcc, v6, v3
	v_cndmask_b32_e32 v6, v87, v6, vcc
	v_lshlrev_b32_e32 v6, 2, v6
	s_waitcnt lgkmcnt(0)
	v_max_f32_e32 v4, v4, v4
	v_max_f32_e32 v4, v5, v4
	ds_bpermute_b32 v5, v6, v4
	v_xor_b32_e32 v6, 4, v87
	v_cmp_lt_i32_e32 vcc, v6, v3
	v_cndmask_b32_e32 v6, v87, v6, vcc
	v_lshlrev_b32_e32 v6, 2, v6
	s_waitcnt lgkmcnt(0)
	v_max_f32_e32 v5, v5, v5
	;; [unrolled: 8-line block ×4, first 2 shown]
	v_max_f32_e32 v4, v4, v5
	ds_bpermute_b32 v3, v3, v4
	s_mul_hi_i32 s13, s45, s8
	s_mul_i32 s12, s45, s8
	s_lshl_b64 s[12:13], s[12:13], 2
	s_add_u32 s16, s43, s12
	s_waitcnt lgkmcnt(0)
	v_max_f32_e32 v3, v3, v3
	v_max_f32_e32 v70, v4, v3
	v_sub_f32_e32 v2, v2, v70
	v_mul_f32_e32 v3, 0x3fb8aa3b, v2
	v_fma_f32 v4, v2, s49, -v3
	v_rndne_f32_e32 v5, v3
	v_fmac_f32_e32 v4, 0x32a5705f, v2
	v_sub_f32_e32 v3, v3, v5
	v_add_f32_e32 v3, v3, v4
	v_exp_f32_e32 v3, v3
	v_cvt_i32_f32_e32 v4, v5
	v_cmp_ngt_f32_e32 vcc, s50, v2
	s_addc_u32 s17, s44, s13
	v_ldexp_f32 v3, v3, v4
	v_cndmask_b32_e32 v3, 0, v3, vcc
	v_cmp_nlt_f32_e32 vcc, s51, v2
	v_cndmask_b32_e32 v68, v88, v3, vcc
	v_cvt_f16_f32_e32 v2, v68
	; wave barrier
	ds_write_b16 v79, v2
	s_and_saveexec_b64 s[12:13], s[10:11]
	s_cbranch_execz .LBB68_19
; %bb.18:                               ;   in Loop: Header=BB68_10 Depth=1
	v_mov_b32_e32 v2, s17
	v_add_co_u32_e32 v3, vcc, s16, v51
	v_addc_co_u32_e32 v4, vcc, v2, v52, vcc
	v_add_co_u32_e32 v2, vcc, v3, v84
	v_addc_co_u32_e32 v3, vcc, 0, v4, vcc
	global_load_dwordx4 v[2:5], v[2:3], off offset:192
	s_waitcnt vmcnt(0)
	ds_write_b128 v80, v[2:5]
.LBB68_19:                              ;   in Loop: Header=BB68_10 Depth=1
	s_or_b64 exec, exec, s[12:13]
	v_mov_b32_e32 v2, s17
	v_add_co_u32_e32 v3, vcc, s16, v53
	v_addc_co_u32_e32 v2, vcc, v2, v54, vcc
	v_add_co_u32_e32 v6, vcc, v3, v85
	v_addc_co_u32_e32 v7, vcc, 0, v2, vcc
	v_mov_b32_e32 v2, s17
	v_add_co_u32_e32 v3, vcc, s16, v55
	v_addc_co_u32_e32 v2, vcc, v2, v56, vcc
	v_add_co_u32_e32 v13, vcc, v3, v86
	v_addc_co_u32_e32 v14, vcc, 0, v2, vcc
	global_load_dwordx4 v[2:5], v[6:7], off offset:128
	global_load_dwordx4 v[9:12], v[13:14], off
	v_mov_b32_e32 v6, s17
	v_add_co_u32_e32 v7, vcc, s16, v57
	v_addc_co_u32_e32 v13, vcc, v6, v58, vcc
	v_add_co_u32_e32 v6, vcc, v7, v86
	v_addc_co_u32_e32 v7, vcc, 0, v13, vcc
	global_load_dwordx4 v[13:16], v[6:7], off
	v_sub_f32_e32 v91, v8, v70
	v_add_u32_e32 v90, 0x800, v60
	s_or_b32 s16, s45, 16
	s_mul_hi_i32 s17, s16, s8
	s_mul_i32 s16, s16, s8
	s_lshl_b64 s[16:17], s[16:17], 2
	s_add_u32 s53, s43, s16
	v_cmp_ngt_f32_e32 vcc, s50, v91
	v_cmp_nlt_f32_e64 s[12:13], s51, v91
	s_addc_u32 s54, s44, s17
	s_waitcnt vmcnt(2)
	ds_write_b128 v81, v[2:5]
	s_waitcnt vmcnt(1)
	ds_write_b128 v82, v[9:12]
	;; [unrolled: 2-line block ×3, first 2 shown]
	s_waitcnt lgkmcnt(0)
	; wave barrier
	ds_read2_b64 v[30:33], v60 offset1:28
	ds_read_b128 v[38:41], v78
	ds_read_b128 v[34:37], v78 offset:16
	ds_read2_b64 v[26:29], v60 offset0:56 offset1:84
	ds_read2_b64 v[22:25], v60 offset0:112 offset1:140
	ds_read2_b64 v[18:21], v60 offset0:168 offset1:196
	ds_read2_b64 v[14:17], v60 offset0:224 offset1:252
	ds_read2_b64 v[10:13], v90 offset0:24 offset1:52
	ds_read2_b64 v[6:9], v90 offset0:80 offset1:108
	ds_read2_b64 v[2:5], v90 offset0:136 offset1:164
	s_waitcnt lgkmcnt(0)
	; wave barrier
	s_and_saveexec_b64 s[36:37], s[10:11]
	s_cbranch_execz .LBB68_21
; %bb.20:                               ;   in Loop: Header=BB68_10 Depth=1
	v_mov_b32_e32 v92, s54
	v_add_co_u32_e64 v93, s[16:17], s53, v51
	v_addc_co_u32_e64 v94, s[16:17], v92, v52, s[16:17]
	v_add_co_u32_e64 v92, s[16:17], v93, v84
	v_addc_co_u32_e64 v93, s[16:17], 0, v94, s[16:17]
	global_load_dwordx4 v[92:95], v[92:93], off offset:192
	s_waitcnt vmcnt(0)
	ds_write_b128 v80, v[92:95]
.LBB68_21:                              ;   in Loop: Header=BB68_10 Depth=1
	s_or_b64 exec, exec, s[36:37]
	v_mov_b32_e32 v92, s54
	v_add_co_u32_e64 v93, s[16:17], s53, v53
	v_addc_co_u32_e64 v94, s[16:17], v92, v54, s[16:17]
	v_add_co_u32_e64 v92, s[16:17], v93, v85
	v_addc_co_u32_e64 v93, s[16:17], 0, v94, s[16:17]
	v_mov_b32_e32 v94, s54
	v_add_co_u32_e64 v95, s[16:17], s53, v55
	v_addc_co_u32_e64 v94, s[16:17], v94, v56, s[16:17]
	v_add_co_u32_e64 v96, s[16:17], v95, v86
	v_addc_co_u32_e64 v97, s[16:17], 0, v94, s[16:17]
	v_mov_b32_e32 v100, s54
	v_add_co_u32_e64 v101, s[16:17], s53, v57
	v_addc_co_u32_e64 v102, s[16:17], v100, v58, s[16:17]
	global_load_dwordx4 v[92:95], v[92:93], off offset:128
	s_nop 0
	global_load_dwordx4 v[96:99], v[96:97], off
	v_add_co_u32_e64 v100, s[16:17], v101, v86
	v_addc_co_u32_e64 v101, s[16:17], 0, v102, s[16:17]
	global_load_dwordx4 v[100:103], v[100:101], off
	v_mul_f32_e32 v104, 0x3fb8aa3b, v91
	v_fma_f32 v105, v91, s49, -v104
	v_fmac_f32_e32 v105, 0x32a5705f, v91
	v_rndne_f32_e32 v91, v104
	v_sub_f32_e32 v104, v104, v91
	v_add_f32_e32 v104, v104, v105
	v_exp_f32_e32 v104, v104
	v_cvt_i32_f32_e32 v91, v91
	v_mul_u32_u24_sdwa v105, v38, s52 dst_sel:DWORD dst_unused:UNUSED_PAD src0_sel:WORD_0 src1_sel:DWORD
	v_pk_mul_f16 v30, v30, v105
	v_pk_mul_f16 v31, v31, v105
	v_ldexp_f32 v91, v104, v91
	v_cndmask_b32_e32 v91, 0, v91, vcc
	v_cndmask_b32_e64 v91, v88, v91, s[12:13]
	v_cvt_f16_f32_e32 v104, v91
	v_mul_u32_u24_sdwa v38, v38, s52 dst_sel:DWORD dst_unused:UNUSED_PAD src0_sel:WORD_1 src1_sel:DWORD
	v_mul_u32_u24_sdwa v106, v39, s52 dst_sel:DWORD dst_unused:UNUSED_PAD src0_sel:WORD_0 src1_sel:DWORD
	v_mul_u32_u24_sdwa v39, v39, s52 dst_sel:DWORD dst_unused:UNUSED_PAD src0_sel:WORD_1 src1_sel:DWORD
	v_mul_u32_u24_e32 v104, 0x10001, v104
	v_pk_fma_f16 v30, v61, v104, v30
	v_pk_fma_f16 v31, v62, v104, v31
	;; [unrolled: 1-line block ×6, first 2 shown]
	v_mul_u32_u24_sdwa v107, v40, s52 dst_sel:DWORD dst_unused:UNUSED_PAD src0_sel:WORD_0 src1_sel:DWORD
	v_pk_fma_f16 v26, v28, v39, v26
	v_pk_fma_f16 v27, v29, v39, v27
	v_mul_u32_u24_sdwa v40, v40, s52 dst_sel:DWORD dst_unused:UNUSED_PAD src0_sel:WORD_1 src1_sel:DWORD
	v_pk_fma_f16 v22, v22, v107, v26
	v_pk_fma_f16 v23, v23, v107, v27
	v_mul_u32_u24_sdwa v108, v41, s52 dst_sel:DWORD dst_unused:UNUSED_PAD src0_sel:WORD_0 src1_sel:DWORD
	v_pk_fma_f16 v22, v24, v40, v22
	v_pk_fma_f16 v23, v25, v40, v23
	v_mul_u32_u24_sdwa v41, v41, s52 dst_sel:DWORD dst_unused:UNUSED_PAD src0_sel:WORD_1 src1_sel:DWORD
	v_pk_fma_f16 v18, v18, v108, v22
	v_pk_fma_f16 v19, v19, v108, v23
	;; [unrolled: 6-line block ×5, first 2 shown]
	v_mul_u32_u24_sdwa v112, v37, s52 dst_sel:DWORD dst_unused:UNUSED_PAD src0_sel:WORD_0 src1_sel:DWORD
	v_pk_fma_f16 v6, v8, v36, v6
	v_pk_fma_f16 v7, v9, v36, v7
	v_pk_fma_f16 v2, v2, v112, v6
	v_pk_fma_f16 v3, v3, v112, v7
	v_mul_u32_u24_sdwa v37, v37, s52 dst_sel:DWORD dst_unused:UNUSED_PAD src0_sel:WORD_1 src1_sel:DWORD
	s_waitcnt vmcnt(2)
	ds_write_b128 v81, v[92:95]
	s_waitcnt vmcnt(1)
	ds_write_b128 v82, v[96:99]
	;; [unrolled: 2-line block ×3, first 2 shown]
	s_waitcnt lgkmcnt(0)
	; wave barrier
	ds_read_b128 v[6:9], v78 offset:32
	ds_read2_b64 v[10:13], v60 offset1:28
	v_pk_fma_f16 v14, v4, v37, v2
	v_pk_fma_f16 v15, v5, v37, v3
	ds_read_b128 v[2:5], v78 offset:48
	s_waitcnt lgkmcnt(2)
	v_mul_u32_u24_sdwa v16, v6, s52 dst_sel:DWORD dst_unused:UNUSED_PAD src0_sel:WORD_0 src1_sel:DWORD
	s_waitcnt lgkmcnt(1)
	v_pk_fma_f16 v10, v10, v16, v14
	v_pk_fma_f16 v11, v11, v16, v15
	ds_read2_b64 v[14:17], v60 offset0:56 offset1:84
	v_mul_u32_u24_sdwa v6, v6, s52 dst_sel:DWORD dst_unused:UNUSED_PAD src0_sel:WORD_1 src1_sel:DWORD
	v_pk_fma_f16 v10, v12, v6, v10
	v_pk_fma_f16 v6, v13, v6, v11
	v_mul_u32_u24_sdwa v11, v7, s52 dst_sel:DWORD dst_unused:UNUSED_PAD src0_sel:WORD_0 src1_sel:DWORD
	s_waitcnt lgkmcnt(0)
	v_pk_fma_f16 v14, v14, v11, v10
	v_pk_fma_f16 v6, v15, v11, v6
	ds_read2_b64 v[10:13], v60 offset0:112 offset1:140
	v_mul_u32_u24_sdwa v7, v7, s52 dst_sel:DWORD dst_unused:UNUSED_PAD src0_sel:WORD_1 src1_sel:DWORD
	v_pk_fma_f16 v14, v16, v7, v14
	v_pk_fma_f16 v6, v17, v7, v6
	v_mul_u32_u24_sdwa v7, v8, s52 dst_sel:DWORD dst_unused:UNUSED_PAD src0_sel:WORD_0 src1_sel:DWORD
	s_waitcnt lgkmcnt(0)
	v_pk_fma_f16 v10, v10, v7, v14
	ds_read2_b64 v[14:17], v60 offset0:168 offset1:196
	v_pk_fma_f16 v6, v11, v7, v6
	v_mul_u32_u24_sdwa v7, v8, s52 dst_sel:DWORD dst_unused:UNUSED_PAD src0_sel:WORD_1 src1_sel:DWORD
	v_pk_fma_f16 v8, v12, v7, v10
	v_pk_fma_f16 v6, v13, v7, v6
	ds_read2_b64 v[10:13], v60 offset0:224 offset1:252
	v_mul_u32_u24_sdwa v7, v9, s52 dst_sel:DWORD dst_unused:UNUSED_PAD src0_sel:WORD_0 src1_sel:DWORD
	s_waitcnt lgkmcnt(1)
	v_pk_fma_f16 v8, v14, v7, v8
	v_pk_fma_f16 v6, v15, v7, v6
	v_mul_u32_u24_sdwa v7, v9, s52 dst_sel:DWORD dst_unused:UNUSED_PAD src0_sel:WORD_1 src1_sel:DWORD
	v_pk_fma_f16 v8, v16, v7, v8
	v_pk_fma_f16 v6, v17, v7, v6
	v_mul_u32_u24_sdwa v7, v2, s52 dst_sel:DWORD dst_unused:UNUSED_PAD src0_sel:WORD_0 src1_sel:DWORD
	s_waitcnt lgkmcnt(0)
	v_pk_fma_f16 v10, v10, v7, v8
	v_pk_fma_f16 v11, v11, v7, v6
	ds_read2_b64 v[6:9], v90 offset0:24 offset1:52
	v_mul_u32_u24_sdwa v2, v2, s52 dst_sel:DWORD dst_unused:UNUSED_PAD src0_sel:WORD_1 src1_sel:DWORD
	v_pk_fma_f16 v10, v12, v2, v10
	v_pk_fma_f16 v2, v13, v2, v11
	v_mul_u32_u24_sdwa v11, v3, s52 dst_sel:DWORD dst_unused:UNUSED_PAD src0_sel:WORD_0 src1_sel:DWORD
	s_waitcnt lgkmcnt(0)
	v_pk_fma_f16 v6, v6, v11, v10
	v_pk_fma_f16 v2, v7, v11, v2
	ds_read2_b64 v[10:13], v90 offset0:80 offset1:108
	v_mul_u32_u24_sdwa v3, v3, s52 dst_sel:DWORD dst_unused:UNUSED_PAD src0_sel:WORD_1 src1_sel:DWORD
	v_pk_fma_f16 v6, v8, v3, v6
	v_pk_fma_f16 v2, v9, v3, v2
	v_mul_u32_u24_sdwa v3, v4, s52 dst_sel:DWORD dst_unused:UNUSED_PAD src0_sel:WORD_0 src1_sel:DWORD
	s_waitcnt lgkmcnt(0)
	v_pk_fma_f16 v6, v10, v3, v6
	v_pk_fma_f16 v2, v11, v3, v2
	v_mul_u32_u24_sdwa v3, v4, s52 dst_sel:DWORD dst_unused:UNUSED_PAD src0_sel:WORD_1 src1_sel:DWORD
	v_pk_fma_f16 v4, v12, v3, v6
	ds_read2_b64 v[6:9], v90 offset0:136 offset1:164
	s_waitcnt lgkmcnt(0)
	; wave barrier
	s_load_dword s12, s[22:23], 0x4
	v_pk_fma_f16 v2, v13, v3, v2
	v_mul_u32_u24_sdwa v3, v5, s52 dst_sel:DWORD dst_unused:UNUSED_PAD src0_sel:WORD_0 src1_sel:DWORD
	v_pk_fma_f16 v4, v6, v3, v4
	v_pk_fma_f16 v2, v7, v3, v2
	s_waitcnt lgkmcnt(0)
	s_lshl_b32 s12, s12, 5
	v_mul_u32_u24_sdwa v3, v5, s52 dst_sel:DWORD dst_unused:UNUSED_PAD src0_sel:WORD_1 src1_sel:DWORD
	s_add_i32 s45, s12, s45
	v_fmac_f32_e32 v68, v89, v91
	v_pk_fma_f16 v61, v8, v3, v4
	s_cmp_lt_i32 s45, s48
	v_pk_fma_f16 v62, v9, v3, v2
	s_cbranch_scc0 .LBB68_24
; %bb.22:                               ;   in Loop: Header=BB68_10 Depth=1
	v_mov_b32_e32 v8, v70
	v_mov_b32_e32 v89, v68
	s_branch .LBB68_10
.LBB68_23:
	v_mov_b32_e32 v62, 0
	v_mov_b32_e32 v68, 0
	;; [unrolled: 1-line block ×4, first 2 shown]
.LBB68_24:
	s_cmp_gt_i32 s42, s45
	s_cbranch_scc1 .LBB68_27
; %bb.25:
	v_mbcnt_hi_u32_b32 v46, -1, v67
	v_and_b32_e32 v2, 0x60, v46
	v_add_u32_e32 v47, 32, v2
	v_xor_b32_e32 v48, 16, v46
	v_xor_b32_e32 v49, 8, v46
	;; [unrolled: 1-line block ×5, first 2 shown]
	s_cbranch_execz .LBB68_28
; %bb.26:
	v_mov_b32_e32 v33, v70
	s_branch .LBB68_42
.LBB68_27:
                                        ; implicit-def: $vgpr46
                                        ; implicit-def: $vgpr47
                                        ; implicit-def: $vgpr48
                                        ; implicit-def: $vgpr49
                                        ; implicit-def: $vgpr50
                                        ; implicit-def: $vgpr51
                                        ; implicit-def: $vgpr52
.LBB68_28:
	v_mul_lo_u32 v2, s38, v73
	s_mov_b64 s[22:23], src_private_base
	s_mul_hi_i32 s11, s45, s38
	s_mul_i32 s10, s45, s38
	s_sub_i32 s22, s42, s45
	s_lshl_b64 s[10:11], s[10:11], 2
	v_ashrrev_i32_e32 v3, 31, v2
	s_add_u32 s42, s47, s10
	v_lshlrev_b64 v[2:3], 2, v[2:3]
	s_addc_u32 s47, s39, s11
	v_cmp_gt_u32_e64 s[14:15], 32, v73
	v_or_b32_e32 v7, 0x60, v69
	v_cmp_gt_i32_e64 s[12:13], s22, v73
	s_and_saveexec_b64 s[10:11], s[14:15]
	s_cbranch_execz .LBB68_30
; %bb.29:
	v_mov_b32_e32 v4, 0
	buffer_store_dword v4, off, s[0:3], 0
	buffer_store_dword v4, off, s[0:3], 0 offset:4
	buffer_store_dword v4, off, s[0:3], 0 offset:8
	buffer_store_dword v4, off, s[0:3], 0 offset:12
	v_mov_b32_e32 v4, s47
	v_add_co_u32_e32 v5, vcc, s42, v2
	v_addc_co_u32_e32 v4, vcc, v4, v3, vcc
	v_add_co_u32_e32 v6, vcc, 0x60, v5
	v_addc_co_u32_e32 v4, vcc, 0, v4, vcc
	v_mov_b32_e32 v5, s23
	v_cndmask_b32_e64 v5, v5, v4, s[12:13]
	v_mov_b32_e32 v4, 0
	v_cndmask_b32_e64 v4, v4, v6, s[12:13]
	flat_load_dwordx4 v[8:11], v[4:5]
	s_waitcnt vmcnt(0) lgkmcnt(0)
	ds_write_b128 v7, v[8:11]
.LBB68_30:
	s_or_b64 exec, exec, s[10:11]
	v_lshl_add_u32 v43, v1, 4, v72
	v_mul_lo_u32 v8, s38, v43
	v_and_b32_e32 v4, 4, v63
	v_mov_b32_e32 v5, s47
	v_lshlrev_b32_e32 v45, 2, v4
	v_ashrrev_i32_e32 v9, 31, v8
	v_lshlrev_b64 v[8:9], 2, v[8:9]
	s_mov_b64 s[36:37], src_private_base
	v_add_co_u32_e32 v8, vcc, s42, v8
	v_addc_co_u32_e32 v5, vcc, v5, v9, vcc
	v_add_co_u32_e32 v11, vcc, v8, v45
	v_addc_co_u32_e32 v9, vcc, 0, v5, vcc
	;; [unrolled: 2-line block ×3, first 2 shown]
	v_mov_b32_e32 v23, s37
	v_cmp_gt_i32_e64 s[10:11], s22, v43
	v_mov_b32_e32 v6, 0
	v_cndmask_b32_e64 v13, v23, v8, s[10:11]
	v_mov_b32_e32 v8, 0
	buffer_store_dword v6, off, s[0:3], 0
	buffer_store_dword v6, off, s[0:3], 0 offset:4
	buffer_store_dword v6, off, s[0:3], 0 offset:8
	;; [unrolled: 1-line block ×3, first 2 shown]
	v_cndmask_b32_e64 v12, v8, v5, s[10:11]
	flat_load_dwordx4 v[14:17], v[12:13]
	v_lshl_add_u32 v42, v1, 3, v71
	v_mul_lo_u32 v21, s38, v42
	v_and_b32_e32 v5, 12, v63
	v_mov_b32_e32 v10, s47
	v_lshlrev_b32_e32 v44, 2, v5
	v_ashrrev_i32_e32 v22, 31, v21
	v_lshlrev_b64 v[12:13], 2, v[21:22]
	v_lshl_or_b32 v26, v43, 7, v45
	v_add_co_u32_e32 v5, vcc, s42, v12
	v_addc_co_u32_e32 v10, vcc, v10, v13, vcc
	v_add_co_u32_e32 v13, vcc, v5, v44
	v_addc_co_u32_e32 v12, vcc, 0, v10, vcc
	v_cmp_gt_i32_e64 s[18:19], s22, v42
	v_cndmask_b32_e64 v19, v23, v12, s[18:19]
	v_cndmask_b32_e64 v18, v8, v13, s[18:19]
	buffer_store_dword v6, off, s[0:3], 0
	buffer_store_dword v6, off, s[0:3], 0 offset:4
	buffer_store_dword v6, off, s[0:3], 0 offset:8
	;; [unrolled: 1-line block ×3, first 2 shown]
	v_mov_b32_e32 v5, s47
	v_add_u32_e32 v24, 16, v42
	v_lshl_or_b32 v10, v42, 7, v44
	v_cmp_gt_i32_e64 s[16:17], s22, v24
	s_waitcnt vmcnt(0) lgkmcnt(0)
	ds_write_b128 v26, v[14:17] offset:64
	flat_load_dwordx4 v[17:20], v[18:19]
	v_lshl_add_u32 v14, s38, 4, v21
	v_ashrrev_i32_e32 v15, 31, v14
	v_lshlrev_b64 v[14:15], 2, v[14:15]
	buffer_store_dword v6, off, s[0:3], 0
	buffer_store_dword v6, off, s[0:3], 0 offset:4
	buffer_store_dword v6, off, s[0:3], 0 offset:8
	;; [unrolled: 1-line block ×3, first 2 shown]
	v_add_co_u32_e32 v14, vcc, s42, v14
	v_addc_co_u32_e32 v5, vcc, v5, v15, vcc
	v_add_co_u32_e32 v16, vcc, v14, v44
	v_addc_co_u32_e32 v15, vcc, 0, v5, vcc
	v_cndmask_b32_e64 v22, v23, v15, s[16:17]
	v_cndmask_b32_e64 v21, v8, v16, s[16:17]
	v_lshl_or_b32 v14, v24, 7, v44
	v_mov_b32_e32 v5, 0
	s_waitcnt vmcnt(0) lgkmcnt(0)
	ds_write_b128 v10, v[17:20]
	flat_load_dwordx4 v[17:20], v[21:22]
	s_waitcnt vmcnt(0) lgkmcnt(0)
	ds_write_b128 v14, v[17:20]
	s_waitcnt lgkmcnt(0)
	; wave barrier
	ds_read_b128 v[17:20], v69
	ds_read_b128 v[21:24], v66
	s_waitcnt lgkmcnt(0)
	;;#ASMSTART
	v_dot2_f32_f16 v5, v17, v21, v5
	;;#ASMEND
	;;#ASMSTART
	v_dot2_f32_f16 v5, v18, v22, v5
	;;#ASMEND
	;;#ASMSTART
	v_dot2_f32_f16 v5, v19, v23, v5
	;;#ASMEND
	;;#ASMSTART
	v_dot2_f32_f16 v5, v20, v24, v5
	;;#ASMEND
	ds_read_b128 v[17:20], v69 offset:16
	ds_read_b128 v[21:24], v66 offset:16
	s_waitcnt lgkmcnt(0)
	;;#ASMSTART
	v_dot2_f32_f16 v5, v17, v21, v5
	;;#ASMEND
	;;#ASMSTART
	v_dot2_f32_f16 v5, v18, v22, v5
	;;#ASMEND
	;;#ASMSTART
	v_dot2_f32_f16 v5, v19, v23, v5
	;;#ASMEND
	;;#ASMSTART
	v_dot2_f32_f16 v5, v20, v24, v5
	;;#ASMEND
	ds_read_b128 v[17:20], v69 offset:32
	ds_read_b128 v[21:24], v66 offset:32
	;; [unrolled: 15-line block ×6, first 2 shown]
	s_waitcnt lgkmcnt(0)
	;;#ASMSTART
	v_dot2_f32_f16 v5, v18, v22, v5
	;;#ASMEND
	;;#ASMSTART
	v_dot2_f32_f16 v5, v19, v23, v5
	;;#ASMEND
	v_or_b32_e32 v17, 64, v26
	;;#ASMSTART
	v_dot2_f32_f16 v5, v20, v24, v5
	;;#ASMEND
	;;#ASMSTART
	v_dot2_f32_f16 v5, v21, v25, v5
	;;#ASMEND
	; wave barrier
	s_and_saveexec_b64 s[38:39], s[14:15]
	s_cbranch_execz .LBB68_32
; %bb.31:
	v_mov_b32_e32 v18, s47
	v_add_co_u32_e32 v2, vcc, s42, v2
	v_addc_co_u32_e32 v3, vcc, v18, v3, vcc
	v_add_co_u32_e32 v2, vcc, 0xd0, v2
	v_addc_co_u32_e32 v3, vcc, 0, v3, vcc
	v_mov_b32_e32 v18, s23
	buffer_store_dword v6, off, s[0:3], 0
	buffer_store_dword v6, off, s[0:3], 0 offset:4
	buffer_store_dword v6, off, s[0:3], 0 offset:8
	;; [unrolled: 1-line block ×3, first 2 shown]
	v_cndmask_b32_e64 v3, v18, v3, s[12:13]
	v_cndmask_b32_e64 v2, v8, v2, s[12:13]
	flat_load_dwordx4 v[18:21], v[2:3]
	s_waitcnt vmcnt(0) lgkmcnt(0)
	ds_write_b128 v7, v[18:21]
.LBB68_32:
	s_or_b64 exec, exec, s[38:39]
	v_add_co_u32_e32 v2, vcc, 0xb0, v11
	v_addc_co_u32_e32 v3, vcc, 0, v9, vcc
	v_mov_b32_e32 v7, s37
	buffer_store_dword v6, off, s[0:3], 0
	buffer_store_dword v6, off, s[0:3], 0 offset:4
	buffer_store_dword v6, off, s[0:3], 0 offset:8
	;; [unrolled: 1-line block ×3, first 2 shown]
	v_cndmask_b32_e64 v3, v7, v3, s[10:11]
	v_cndmask_b32_e64 v2, v8, v2, s[10:11]
	flat_load_dwordx4 v[18:21], v[2:3]
	s_movk_i32 s12, 0x70
	v_add_co_u32_e32 v2, vcc, s12, v13
	v_addc_co_u32_e32 v3, vcc, 0, v12, vcc
	v_cndmask_b32_e64 v2, v8, v2, s[18:19]
	buffer_store_dword v6, off, s[0:3], 0
	buffer_store_dword v6, off, s[0:3], 0 offset:4
	buffer_store_dword v6, off, s[0:3], 0 offset:8
	;; [unrolled: 1-line block ×3, first 2 shown]
	v_cndmask_b32_e64 v3, v7, v3, s[18:19]
	s_waitcnt vmcnt(0) lgkmcnt(0)
	ds_write_b128 v17, v[18:21]
	flat_load_dwordx4 v[17:20], v[2:3]
	v_add_co_u32_e32 v2, vcc, s12, v16
	v_addc_co_u32_e32 v3, vcc, 0, v15, vcc
	v_cndmask_b32_e64 v2, v8, v2, s[16:17]
	v_cndmask_b32_e64 v3, v7, v3, s[16:17]
	buffer_store_dword v6, off, s[0:3], 0
	buffer_store_dword v6, off, s[0:3], 0 offset:4
	buffer_store_dword v6, off, s[0:3], 0 offset:8
	;; [unrolled: 1-line block ×3, first 2 shown]
	v_cmp_gt_i32_e32 vcc, s22, v0
	s_waitcnt vmcnt(0) lgkmcnt(0)
	ds_write_b128 v10, v[17:20]
	flat_load_dwordx4 v[6:9], v[2:3]
	v_mov_b32_e32 v2, v70
	s_waitcnt vmcnt(0) lgkmcnt(0)
	ds_write_b128 v14, v[6:9]
	s_waitcnt lgkmcnt(0)
	; wave barrier
	ds_read_b128 v[6:9], v69
	ds_read_b128 v[10:13], v66 offset:112
	s_waitcnt lgkmcnt(0)
	;;#ASMSTART
	v_dot2_f32_f16 v5, v6, v10, v5
	;;#ASMEND
	;;#ASMSTART
	v_dot2_f32_f16 v5, v7, v11, v5
	;;#ASMEND
	;;#ASMSTART
	v_dot2_f32_f16 v5, v8, v12, v5
	;;#ASMEND
	;;#ASMSTART
	v_dot2_f32_f16 v5, v9, v13, v5
	;;#ASMEND
	ds_read_b128 v[6:9], v69 offset:16
	ds_read_b128 v[10:13], v66 offset:128
	s_waitcnt lgkmcnt(0)
	;;#ASMSTART
	v_dot2_f32_f16 v5, v6, v10, v5
	;;#ASMEND
	;;#ASMSTART
	v_dot2_f32_f16 v5, v7, v11, v5
	;;#ASMEND
	;;#ASMSTART
	v_dot2_f32_f16 v5, v8, v12, v5
	;;#ASMEND
	;;#ASMSTART
	v_dot2_f32_f16 v5, v9, v13, v5
	;;#ASMEND
	ds_read_b128 v[6:9], v69 offset:32
	;; [unrolled: 15-line block ×6, first 2 shown]
	ds_read_b128 v[10:13], v66 offset:208
	s_waitcnt lgkmcnt(0)
	;;#ASMSTART
	v_dot2_f32_f16 v5, v6, v10, v5
	;;#ASMEND
	;;#ASMSTART
	v_dot2_f32_f16 v5, v7, v11, v5
	;;#ASMEND
	;; [unrolled: 3-line block ×4, first 2 shown]
	s_and_saveexec_b64 s[12:13], vcc
	s_cbranch_execz .LBB68_37
; %bb.33:
	s_cmp_eq_u64 s[40:41], 0
	s_cbranch_scc1 .LBB68_35
; %bb.34:
	v_mul_hi_u32 v2, s28, v59
	v_mov_b32_e32 v6, s41
	v_add_u32_e32 v2, v59, v2
	v_lshrrev_b32_e32 v2, s29, v2
	v_mul_lo_u32 v2, v2, s30
	v_sub_u32_e32 v2, v59, v2
	v_mul_lo_u32 v2, v2, s46
	v_add3_u32 v2, v2, v0, s45
	v_ashrrev_i32_e32 v3, 31, v2
	v_lshlrev_b64 v[2:3], 1, v[2:3]
	v_add_co_u32_e32 v2, vcc, s40, v2
	v_addc_co_u32_e32 v3, vcc, v6, v3, vcc
	global_load_ushort v2, v[2:3], off
	s_waitcnt vmcnt(0)
	v_cvt_f32_f16_e32 v2, v2
	v_mul_f32_e32 v2, v65, v2
	s_branch .LBB68_36
.LBB68_35:
	v_mov_b32_e32 v2, 0
.LBB68_36:
	v_add_f32_e32 v5, v5, v2
	v_add_f32_e32 v2, 0x40051340, v5
	v_max_f32_e32 v3, v70, v70
	v_max_f32_e32 v2, v3, v2
.LBB68_37:
	s_or_b64 exec, exec, s[12:13]
	v_mbcnt_hi_u32_b32 v46, -1, v67
	v_and_b32_e32 v3, 0x60, v46
	v_add_u32_e32 v47, 32, v3
	v_xor_b32_e32 v48, 16, v46
	v_cmp_lt_i32_e32 vcc, v48, v47
	v_cndmask_b32_e32 v3, v46, v48, vcc
	v_lshlrev_b32_e32 v3, 2, v3
	ds_bpermute_b32 v3, v3, v2
	v_xor_b32_e32 v49, 8, v46
	v_cmp_lt_i32_e32 vcc, v49, v47
	v_cndmask_b32_e32 v6, v46, v49, vcc
	v_max_f32_e32 v2, v2, v2
	s_waitcnt lgkmcnt(0)
	v_max_f32_e32 v3, v3, v3
	v_lshlrev_b32_e32 v6, 2, v6
	v_max_f32_e32 v2, v2, v3
	ds_bpermute_b32 v3, v6, v2
	v_xor_b32_e32 v50, 4, v46
	v_cmp_lt_i32_e32 vcc, v50, v47
	v_cndmask_b32_e32 v6, v46, v50, vcc
	v_lshlrev_b32_e32 v6, 2, v6
	s_waitcnt lgkmcnt(0)
	v_max_f32_e32 v3, v3, v3
	v_max_f32_e32 v2, v2, v3
	ds_bpermute_b32 v3, v6, v2
	v_xor_b32_e32 v51, 2, v46
	v_cmp_lt_i32_e32 vcc, v51, v47
	v_cndmask_b32_e32 v6, v46, v51, vcc
	v_lshlrev_b32_e32 v6, 2, v6
	s_waitcnt lgkmcnt(0)
	v_max_f32_e32 v3, v3, v3
	;; [unrolled: 8-line block ×3, first 2 shown]
	v_max_f32_e32 v2, v2, v3
	ds_bpermute_b32 v3, v6, v2
	s_mov_b32 s23, 0x3fb8aa3b
	s_mov_b32 s28, 0xc2ce8ed0
	;; [unrolled: 1-line block ×3, first 2 shown]
	s_waitcnt lgkmcnt(0)
	v_max_f32_e32 v3, v3, v3
	v_max_f32_e32 v33, v2, v3
	v_sub_f32_e32 v3, v5, v33
	v_mul_f32_e32 v2, 0x3fb8aa3b, v3
	v_fma_f32 v5, v3, s23, -v2
	v_rndne_f32_e32 v6, v2
	v_fmac_f32_e32 v5, 0x32a5705f, v3
	v_sub_f32_e32 v2, v2, v6
	v_add_f32_e32 v2, v2, v5
	v_exp_f32_e32 v2, v2
	v_cvt_i32_f32_e32 v5, v6
	v_cmp_ngt_f32_e32 vcc, s28, v3
	; wave barrier
	s_mul_hi_i32 s17, s45, s8
	v_ldexp_f32 v2, v2, v5
	v_cndmask_b32_e32 v5, 0, v2, vcc
	v_mov_b32_e32 v2, 0x7f800000
	v_cmp_nlt_f32_e32 vcc, s29, v3
	v_cndmask_b32_e32 v3, v2, v5, vcc
	v_cmp_gt_u32_e32 vcc, s22, v0
	v_cndmask_b32_e32 v53, 0, v3, vcc
	v_cvt_f16_f32_e32 v3, v53
	v_mov_b32_e32 v5, 0x1200
	v_lshl_add_u32 v54, v1, 6, v5
	v_lshl_add_u32 v5, v0, 1, v54
	ds_write_b16 v5, v3
	v_mul_lo_u32 v3, s8, v43
	v_mul_u32_u24_e32 v5, 0xe0, v43
	v_lshl_or_b32 v4, v4, 2, v5
	s_mul_i32 s16, s45, s8
	v_add_u32_e32 v58, 0xc0, v4
	v_ashrrev_i32_e32 v4, 31, v3
	s_lshl_b64 s[16:17], s[16:17], 2
	s_add_u32 s37, s43, s16
	v_lshlrev_b64 v[34:35], 2, v[3:4]
	s_mov_b64 s[14:15], src_private_base
	v_cmp_gt_u32_e64 s[12:13], 16, v43
	s_movk_i32 s36, 0xe0
	s_addc_u32 s38, s44, s17
	s_and_saveexec_b64 s[16:17], s[12:13]
	s_cbranch_execz .LBB68_39
; %bb.38:
	v_mov_b32_e32 v3, 0
	buffer_store_dword v3, off, s[0:3], 0
	buffer_store_dword v3, off, s[0:3], 0 offset:4
	buffer_store_dword v3, off, s[0:3], 0 offset:8
	;; [unrolled: 1-line block ×3, first 2 shown]
	v_mov_b32_e32 v3, s38
	v_add_co_u32_e32 v4, vcc, s37, v34
	v_addc_co_u32_e32 v3, vcc, v3, v35, vcc
	v_add_co_u32_e32 v4, vcc, v4, v45
	v_addc_co_u32_e32 v3, vcc, 0, v3, vcc
	;; [unrolled: 2-line block ×3, first 2 shown]
	v_mov_b32_e32 v4, s15
	v_cndmask_b32_e64 v4, v4, v3, s[10:11]
	v_mov_b32_e32 v3, 0
	v_cndmask_b32_e64 v3, v3, v5, s[10:11]
	flat_load_dwordx4 v[3:6], v[3:4]
	s_waitcnt vmcnt(0) lgkmcnt(0)
	ds_write_b128 v58, v[3:6]
.LBB68_39:
	s_or_b64 exec, exec, s[16:17]
	v_mul_lo_u32 v3, s8, v42
	s_movk_i32 s14, 0x80
	s_mov_b64 s[10:11], src_private_base
	v_mov_b32_e32 v55, 0
	v_ashrrev_i32_e32 v4, 31, v3
	v_lshlrev_b64 v[36:37], 2, v[3:4]
	v_mov_b32_e32 v3, s38
	v_add_co_u32_e32 v4, vcc, s37, v36
	v_addc_co_u32_e32 v3, vcc, v3, v37, vcc
	v_add_co_u32_e32 v4, vcc, v4, v44
	v_addc_co_u32_e32 v3, vcc, 0, v3, vcc
	;; [unrolled: 2-line block ×3, first 2 shown]
	v_mov_b32_e32 v10, s11
	v_mov_b32_e32 v57, 0
	buffer_store_dword v55, off, s[0:3], 0
	buffer_store_dword v55, off, s[0:3], 0 offset:4
	buffer_store_dword v55, off, s[0:3], 0 offset:8
	;; [unrolled: 1-line block ×3, first 2 shown]
	v_cndmask_b32_e64 v4, v10, v3, s[18:19]
	v_cndmask_b32_e64 v3, v57, v5, s[18:19]
	flat_load_dwordx4 v[3:6], v[3:4]
	v_lshl_add_u32 v64, v1, 2, v64
	v_mul_lo_u32 v7, s8, v64
	v_and_b32_e32 v8, 28, v63
	v_lshlrev_b32_e32 v63, 2, v8
	v_mov_b32_e32 v9, s38
	v_ashrrev_i32_e32 v8, 31, v7
	v_lshlrev_b64 v[38:39], 2, v[7:8]
	v_mad_u32_u24 v1, v42, s36, v44
	v_add_co_u32_e32 v8, vcc, s37, v38
	v_addc_co_u32_e32 v9, vcc, v9, v39, vcc
	v_add_co_u32_e32 v8, vcc, v8, v63
	v_addc_co_u32_e32 v9, vcc, 0, v9, vcc
	v_cmp_gt_i32_e32 vcc, s22, v64
	v_cndmask_b32_e32 v9, v10, v9, vcc
	v_cndmask_b32_e32 v8, v57, v8, vcc
	buffer_store_dword v55, off, s[0:3], 0
	buffer_store_dword v55, off, s[0:3], 0 offset:4
	buffer_store_dword v55, off, s[0:3], 0 offset:8
	;; [unrolled: 1-line block ×3, first 2 shown]
	v_lshl_add_u32 v7, s8, 3, v7
	v_add_u32_e32 v66, 8, v64
	v_mad_u32_u24 v65, v64, s36, v63
	v_add_u32_e32 v77, 0x80, v1
	s_or_b32 s16, s45, 16
	s_mul_hi_i32 s17, s16, s8
	s_mul_i32 s16, s16, s8
	s_lshl_b64 s[16:17], s[16:17], 2
	s_mov_b32 s10, 0x10001
	v_add_u32_e32 v56, 0x800, v60
	s_add_u32 s8, s43, s16
	v_add_u32_e32 v67, 0x700, v65
	s_addc_u32 s18, s44, s17
	s_waitcnt vmcnt(0) lgkmcnt(0)
	ds_write_b128 v1, v[3:6] offset:128
	flat_load_dwordx4 v[3:6], v[8:9]
	v_ashrrev_i32_e32 v8, 31, v7
	v_lshlrev_b64 v[40:41], 2, v[7:8]
	v_mov_b32_e32 v9, s38
	v_add_co_u32_e32 v7, vcc, s37, v40
	v_addc_co_u32_e32 v8, vcc, v9, v41, vcc
	v_add_co_u32_e32 v7, vcc, v7, v63
	v_addc_co_u32_e32 v8, vcc, 0, v8, vcc
	v_cmp_gt_i32_e32 vcc, s22, v66
	v_cndmask_b32_e32 v8, v10, v8, vcc
	v_cndmask_b32_e32 v7, v57, v7, vcc
	buffer_store_dword v55, off, s[0:3], 0
	buffer_store_dword v55, off, s[0:3], 0 offset:4
	buffer_store_dword v55, off, s[0:3], 0 offset:8
	;; [unrolled: 1-line block ×3, first 2 shown]
	s_add_i32 s22, s22, -16
	s_waitcnt vmcnt(0) lgkmcnt(0)
	ds_write_b128 v65, v[3:6]
	flat_load_dwordx4 v[3:6], v[7:8]
	v_sub_f32_e32 v7, v70, v33
	v_mul_f32_e32 v8, 0x3fb8aa3b, v7
	v_fma_f32 v1, v7, s23, -v8
	v_rndne_f32_e32 v9, v8
	v_fmac_f32_e32 v1, 0x32a5705f, v7
	v_sub_f32_e32 v8, v8, v9
	v_add_f32_e32 v1, v8, v1
	v_cvt_i32_f32_e32 v9, v9
	v_exp_f32_e32 v1, v1
	v_cmp_ngt_f32_e32 vcc, s28, v7
	v_ldexp_f32 v1, v1, v9
	v_cndmask_b32_e32 v1, 0, v1, vcc
	v_cmp_nlt_f32_e32 vcc, s29, v7
	v_cndmask_b32_e32 v69, v2, v1, vcc
	v_cvt_f16_f32_e32 v1, v69
	v_mul_u32_u24_e32 v70, 0x10001, v1
	s_waitcnt vmcnt(0) lgkmcnt(0)
	ds_write_b128 v65, v[3:6] offset:1792
	s_waitcnt lgkmcnt(0)
	; wave barrier
	ds_read2_b64 v[29:32], v60 offset1:28
	ds_read_b128 v[71:74], v54
	ds_read_b128 v[88:91], v54 offset:16
	ds_read2_b64 v[25:28], v60 offset0:56 offset1:84
	ds_read2_b64 v[21:24], v60 offset0:112 offset1:140
	;; [unrolled: 1-line block ×7, first 2 shown]
	s_waitcnt lgkmcnt(8)
	v_mul_u32_u24_sdwa v87, v71, s10 dst_sel:DWORD dst_unused:UNUSED_PAD src0_sel:WORD_0 src1_sel:DWORD
	v_mul_u32_u24_sdwa v86, v71, s10 dst_sel:DWORD dst_unused:UNUSED_PAD src0_sel:WORD_1 src1_sel:DWORD
	v_mul_u32_u24_sdwa v85, v72, s10 dst_sel:DWORD dst_unused:UNUSED_PAD src0_sel:WORD_0 src1_sel:DWORD
	v_mul_u32_u24_sdwa v84, v72, s10 dst_sel:DWORD dst_unused:UNUSED_PAD src0_sel:WORD_1 src1_sel:DWORD
	;; [unrolled: 2-line block ×4, first 2 shown]
	s_waitcnt lgkmcnt(7)
	v_mul_u32_u24_sdwa v79, v88, s10 dst_sel:DWORD dst_unused:UNUSED_PAD src0_sel:WORD_0 src1_sel:DWORD
	v_mul_u32_u24_sdwa v78, v88, s10 dst_sel:DWORD dst_unused:UNUSED_PAD src0_sel:WORD_1 src1_sel:DWORD
	v_mul_u32_u24_sdwa v76, v89, s10 dst_sel:DWORD dst_unused:UNUSED_PAD src0_sel:WORD_0 src1_sel:DWORD
	v_mul_u32_u24_sdwa v75, v89, s10 dst_sel:DWORD dst_unused:UNUSED_PAD src0_sel:WORD_1 src1_sel:DWORD
	v_mul_u32_u24_sdwa v74, v90, s10 dst_sel:DWORD dst_unused:UNUSED_PAD src0_sel:WORD_0 src1_sel:DWORD
	v_mul_u32_u24_sdwa v73, v90, s10 dst_sel:DWORD dst_unused:UNUSED_PAD src0_sel:WORD_1 src1_sel:DWORD
	v_mul_u32_u24_sdwa v72, v91, s10 dst_sel:DWORD dst_unused:UNUSED_PAD src0_sel:WORD_0 src1_sel:DWORD
	v_mul_u32_u24_sdwa v71, v91, s10 dst_sel:DWORD dst_unused:UNUSED_PAD src0_sel:WORD_1 src1_sel:DWORD
	s_waitcnt lgkmcnt(0)
	; wave barrier
	s_and_saveexec_b64 s[16:17], s[12:13]
	s_cbranch_execz .LBB68_41
; %bb.40:
	v_mov_b32_e32 v88, s18
	v_add_co_u32_e32 v34, vcc, s8, v34
	v_addc_co_u32_e32 v35, vcc, v88, v35, vcc
	v_add_co_u32_e32 v34, vcc, v34, v45
	v_addc_co_u32_e32 v35, vcc, 0, v35, vcc
	;; [unrolled: 2-line block ×3, first 2 shown]
	v_mov_b32_e32 v45, s15
	v_cmp_gt_i32_e32 vcc, s22, v43
	buffer_store_dword v55, off, s[0:3], 0
	buffer_store_dword v55, off, s[0:3], 0 offset:4
	buffer_store_dword v55, off, s[0:3], 0 offset:8
	;; [unrolled: 1-line block ×3, first 2 shown]
	v_cndmask_b32_e32 v35, v45, v35, vcc
	v_cndmask_b32_e32 v34, v57, v34, vcc
	flat_load_dwordx4 v[88:91], v[34:35]
	s_waitcnt vmcnt(0) lgkmcnt(0)
	ds_write_b128 v58, v[88:91]
.LBB68_41:
	s_or_b64 exec, exec, s[16:17]
	v_mov_b32_e32 v34, s18
	v_add_co_u32_e32 v35, vcc, s8, v36
	v_addc_co_u32_e32 v34, vcc, v34, v37, vcc
	v_add_co_u32_e32 v35, vcc, v35, v44
	v_addc_co_u32_e32 v34, vcc, 0, v34, vcc
	;; [unrolled: 2-line block ×3, first 2 shown]
	v_mov_b32_e32 v35, s11
	v_cmp_gt_i32_e32 vcc, s22, v42
	buffer_store_dword v55, off, s[0:3], 0
	buffer_store_dword v55, off, s[0:3], 0 offset:4
	buffer_store_dword v55, off, s[0:3], 0 offset:8
	;; [unrolled: 1-line block ×3, first 2 shown]
	v_cndmask_b32_e32 v35, v35, v34, vcc
	v_cndmask_b32_e32 v34, v57, v36, vcc
	flat_load_dwordx4 v[34:37], v[34:35]
	v_mov_b32_e32 v42, s18
	v_add_co_u32_e32 v38, vcc, s8, v38
	v_addc_co_u32_e32 v39, vcc, v42, v39, vcc
	v_add_co_u32_e32 v38, vcc, v38, v63
	v_addc_co_u32_e32 v39, vcc, 0, v39, vcc
	v_mov_b32_e32 v43, s11
	v_cmp_gt_i32_e32 vcc, s22, v64
	v_cndmask_b32_e32 v39, v43, v39, vcc
	v_cndmask_b32_e32 v38, v57, v38, vcc
	buffer_store_dword v55, off, s[0:3], 0
	buffer_store_dword v55, off, s[0:3], 0 offset:4
	buffer_store_dword v55, off, s[0:3], 0 offset:8
	;; [unrolled: 1-line block ×3, first 2 shown]
	v_pk_mul_f16 v29, v29, v87
	v_pk_mul_f16 v30, v30, v87
	v_pk_fma_f16 v29, v61, v70, v29
	v_pk_fma_f16 v30, v62, v70, v30
	;; [unrolled: 1-line block ×31, first 2 shown]
	v_fmac_f32_e32 v53, v68, v69
	v_mov_b32_e32 v68, v53
	s_waitcnt vmcnt(0) lgkmcnt(0)
	ds_write_b128 v77, v[34:37]
	flat_load_dwordx4 v[34:37], v[38:39]
	v_mov_b32_e32 v38, s18
	v_add_co_u32_e32 v39, vcc, s8, v40
	v_addc_co_u32_e32 v38, vcc, v38, v41, vcc
	v_add_co_u32_e32 v40, vcc, v39, v63
	v_addc_co_u32_e32 v38, vcc, 0, v38, vcc
	v_cmp_gt_i32_e32 vcc, s22, v66
	v_cndmask_b32_e32 v39, v43, v38, vcc
	v_cndmask_b32_e32 v38, v57, v40, vcc
	buffer_store_dword v55, off, s[0:3], 0
	buffer_store_dword v55, off, s[0:3], 0 offset:4
	buffer_store_dword v55, off, s[0:3], 0 offset:8
	;; [unrolled: 1-line block ×3, first 2 shown]
	v_pk_fma_f16 v43, v4, v71, v2
	s_waitcnt vmcnt(0) lgkmcnt(0)
	ds_write_b128 v65, v[34:37]
	flat_load_dwordx4 v[34:37], v[38:39]
	s_waitcnt vmcnt(0) lgkmcnt(0)
	ds_write_b128 v67, v[34:37]
	s_waitcnt lgkmcnt(0)
	; wave barrier
	ds_read2_b64 v[1:4], v60 offset1:28
	ds_read_b128 v[5:8], v54 offset:32
	ds_read_b128 v[9:12], v54 offset:48
	ds_read2_b64 v[13:16], v60 offset0:56 offset1:84
	ds_read2_b64 v[17:20], v60 offset0:112 offset1:140
	;; [unrolled: 1-line block ×7, first 2 shown]
	s_waitcnt lgkmcnt(8)
	v_mul_u32_u24_sdwa v44, v5, s10 dst_sel:DWORD dst_unused:UNUSED_PAD src0_sel:WORD_0 src1_sel:DWORD
	v_mul_u32_u24_sdwa v5, v5, s10 dst_sel:DWORD dst_unused:UNUSED_PAD src0_sel:WORD_1 src1_sel:DWORD
	v_pk_fma_f16 v1, v1, v44, v42
	v_pk_fma_f16 v2, v2, v44, v43
	v_mul_u32_u24_sdwa v45, v6, s10 dst_sel:DWORD dst_unused:UNUSED_PAD src0_sel:WORD_0 src1_sel:DWORD
	v_pk_fma_f16 v1, v3, v5, v1
	v_pk_fma_f16 v2, v4, v5, v2
	v_mul_u32_u24_sdwa v6, v6, s10 dst_sel:DWORD dst_unused:UNUSED_PAD src0_sel:WORD_1 src1_sel:DWORD
	s_waitcnt lgkmcnt(6)
	v_pk_fma_f16 v1, v13, v45, v1
	v_pk_fma_f16 v2, v14, v45, v2
	v_mul_u32_u24_sdwa v54, v7, s10 dst_sel:DWORD dst_unused:UNUSED_PAD src0_sel:WORD_0 src1_sel:DWORD
	v_pk_fma_f16 v1, v15, v6, v1
	v_pk_fma_f16 v2, v16, v6, v2
	v_mul_u32_u24_sdwa v7, v7, s10 dst_sel:DWORD dst_unused:UNUSED_PAD src0_sel:WORD_1 src1_sel:DWORD
	s_waitcnt lgkmcnt(5)
	v_pk_fma_f16 v1, v17, v54, v1
	v_pk_fma_f16 v2, v18, v54, v2
	v_mul_u32_u24_sdwa v55, v8, s10 dst_sel:DWORD dst_unused:UNUSED_PAD src0_sel:WORD_0 src1_sel:DWORD
	v_pk_fma_f16 v1, v19, v7, v1
	v_pk_fma_f16 v2, v20, v7, v2
	v_mul_u32_u24_sdwa v8, v8, s10 dst_sel:DWORD dst_unused:UNUSED_PAD src0_sel:WORD_1 src1_sel:DWORD
	s_waitcnt lgkmcnt(4)
	v_pk_fma_f16 v1, v21, v55, v1
	v_pk_fma_f16 v2, v22, v55, v2
	v_mul_u32_u24_sdwa v56, v9, s10 dst_sel:DWORD dst_unused:UNUSED_PAD src0_sel:WORD_0 src1_sel:DWORD
	v_pk_fma_f16 v1, v23, v8, v1
	v_pk_fma_f16 v2, v24, v8, v2
	v_mul_u32_u24_sdwa v9, v9, s10 dst_sel:DWORD dst_unused:UNUSED_PAD src0_sel:WORD_1 src1_sel:DWORD
	s_waitcnt lgkmcnt(3)
	v_pk_fma_f16 v1, v25, v56, v1
	v_pk_fma_f16 v2, v26, v56, v2
	v_mul_u32_u24_sdwa v57, v10, s10 dst_sel:DWORD dst_unused:UNUSED_PAD src0_sel:WORD_0 src1_sel:DWORD
	v_pk_fma_f16 v1, v27, v9, v1
	v_pk_fma_f16 v2, v28, v9, v2
	v_mul_u32_u24_sdwa v10, v10, s10 dst_sel:DWORD dst_unused:UNUSED_PAD src0_sel:WORD_1 src1_sel:DWORD
	s_waitcnt lgkmcnt(2)
	v_pk_fma_f16 v1, v29, v57, v1
	v_pk_fma_f16 v2, v30, v57, v2
	v_mul_u32_u24_sdwa v58, v11, s10 dst_sel:DWORD dst_unused:UNUSED_PAD src0_sel:WORD_0 src1_sel:DWORD
	v_pk_fma_f16 v1, v31, v10, v1
	v_pk_fma_f16 v2, v32, v10, v2
	v_mul_u32_u24_sdwa v11, v11, s10 dst_sel:DWORD dst_unused:UNUSED_PAD src0_sel:WORD_1 src1_sel:DWORD
	s_waitcnt lgkmcnt(1)
	v_pk_fma_f16 v1, v34, v58, v1
	v_pk_fma_f16 v2, v35, v58, v2
	v_mul_u32_u24_sdwa v60, v12, s10 dst_sel:DWORD dst_unused:UNUSED_PAD src0_sel:WORD_0 src1_sel:DWORD
	v_pk_fma_f16 v1, v36, v11, v1
	v_pk_fma_f16 v2, v37, v11, v2
	v_mul_u32_u24_sdwa v12, v12, s10 dst_sel:DWORD dst_unused:UNUSED_PAD src0_sel:WORD_1 src1_sel:DWORD
	s_waitcnt lgkmcnt(0)
	v_pk_fma_f16 v1, v38, v60, v1
	v_pk_fma_f16 v2, v39, v60, v2
	;; [unrolled: 1-line block ×4, first 2 shown]
	; wave barrier
.LBB68_42:
	v_cmp_lt_i32_e32 vcc, v48, v47
	v_cndmask_b32_e32 v1, v46, v48, vcc
	v_lshlrev_b32_e32 v1, 2, v1
	ds_bpermute_b32 v1, v1, v68
	v_cmp_lt_i32_e32 vcc, v49, v47
	v_cndmask_b32_e32 v2, v46, v49, vcc
	v_lshlrev_b32_e32 v2, 2, v2
	v_cmp_lt_i32_e32 vcc, v50, v47
	s_waitcnt lgkmcnt(0)
	v_add_f32_e32 v1, v68, v1
	ds_bpermute_b32 v2, v2, v1
	v_cndmask_b32_e32 v3, v46, v50, vcc
	v_lshlrev_b32_e32 v3, 2, v3
	v_cmp_lt_i32_e32 vcc, v51, v47
	s_cmp_eq_u64 s[20:21], 0
	s_waitcnt lgkmcnt(0)
	v_add_f32_e32 v1, v1, v2
	ds_bpermute_b32 v2, v3, v1
	v_cndmask_b32_e32 v3, v46, v51, vcc
	v_lshlrev_b32_e32 v3, 2, v3
	v_cmp_lt_i32_e32 vcc, v52, v47
	s_cselect_b64 s[10:11], -1, 0
	s_waitcnt lgkmcnt(0)
	v_add_f32_e32 v1, v1, v2
	ds_bpermute_b32 v2, v3, v1
	v_cndmask_b32_e32 v3, v46, v52, vcc
	v_lshlrev_b32_e32 v3, 2, v3
	s_cmp_lg_u32 s9, 0
	s_cselect_b64 s[12:13], -1, 0
	s_waitcnt lgkmcnt(0)
	v_add_f32_e32 v1, v1, v2
	ds_bpermute_b32 v2, v3, v1
	s_or_b64 s[10:11], s[12:13], s[10:11]
	s_and_b64 vcc, exec, s[10:11]
	s_waitcnt lgkmcnt(0)
	v_add_f32_e32 v34, v1, v2
	s_cbranch_vccnz .LBB68_44
; %bb.43:
	s_lshl_b64 s[10:11], s[34:35], 2
	s_add_u32 s10, s20, s10
	s_addc_u32 s11, s21, s11
	v_mov_b32_e32 v1, 0
	global_load_dword v1, v1, s[10:11]
	v_max_f32_e32 v2, v33, v33
	s_mov_b32 s8, 0x3fb8aa3b
	s_mov_b32 s10, 0xc2ce8ed0
	s_waitcnt vmcnt(0)
	v_max_f32_e32 v3, v1, v1
	v_max_f32_e32 v2, v2, v3
	v_sub_f32_e32 v3, v33, v2
	v_sub_f32_e32 v1, v1, v2
	v_mul_f32_e32 v4, 0x3fb8aa3b, v3
	v_mul_f32_e32 v5, 0x3fb8aa3b, v1
	v_fma_f32 v6, v3, s8, -v4
	v_rndne_f32_e32 v7, v4
	v_fma_f32 v8, v1, s8, -v5
	v_rndne_f32_e32 v9, v5
	v_fmac_f32_e32 v6, 0x32a5705f, v3
	v_sub_f32_e32 v4, v4, v7
	v_fmac_f32_e32 v8, 0x32a5705f, v1
	v_sub_f32_e32 v5, v5, v9
	v_add_f32_e32 v4, v4, v6
	v_cvt_i32_f32_e32 v7, v7
	v_add_f32_e32 v5, v5, v8
	v_exp_f32_e32 v4, v4
	v_cvt_i32_f32_e32 v9, v9
	v_exp_f32_e32 v5, v5
	v_cmp_ngt_f32_e32 vcc, s10, v3
	v_ldexp_f32 v4, v4, v7
	s_mov_b32 s8, 0x42b17218
	v_ldexp_f32 v5, v5, v9
	v_cndmask_b32_e32 v4, 0, v4, vcc
	v_cmp_ngt_f32_e32 vcc, s10, v1
	v_mov_b32_e32 v6, 0x7f800000
	v_cndmask_b32_e32 v5, 0, v5, vcc
	v_cmp_nlt_f32_e32 vcc, s8, v3
	v_cndmask_b32_e32 v3, v6, v4, vcc
	v_cvt_f16_f32_e32 v4, v3
	v_cmp_nlt_f32_e32 vcc, s8, v1
	v_cndmask_b32_e32 v1, v6, v5, vcc
	v_fmac_f32_e32 v1, v34, v3
	v_mov_b32_e32 v34, v1
	v_mul_u32_u24_e32 v1, 0x10001, v4
	v_pk_mul_f16 v61, v61, v1
	v_pk_mul_f16 v62, v62, v1
	v_mov_b32_e32 v33, v2
.LBB68_44:
	v_cmp_gt_i32_e32 vcc, s30, v59
	s_and_saveexec_b64 s[10:11], vcc
	s_cbranch_execz .LBB68_49
; %bb.45:
	s_mul_i32 s33, s33, s30
	v_add_u32_e32 v1, s33, v59
	s_load_dword s4, s[4:5], 0xd4
	v_mul_lo_u32 v1, v1, s31
	s_waitcnt lgkmcnt(0)
	s_cmp_lg_u32 s4, 1
	v_add_u32_e32 v1, s34, v1
	v_mul_lo_u32 v1, s4, v1
	s_cselect_b64 s[4:5], -1, 0
	v_add_u32_e32 v1, s9, v1
	s_and_saveexec_b64 s[8:9], s[6:7]
	s_cbranch_execz .LBB68_47
; %bb.46:
	v_div_scale_f32 v2, s[6:7], v34, v34, 1.0
	v_div_scale_f32 v3, vcc, 1.0, v34, 1.0
	s_movk_i32 s6, 0x70
	v_cvt_f32_f16_e32 v8, v62
	v_cvt_f32_f16_sdwa v9, v61 dst_sel:DWORD dst_unused:UNUSED_PAD src0_sel:WORD_1
	v_cvt_f32_f16_e32 v10, v61
	v_mov_b32_e32 v11, s25
	v_rcp_f32_e32 v4, v2
	v_fma_f32 v5, -v2, v4, 1.0
	v_fmac_f32_e32 v4, v5, v4
	v_mul_f32_e32 v5, v3, v4
	v_fma_f32 v6, -v2, v5, v3
	v_fmac_f32_e32 v5, v6, v4
	v_fma_f32 v2, -v2, v5, v3
	v_div_fmas_f32 v4, v2, v4, v5
	v_mul_lo_u32 v2, v1, s6
	v_cvt_f32_f16_sdwa v5, v62 dst_sel:DWORD dst_unused:UNUSED_PAD src0_sel:WORD_1
	v_mov_b32_e32 v3, 0
	v_lshl_add_u32 v2, v0, 2, v2
	v_lshlrev_b64 v[6:7], 2, v[2:3]
	v_add_co_u32_e32 v6, vcc, s24, v6
	v_addc_co_u32_e32 v7, vcc, v11, v7, vcc
	v_div_fixup_f32 v2, v4, v34, 1.0
	v_cndmask_b32_e64 v2, v2, 1.0, s[4:5]
	v_mul_f32_e32 v5, v2, v5
	v_mul_f32_e32 v4, v2, v8
	v_mul_f32_e32 v3, v2, v9
	v_mul_f32_e32 v2, v2, v10
	global_store_dwordx4 v[6:7], v[2:5], off
.LBB68_47:
	s_or_b64 exec, exec, s[8:9]
	v_cmp_eq_u32_e32 vcc, 0, v0
	s_and_b64 s[4:5], vcc, s[4:5]
	s_and_b64 exec, exec, s[4:5]
	s_cbranch_execz .LBB68_49
; %bb.48:
	v_ashrrev_i32_e32 v2, 31, v1
	v_lshlrev_b64 v[0:1], 3, v[1:2]
	v_mov_b32_e32 v2, s27
	v_add_co_u32_e32 v0, vcc, s26, v0
	v_addc_co_u32_e32 v1, vcc, v2, v1, vcc
	global_store_dwordx2 v[0:1], v[33:34], off
.LBB68_49:
	s_endpgm
	.section	.rodata,"a",@progbits
	.p2align	6, 0x0
	.amdhsa_kernel _ZL15flash_attn_tileILi112ELi112ELi2ELi1ELb0EEvPKcS1_S1_S1_S1_PKiPfP15HIP_vector_typeIfLj2EEffffjfiS5_IjLj3EEiiiiiiiiiiiliiliiiiil
		.amdhsa_group_segment_fixed_size 4736
		.amdhsa_private_segment_fixed_size 32
		.amdhsa_kernarg_size 464
		.amdhsa_user_sgpr_count 8
		.amdhsa_user_sgpr_private_segment_buffer 1
		.amdhsa_user_sgpr_dispatch_ptr 0
		.amdhsa_user_sgpr_queue_ptr 0
		.amdhsa_user_sgpr_kernarg_segment_ptr 1
		.amdhsa_user_sgpr_dispatch_id 0
		.amdhsa_user_sgpr_flat_scratch_init 1
		.amdhsa_user_sgpr_private_segment_size 0
		.amdhsa_uses_dynamic_stack 0
		.amdhsa_system_sgpr_private_segment_wavefront_offset 1
		.amdhsa_system_sgpr_workgroup_id_x 1
		.amdhsa_system_sgpr_workgroup_id_y 1
		.amdhsa_system_sgpr_workgroup_id_z 1
		.amdhsa_system_sgpr_workgroup_info 0
		.amdhsa_system_vgpr_workitem_id 1
		.amdhsa_next_free_vgpr 113
		.amdhsa_next_free_sgpr 96
		.amdhsa_reserve_vcc 1
		.amdhsa_reserve_flat_scratch 1
		.amdhsa_float_round_mode_32 0
		.amdhsa_float_round_mode_16_64 0
		.amdhsa_float_denorm_mode_32 3
		.amdhsa_float_denorm_mode_16_64 3
		.amdhsa_dx10_clamp 1
		.amdhsa_ieee_mode 1
		.amdhsa_fp16_overflow 0
		.amdhsa_exception_fp_ieee_invalid_op 0
		.amdhsa_exception_fp_denorm_src 0
		.amdhsa_exception_fp_ieee_div_zero 0
		.amdhsa_exception_fp_ieee_overflow 0
		.amdhsa_exception_fp_ieee_underflow 0
		.amdhsa_exception_fp_ieee_inexact 0
		.amdhsa_exception_int_div_zero 0
	.end_amdhsa_kernel
	.section	.text._ZL15flash_attn_tileILi112ELi112ELi2ELi1ELb0EEvPKcS1_S1_S1_S1_PKiPfP15HIP_vector_typeIfLj2EEffffjfiS5_IjLj3EEiiiiiiiiiiiliiliiiiil,"axG",@progbits,_ZL15flash_attn_tileILi112ELi112ELi2ELi1ELb0EEvPKcS1_S1_S1_S1_PKiPfP15HIP_vector_typeIfLj2EEffffjfiS5_IjLj3EEiiiiiiiiiiiliiliiiiil,comdat
.Lfunc_end68:
	.size	_ZL15flash_attn_tileILi112ELi112ELi2ELi1ELb0EEvPKcS1_S1_S1_S1_PKiPfP15HIP_vector_typeIfLj2EEffffjfiS5_IjLj3EEiiiiiiiiiiiliiliiiiil, .Lfunc_end68-_ZL15flash_attn_tileILi112ELi112ELi2ELi1ELb0EEvPKcS1_S1_S1_S1_PKiPfP15HIP_vector_typeIfLj2EEffffjfiS5_IjLj3EEiiiiiiiiiiiliiliiiiil
                                        ; -- End function
	.set _ZL15flash_attn_tileILi112ELi112ELi2ELi1ELb0EEvPKcS1_S1_S1_S1_PKiPfP15HIP_vector_typeIfLj2EEffffjfiS5_IjLj3EEiiiiiiiiiiiliiliiiiil.num_vgpr, 113
	.set _ZL15flash_attn_tileILi112ELi112ELi2ELi1ELb0EEvPKcS1_S1_S1_S1_PKiPfP15HIP_vector_typeIfLj2EEffffjfiS5_IjLj3EEiiiiiiiiiiiliiliiiiil.num_agpr, 0
	.set _ZL15flash_attn_tileILi112ELi112ELi2ELi1ELb0EEvPKcS1_S1_S1_S1_PKiPfP15HIP_vector_typeIfLj2EEffffjfiS5_IjLj3EEiiiiiiiiiiiliiliiiiil.numbered_sgpr, 55
	.set _ZL15flash_attn_tileILi112ELi112ELi2ELi1ELb0EEvPKcS1_S1_S1_S1_PKiPfP15HIP_vector_typeIfLj2EEffffjfiS5_IjLj3EEiiiiiiiiiiiliiliiiiil.num_named_barrier, 0
	.set _ZL15flash_attn_tileILi112ELi112ELi2ELi1ELb0EEvPKcS1_S1_S1_S1_PKiPfP15HIP_vector_typeIfLj2EEffffjfiS5_IjLj3EEiiiiiiiiiiiliiliiiiil.private_seg_size, 32
	.set _ZL15flash_attn_tileILi112ELi112ELi2ELi1ELb0EEvPKcS1_S1_S1_S1_PKiPfP15HIP_vector_typeIfLj2EEffffjfiS5_IjLj3EEiiiiiiiiiiiliiliiiiil.uses_vcc, 1
	.set _ZL15flash_attn_tileILi112ELi112ELi2ELi1ELb0EEvPKcS1_S1_S1_S1_PKiPfP15HIP_vector_typeIfLj2EEffffjfiS5_IjLj3EEiiiiiiiiiiiliiliiiiil.uses_flat_scratch, 1
	.set _ZL15flash_attn_tileILi112ELi112ELi2ELi1ELb0EEvPKcS1_S1_S1_S1_PKiPfP15HIP_vector_typeIfLj2EEffffjfiS5_IjLj3EEiiiiiiiiiiiliiliiiiil.has_dyn_sized_stack, 0
	.set _ZL15flash_attn_tileILi112ELi112ELi2ELi1ELb0EEvPKcS1_S1_S1_S1_PKiPfP15HIP_vector_typeIfLj2EEffffjfiS5_IjLj3EEiiiiiiiiiiiliiliiiiil.has_recursion, 0
	.set _ZL15flash_attn_tileILi112ELi112ELi2ELi1ELb0EEvPKcS1_S1_S1_S1_PKiPfP15HIP_vector_typeIfLj2EEffffjfiS5_IjLj3EEiiiiiiiiiiiliiliiiiil.has_indirect_call, 0
	.section	.AMDGPU.csdata,"",@progbits
; Kernel info:
; codeLenInByte = 10596
; TotalNumSgprs: 61
; NumVgprs: 113
; ScratchSize: 32
; MemoryBound: 0
; FloatMode: 240
; IeeeMode: 1
; LDSByteSize: 4736 bytes/workgroup (compile time only)
; SGPRBlocks: 12
; VGPRBlocks: 28
; NumSGPRsForWavesPerEU: 102
; NumVGPRsForWavesPerEU: 113
; Occupancy: 2
; WaveLimiterHint : 1
; COMPUTE_PGM_RSRC2:SCRATCH_EN: 1
; COMPUTE_PGM_RSRC2:USER_SGPR: 8
; COMPUTE_PGM_RSRC2:TRAP_HANDLER: 0
; COMPUTE_PGM_RSRC2:TGID_X_EN: 1
; COMPUTE_PGM_RSRC2:TGID_Y_EN: 1
; COMPUTE_PGM_RSRC2:TGID_Z_EN: 1
; COMPUTE_PGM_RSRC2:TIDIG_COMP_CNT: 1
	.section	.text._ZL33flash_attn_stream_k_fixup_uniformILi112ELi2ELi1EEvPfPK15HIP_vector_typeIfLj2EEiiiiiiS1_IjLj3EES5_S5_,"axG",@progbits,_ZL33flash_attn_stream_k_fixup_uniformILi112ELi2ELi1EEvPfPK15HIP_vector_typeIfLj2EEiiiiiiS1_IjLj3EES5_S5_,comdat
	.globl	_ZL33flash_attn_stream_k_fixup_uniformILi112ELi2ELi1EEvPfPK15HIP_vector_typeIfLj2EEiiiiiiS1_IjLj3EES5_S5_ ; -- Begin function _ZL33flash_attn_stream_k_fixup_uniformILi112ELi2ELi1EEvPfPK15HIP_vector_typeIfLj2EEiiiiiiS1_IjLj3EES5_S5_
	.p2align	8
	.type	_ZL33flash_attn_stream_k_fixup_uniformILi112ELi2ELi1EEvPfPK15HIP_vector_typeIfLj2EEiiiiiiS1_IjLj3EES5_S5_,@function
_ZL33flash_attn_stream_k_fixup_uniformILi112ELi2ELi1EEvPfPK15HIP_vector_typeIfLj2EEiiiiiiS1_IjLj3EES5_S5_: ; @_ZL33flash_attn_stream_k_fixup_uniformILi112ELi2ELi1EEvPfPK15HIP_vector_typeIfLj2EEiiiiiiS1_IjLj3EES5_S5_
; %bb.0:
	s_load_dwordx8 s[12:19], s[4:5], 0x1c
	s_load_dwordx2 s[10:11], s[4:5], 0x10
	s_load_dwordx4 s[0:3], s[4:5], 0x3c
	s_waitcnt lgkmcnt(0)
	s_mul_hi_u32 s9, s15, s6
	s_add_i32 s9, s6, s9
	s_lshr_b32 s9, s9, s16
	s_mul_i32 s15, s9, s17
	s_sub_i32 s16, s6, s15
	s_mul_hi_u32 s15, s16, s18
	s_add_i32 s15, s16, s15
	s_lshr_b32 s15, s15, s19
	s_mul_i32 s0, s15, s0
	s_sub_i32 s0, s16, s0
	;; [unrolled: 5-line block ×3, first 2 shown]
	s_lshl_b32 s0, s16, 1
	s_add_i32 s0, s0, s7
	s_cmp_lt_i32 s0, s10
	s_cselect_b64 s[0:1], -1, 0
	s_add_i32 s17, s17, s8
	s_cmp_lt_i32 s17, s13
	s_cselect_b64 s[2:3], -1, 0
	s_and_b64 s[0:1], s[0:1], s[2:3]
	s_andn2_b64 vcc, exec, s[0:1]
	s_cbranch_vccnz .LBB69_6
; %bb.1:
	s_load_dwordx4 s[0:3], s[4:5], 0x0
	s_mul_i32 s4, s9, s10
	s_mul_i32 s15, s15, s13
	s_add_i32 s4, s4, s7
	s_mul_i32 s4, s4, s11
	s_add_i32 s9, s17, s15
	;; [unrolled: 2-line block ×3, first 2 shown]
	s_mulk_i32 s5, 0xe0
	s_mulk_i32 s4, 0x70
	s_add_i32 s4, s4, s5
	v_add_u32_e32 v1, s4, v0
	v_ashrrev_i32_e32 v2, 31, v1
	v_lshlrev_b64 v[1:2], 2, v[1:2]
	s_waitcnt lgkmcnt(0)
	v_mov_b32_e32 v3, s1
	v_add_co_u32_e32 v1, vcc, s0, v1
	v_addc_co_u32_e32 v2, vcc, v3, v2, vcc
	global_load_dword v8, v[1:2], off
	s_add_i32 s4, s7, s8
	s_mul_i32 s7, s14, s6
	s_add_i32 s5, s7, s14
	s_lshl_b32 s0, s5, 1
	s_add_i32 s0, s4, s0
	s_add_i32 s0, s0, -2
	s_ashr_i32 s1, s0, 31
	s_lshl_b64 s[0:1], s[0:1], 3
	s_add_u32 s0, s2, s0
	s_addc_u32 s1, s3, s1
	s_load_dword s10, s[0:1], 0x4
	s_add_i32 s8, s5, -2
	s_cmp_lt_i32 s8, s7
	s_cbranch_scc1 .LBB69_4
; %bb.2:
	s_lshl_b32 s8, s12, 3
	s_ashr_i32 s9, s8, 31
	s_lshl_b64 s[8:9], s[8:9], 2
	s_add_u32 s8, s2, s8
	s_addc_u32 s11, s3, s9
	s_load_dword s0, s[0:1], 0x0
	s_add_i32 s6, s6, 1
	s_add_i32 s9, s5, -1
	s_mul_i32 s5, s14, s6
	s_mul_i32 s1, s4, 0x70
	s_lshl_b32 s6, s5, 1
	s_mulk_i32 s5, 0xe0
	s_add_i32 s4, s4, s6
	s_lshl_b32 s6, s12, 1
	s_add_i32 s1, s1, s5
	s_add_i32 s4, s4, s6
	v_add_u32_e32 v0, s1, v0
	s_add_i32 s4, s4, -4
	v_add_u32_e32 v3, 0xfffffe40, v0
	s_waitcnt lgkmcnt(0)
	v_mov_b32_e32 v7, s10
	v_mov_b32_e32 v6, s0
	;; [unrolled: 1-line block ×3, first 2 shown]
	s_mov_b32 s6, 0x3fb8aa3b
	s_mov_b32 s10, 0xc2ce8ed0
	;; [unrolled: 1-line block ×3, first 2 shown]
	v_mov_b32_e32 v5, 0x7f800000
	s_mov_b32 s12, 0xc1a00000
.LBB69_3:                               ; =>This Inner Loop Header: Depth=1
	v_ashrrev_i32_e32 v4, 31, v3
	v_lshlrev_b64 v[9:10], 2, v[3:4]
	s_ashr_i32 s5, s4, 31
	v_add_co_u32_e32 v9, vcc, s8, v9
	v_addc_co_u32_e32 v10, vcc, v0, v10, vcc
	global_load_dword v4, v[9:10], off
	s_lshl_b64 s[0:1], s[4:5], 3
	s_add_u32 s0, s2, s0
	s_addc_u32 s1, s3, s1
	s_load_dwordx2 s[14:15], s[0:1], 0x0
	s_waitcnt vmcnt(1)
	v_mov_b32_e32 v9, v8
	v_max_f32_e32 v8, v6, v6
	v_mov_b32_e32 v10, v7
	s_add_i32 s9, s9, -1
	s_waitcnt lgkmcnt(0)
	v_max_f32_e64 v7, s14, s14
	v_max_f32_e32 v7, v8, v7
	v_sub_f32_e32 v11, s14, v7
	v_sub_f32_e32 v8, v6, v7
	v_mul_f32_e32 v12, 0x3fb8aa3b, v11
	v_mov_b32_e32 v6, v7
	v_mul_f32_e32 v7, 0x3fb8aa3b, v8
	v_fma_f32 v15, v11, s6, -v12
	v_rndne_f32_e32 v16, v12
	v_fma_f32 v13, v8, s6, -v7
	v_rndne_f32_e32 v14, v7
	v_fmac_f32_e32 v15, 0x32a5705f, v11
	v_sub_f32_e32 v12, v12, v16
	v_fmac_f32_e32 v13, 0x32a5705f, v8
	v_sub_f32_e32 v7, v7, v14
	v_add_f32_e32 v12, v12, v15
	v_cvt_i32_f32_e32 v16, v16
	v_add_f32_e32 v7, v7, v13
	v_exp_f32_e32 v12, v12
	v_cvt_i32_f32_e32 v14, v14
	v_exp_f32_e32 v7, v7
	v_cmp_ngt_f32_e32 vcc, s10, v11
	v_ldexp_f32 v12, v12, v16
	v_cmp_ngt_f32_e64 s[0:1], s10, v8
	v_ldexp_f32 v7, v7, v14
	v_cndmask_b32_e32 v12, 0, v12, vcc
	v_cmp_nlt_f32_e32 vcc, s11, v11
	v_cndmask_b32_e64 v7, 0, v7, s[0:1]
	v_cmp_nlt_f32_e64 s[0:1], s11, v8
	v_cndmask_b32_e32 v12, v5, v12, vcc
	v_cmp_le_f32_e32 vcc, s12, v11
	v_cndmask_b32_e64 v7, v5, v7, s[0:1]
	v_cmp_le_f32_e64 s[0:1], s12, v8
	v_cndmask_b32_e32 v8, 0, v12, vcc
	s_add_i32 s4, s4, -2
	v_cndmask_b32_e64 v11, 0, v7, s[0:1]
	v_mul_f32_e32 v7, s15, v8
	v_add_u32_e32 v3, 0xffffff20, v3
	s_cmp_le_i32 s9, s7
	v_fmac_f32_e32 v7, v10, v11
	s_waitcnt vmcnt(0)
	v_mul_f32_e32 v8, v4, v8
	v_fmac_f32_e32 v8, v9, v11
	s_cbranch_scc0 .LBB69_3
	s_branch .LBB69_5
.LBB69_4:
	s_waitcnt lgkmcnt(0)
	v_mov_b32_e32 v7, s10
.LBB69_5:
	s_waitcnt vmcnt(0)
	v_div_scale_f32 v0, s[0:1], v7, v7, v8
	v_div_scale_f32 v3, vcc, v8, v7, v8
	v_rcp_f32_e32 v4, v0
	v_fma_f32 v5, -v0, v4, 1.0
	v_fmac_f32_e32 v4, v5, v4
	v_mul_f32_e32 v5, v3, v4
	v_fma_f32 v6, -v0, v5, v3
	v_fmac_f32_e32 v5, v6, v4
	v_fma_f32 v0, -v0, v5, v3
	v_div_fmas_f32 v0, v0, v4, v5
	v_div_fixup_f32 v0, v0, v7, v8
	global_store_dword v[1:2], v0, off
.LBB69_6:
	s_endpgm
	.section	.rodata,"a",@progbits
	.p2align	6, 0x0
	.amdhsa_kernel _ZL33flash_attn_stream_k_fixup_uniformILi112ELi2ELi1EEvPfPK15HIP_vector_typeIfLj2EEiiiiiiS1_IjLj3EES5_S5_
		.amdhsa_group_segment_fixed_size 0
		.amdhsa_private_segment_fixed_size 0
		.amdhsa_kernarg_size 76
		.amdhsa_user_sgpr_count 6
		.amdhsa_user_sgpr_private_segment_buffer 1
		.amdhsa_user_sgpr_dispatch_ptr 0
		.amdhsa_user_sgpr_queue_ptr 0
		.amdhsa_user_sgpr_kernarg_segment_ptr 1
		.amdhsa_user_sgpr_dispatch_id 0
		.amdhsa_user_sgpr_flat_scratch_init 0
		.amdhsa_user_sgpr_private_segment_size 0
		.amdhsa_uses_dynamic_stack 0
		.amdhsa_system_sgpr_private_segment_wavefront_offset 0
		.amdhsa_system_sgpr_workgroup_id_x 1
		.amdhsa_system_sgpr_workgroup_id_y 1
		.amdhsa_system_sgpr_workgroup_id_z 1
		.amdhsa_system_sgpr_workgroup_info 0
		.amdhsa_system_vgpr_workitem_id 0
		.amdhsa_next_free_vgpr 17
		.amdhsa_next_free_sgpr 20
		.amdhsa_reserve_vcc 1
		.amdhsa_reserve_flat_scratch 0
		.amdhsa_float_round_mode_32 0
		.amdhsa_float_round_mode_16_64 0
		.amdhsa_float_denorm_mode_32 3
		.amdhsa_float_denorm_mode_16_64 3
		.amdhsa_dx10_clamp 1
		.amdhsa_ieee_mode 1
		.amdhsa_fp16_overflow 0
		.amdhsa_exception_fp_ieee_invalid_op 0
		.amdhsa_exception_fp_denorm_src 0
		.amdhsa_exception_fp_ieee_div_zero 0
		.amdhsa_exception_fp_ieee_overflow 0
		.amdhsa_exception_fp_ieee_underflow 0
		.amdhsa_exception_fp_ieee_inexact 0
		.amdhsa_exception_int_div_zero 0
	.end_amdhsa_kernel
	.section	.text._ZL33flash_attn_stream_k_fixup_uniformILi112ELi2ELi1EEvPfPK15HIP_vector_typeIfLj2EEiiiiiiS1_IjLj3EES5_S5_,"axG",@progbits,_ZL33flash_attn_stream_k_fixup_uniformILi112ELi2ELi1EEvPfPK15HIP_vector_typeIfLj2EEiiiiiiS1_IjLj3EES5_S5_,comdat
.Lfunc_end69:
	.size	_ZL33flash_attn_stream_k_fixup_uniformILi112ELi2ELi1EEvPfPK15HIP_vector_typeIfLj2EEiiiiiiS1_IjLj3EES5_S5_, .Lfunc_end69-_ZL33flash_attn_stream_k_fixup_uniformILi112ELi2ELi1EEvPfPK15HIP_vector_typeIfLj2EEiiiiiiS1_IjLj3EES5_S5_
                                        ; -- End function
	.set _ZL33flash_attn_stream_k_fixup_uniformILi112ELi2ELi1EEvPfPK15HIP_vector_typeIfLj2EEiiiiiiS1_IjLj3EES5_S5_.num_vgpr, 17
	.set _ZL33flash_attn_stream_k_fixup_uniformILi112ELi2ELi1EEvPfPK15HIP_vector_typeIfLj2EEiiiiiiS1_IjLj3EES5_S5_.num_agpr, 0
	.set _ZL33flash_attn_stream_k_fixup_uniformILi112ELi2ELi1EEvPfPK15HIP_vector_typeIfLj2EEiiiiiiS1_IjLj3EES5_S5_.numbered_sgpr, 20
	.set _ZL33flash_attn_stream_k_fixup_uniformILi112ELi2ELi1EEvPfPK15HIP_vector_typeIfLj2EEiiiiiiS1_IjLj3EES5_S5_.num_named_barrier, 0
	.set _ZL33flash_attn_stream_k_fixup_uniformILi112ELi2ELi1EEvPfPK15HIP_vector_typeIfLj2EEiiiiiiS1_IjLj3EES5_S5_.private_seg_size, 0
	.set _ZL33flash_attn_stream_k_fixup_uniformILi112ELi2ELi1EEvPfPK15HIP_vector_typeIfLj2EEiiiiiiS1_IjLj3EES5_S5_.uses_vcc, 1
	.set _ZL33flash_attn_stream_k_fixup_uniformILi112ELi2ELi1EEvPfPK15HIP_vector_typeIfLj2EEiiiiiiS1_IjLj3EES5_S5_.uses_flat_scratch, 0
	.set _ZL33flash_attn_stream_k_fixup_uniformILi112ELi2ELi1EEvPfPK15HIP_vector_typeIfLj2EEiiiiiiS1_IjLj3EES5_S5_.has_dyn_sized_stack, 0
	.set _ZL33flash_attn_stream_k_fixup_uniformILi112ELi2ELi1EEvPfPK15HIP_vector_typeIfLj2EEiiiiiiS1_IjLj3EES5_S5_.has_recursion, 0
	.set _ZL33flash_attn_stream_k_fixup_uniformILi112ELi2ELi1EEvPfPK15HIP_vector_typeIfLj2EEiiiiiiS1_IjLj3EES5_S5_.has_indirect_call, 0
	.section	.AMDGPU.csdata,"",@progbits
; Kernel info:
; codeLenInByte = 836
; TotalNumSgprs: 24
; NumVgprs: 17
; ScratchSize: 0
; MemoryBound: 0
; FloatMode: 240
; IeeeMode: 1
; LDSByteSize: 0 bytes/workgroup (compile time only)
; SGPRBlocks: 2
; VGPRBlocks: 4
; NumSGPRsForWavesPerEU: 24
; NumVGPRsForWavesPerEU: 17
; Occupancy: 10
; WaveLimiterHint : 0
; COMPUTE_PGM_RSRC2:SCRATCH_EN: 0
; COMPUTE_PGM_RSRC2:USER_SGPR: 6
; COMPUTE_PGM_RSRC2:TRAP_HANDLER: 0
; COMPUTE_PGM_RSRC2:TGID_X_EN: 1
; COMPUTE_PGM_RSRC2:TGID_Y_EN: 1
; COMPUTE_PGM_RSRC2:TGID_Z_EN: 1
; COMPUTE_PGM_RSRC2:TIDIG_COMP_CNT: 0
	.section	.text._ZL33flash_attn_stream_k_fixup_generalILi112ELi2ELi1EEvPfPK15HIP_vector_typeIfLj2EEiiiiS1_IjLj3EES5_S5_S5_,"axG",@progbits,_ZL33flash_attn_stream_k_fixup_generalILi112ELi2ELi1EEvPfPK15HIP_vector_typeIfLj2EEiiiiS1_IjLj3EES5_S5_S5_,comdat
	.globl	_ZL33flash_attn_stream_k_fixup_generalILi112ELi2ELi1EEvPfPK15HIP_vector_typeIfLj2EEiiiiS1_IjLj3EES5_S5_S5_ ; -- Begin function _ZL33flash_attn_stream_k_fixup_generalILi112ELi2ELi1EEvPfPK15HIP_vector_typeIfLj2EEiiiiS1_IjLj3EES5_S5_S5_
	.p2align	8
	.type	_ZL33flash_attn_stream_k_fixup_generalILi112ELi2ELi1EEvPfPK15HIP_vector_typeIfLj2EEiiiiS1_IjLj3EES5_S5_S5_,@function
_ZL33flash_attn_stream_k_fixup_generalILi112ELi2ELi1EEvPfPK15HIP_vector_typeIfLj2EEiiiiS1_IjLj3EES5_S5_S5_: ; @_ZL33flash_attn_stream_k_fixup_generalILi112ELi2ELi1EEvPfPK15HIP_vector_typeIfLj2EEiiiiS1_IjLj3EES5_S5_S5_
; %bb.0:
	s_load_dwordx4 s[0:3], s[4:5], 0x10
	s_load_dword s22, s[4:5], 0x50
	s_mov_b32 s12, 0
	s_waitcnt lgkmcnt(0)
	s_mul_hi_i32 s13, s3, s6
	s_cmp_lg_u64 s[12:13], 0
	s_mul_i32 s9, s3, s6
	s_cbranch_scc0 .LBB70_20
; %bb.1:
	s_add_u32 s10, s22, 0
	s_addc_u32 s11, 0, 0
	s_xor_b64 s[10:11], s[10:11], 0
	v_cvt_f32_u32_e32 v1, s10
	v_cvt_f32_u32_e32 v2, s11
	s_sub_u32 s12, 0, s10
	s_subb_u32 s18, 0, s11
	v_madmk_f32 v1, v2, 0x4f800000, v1
	v_rcp_f32_e32 v1, v1
	v_mul_f32_e32 v1, 0x5f7ffffc, v1
	v_mul_f32_e32 v2, 0x2f800000, v1
	v_trunc_f32_e32 v2, v2
	v_madmk_f32 v1, v2, 0xcf800000, v1
	v_cvt_u32_f32_e32 v2, v2
	v_cvt_u32_f32_e32 v1, v1
	v_readfirstlane_b32 s19, v2
	v_readfirstlane_b32 s14, v1
	s_mul_i32 s15, s12, s19
	s_mul_hi_u32 s21, s12, s14
	s_mul_i32 s20, s18, s14
	s_add_i32 s15, s21, s15
	s_add_i32 s15, s15, s20
	s_mul_i32 s23, s12, s14
	s_mul_i32 s21, s14, s15
	s_mul_hi_u32 s24, s14, s23
	s_mul_hi_u32 s20, s14, s15
	s_add_u32 s21, s24, s21
	s_addc_u32 s20, 0, s20
	s_mul_hi_u32 s25, s19, s23
	s_mul_i32 s23, s19, s23
	s_add_u32 s21, s21, s23
	s_mul_hi_u32 s24, s19, s15
	s_addc_u32 s20, s20, s25
	s_addc_u32 s21, s24, 0
	s_mul_i32 s15, s19, s15
	s_add_u32 s15, s20, s15
	s_addc_u32 s20, 0, s21
	s_add_u32 s21, s14, s15
	s_cselect_b64 s[14:15], -1, 0
	s_cmp_lg_u64 s[14:15], 0
	s_addc_u32 s19, s19, s20
	s_mul_i32 s14, s12, s19
	s_mul_hi_u32 s15, s12, s21
	s_add_i32 s14, s15, s14
	s_mul_i32 s18, s18, s21
	s_add_i32 s14, s14, s18
	s_mul_i32 s12, s12, s21
	s_mul_hi_u32 s18, s19, s12
	s_mul_i32 s20, s19, s12
	s_mul_i32 s24, s21, s14
	s_mul_hi_u32 s12, s21, s12
	s_mul_hi_u32 s23, s21, s14
	s_add_u32 s12, s12, s24
	s_addc_u32 s23, 0, s23
	s_add_u32 s12, s12, s20
	s_mul_hi_u32 s15, s19, s14
	s_addc_u32 s12, s23, s18
	s_addc_u32 s15, s15, 0
	s_mul_i32 s14, s19, s14
	s_add_u32 s12, s12, s14
	s_addc_u32 s18, 0, s15
	s_add_u32 s20, s21, s12
	s_cselect_b64 s[14:15], -1, 0
	s_cmp_lg_u64 s[14:15], 0
	s_addc_u32 s18, s19, s18
	s_ashr_i32 s14, s13, 31
	s_add_u32 s12, s9, s14
	s_mov_b32 s15, s14
	s_addc_u32 s13, s13, s14
	s_xor_b64 s[12:13], s[12:13], s[14:15]
	s_mul_i32 s21, s12, s18
	s_mul_hi_u32 s23, s12, s20
	s_mul_hi_u32 s19, s12, s18
	s_add_u32 s21, s23, s21
	s_addc_u32 s19, 0, s19
	s_mul_hi_u32 s24, s13, s20
	s_mul_i32 s20, s13, s20
	s_add_u32 s20, s21, s20
	s_mul_hi_u32 s23, s13, s18
	s_addc_u32 s19, s19, s24
	s_addc_u32 s20, s23, 0
	s_mul_i32 s18, s13, s18
	s_add_u32 s23, s19, s18
	s_addc_u32 s24, 0, s20
	s_mul_i32 s18, s10, s24
	s_mul_hi_u32 s19, s10, s23
	s_add_i32 s18, s19, s18
	s_mul_i32 s19, s11, s23
	s_add_i32 s25, s18, s19
	s_sub_i32 s20, s13, s25
	s_mul_i32 s18, s10, s23
	s_sub_u32 s12, s12, s18
	s_cselect_b64 s[18:19], -1, 0
	s_cmp_lg_u64 s[18:19], 0
	s_subb_u32 s26, s20, s11
	s_sub_u32 s27, s12, s10
	s_cselect_b64 s[20:21], -1, 0
	s_cmp_lg_u64 s[20:21], 0
	s_subb_u32 s20, s26, 0
	s_cmp_ge_u32 s20, s11
	s_cselect_b32 s21, -1, 0
	s_cmp_ge_u32 s27, s10
	s_cselect_b32 s26, -1, 0
	s_cmp_eq_u32 s20, s11
	s_cselect_b32 s20, s26, s21
	s_add_u32 s21, s23, 1
	s_addc_u32 s26, s24, 0
	s_add_u32 s27, s23, 2
	s_addc_u32 s28, s24, 0
	s_cmp_lg_u32 s20, 0
	s_cselect_b32 s20, s27, s21
	s_cselect_b32 s21, s28, s26
	s_cmp_lg_u64 s[18:19], 0
	s_subb_u32 s13, s13, s25
	s_cmp_ge_u32 s13, s11
	s_cselect_b32 s18, -1, 0
	s_cmp_ge_u32 s12, s10
	s_cselect_b32 s10, -1, 0
	s_cmp_eq_u32 s13, s11
	s_cselect_b32 s10, s10, s18
	s_cmp_lg_u32 s10, 0
	s_cselect_b32 s11, s21, s24
	s_cselect_b32 s10, s20, s23
	s_xor_b64 s[12:13], s[14:15], 0
	s_xor_b64 s[10:11], s[10:11], s[12:13]
	s_sub_u32 s10, s10, s12
	s_load_dwordx4 s[12:15], s[4:5], 0x44
	s_cbranch_execnz .LBB70_3
.LBB70_2:
	v_cvt_f32_u32_e32 v1, s22
	s_sub_i32 s10, 0, s22
	v_rcp_iflag_f32_e32 v1, v1
	v_mul_f32_e32 v1, 0x4f7ffffe, v1
	v_cvt_u32_f32_e32 v1, v1
	v_readfirstlane_b32 s11, v1
	s_mul_i32 s10, s10, s11
	s_mul_hi_u32 s10, s11, s10
	s_add_i32 s11, s11, s10
	s_mul_hi_u32 s10, s9, s11
	s_waitcnt lgkmcnt(0)
	s_mul_i32 s15, s10, s22
	s_sub_i32 s9, s9, s15
	s_add_i32 s11, s10, 1
	s_sub_i32 s15, s9, s22
	s_cmp_ge_u32 s9, s22
	s_cselect_b32 s10, s11, s10
	s_cselect_b32 s9, s15, s9
	s_add_i32 s11, s10, 1
	s_cmp_ge_u32 s9, s22
	s_cselect_b32 s10, s11, s10
.LBB70_3:
	s_add_i32 s9, s6, 1
	s_mul_hi_i32 s21, s3, s9
	s_mov_b32 s20, 0
	s_cmp_lg_u64 s[20:21], 0
	s_mul_i32 s9, s3, s9
	s_cbranch_scc0 .LBB70_21
; %bb.4:
	s_add_u32 s16, s22, 0
	s_addc_u32 s17, 0, 0
	s_xor_b64 s[18:19], s[16:17], 0
	v_cvt_f32_u32_e32 v1, s18
	v_cvt_f32_u32_e32 v2, s19
	s_sub_u32 s11, 0, s18
	s_waitcnt lgkmcnt(0)
	s_subb_u32 s15, 0, s19
	v_madmk_f32 v1, v2, 0x4f800000, v1
	v_rcp_f32_e32 v1, v1
	v_mul_f32_e32 v1, 0x5f7ffffc, v1
	v_mul_f32_e32 v2, 0x2f800000, v1
	v_trunc_f32_e32 v2, v2
	v_madmk_f32 v1, v2, 0xcf800000, v1
	v_cvt_u32_f32_e32 v2, v2
	v_cvt_u32_f32_e32 v1, v1
	v_readfirstlane_b32 s20, v2
	v_readfirstlane_b32 s23, v1
	s_mul_i32 s24, s11, s20
	s_mul_hi_u32 s26, s11, s23
	s_mul_i32 s25, s15, s23
	s_add_i32 s24, s26, s24
	s_add_i32 s24, s24, s25
	s_mul_i32 s27, s11, s23
	s_mul_i32 s26, s23, s24
	s_mul_hi_u32 s28, s23, s27
	s_mul_hi_u32 s25, s23, s24
	s_add_u32 s26, s28, s26
	s_addc_u32 s25, 0, s25
	s_mul_hi_u32 s29, s20, s27
	s_mul_i32 s27, s20, s27
	s_add_u32 s26, s26, s27
	s_mul_hi_u32 s28, s20, s24
	s_addc_u32 s25, s25, s29
	s_addc_u32 s26, s28, 0
	s_mul_i32 s24, s20, s24
	s_add_u32 s24, s25, s24
	s_addc_u32 s26, 0, s26
	s_add_u32 s23, s23, s24
	s_cselect_b64 s[24:25], -1, 0
	s_cmp_lg_u64 s[24:25], 0
	s_addc_u32 s20, s20, s26
	s_mul_i32 s24, s11, s20
	s_mul_hi_u32 s25, s11, s23
	s_add_i32 s24, s25, s24
	s_mul_i32 s15, s15, s23
	s_add_i32 s24, s24, s15
	s_mul_i32 s11, s11, s23
	s_mul_hi_u32 s25, s20, s11
	s_mul_i32 s26, s20, s11
	s_mul_i32 s28, s23, s24
	s_mul_hi_u32 s11, s23, s11
	s_mul_hi_u32 s27, s23, s24
	s_add_u32 s11, s11, s28
	s_addc_u32 s27, 0, s27
	s_add_u32 s11, s11, s26
	s_mul_hi_u32 s15, s20, s24
	s_addc_u32 s11, s27, s25
	s_addc_u32 s15, s15, 0
	s_mul_i32 s24, s20, s24
	s_add_u32 s11, s11, s24
	s_addc_u32 s15, 0, s15
	s_add_u32 s11, s23, s11
	s_cselect_b64 s[24:25], -1, 0
	s_cmp_lg_u64 s[24:25], 0
	s_addc_u32 s15, s20, s15
	s_ashr_i32 s24, s21, 31
	s_add_u32 s20, s9, s24
	s_mov_b32 s25, s24
	s_addc_u32 s21, s21, s24
	s_xor_b64 s[20:21], s[20:21], s[24:25]
	s_mul_i32 s26, s20, s15
	s_mul_hi_u32 s27, s20, s11
	s_mul_hi_u32 s23, s20, s15
	s_add_u32 s26, s27, s26
	s_addc_u32 s23, 0, s23
	s_mul_hi_u32 s28, s21, s11
	s_mul_i32 s11, s21, s11
	s_add_u32 s11, s26, s11
	s_mul_hi_u32 s27, s21, s15
	s_addc_u32 s11, s23, s28
	s_addc_u32 s23, s27, 0
	s_mul_i32 s15, s21, s15
	s_add_u32 s11, s11, s15
	s_addc_u32 s15, 0, s23
	s_mul_i32 s23, s18, s15
	s_mul_hi_u32 s26, s18, s11
	s_add_i32 s23, s26, s23
	s_mul_i32 s26, s19, s11
	s_add_i32 s23, s23, s26
	s_sub_i32 s28, s21, s23
	s_mul_i32 s26, s18, s11
	s_sub_u32 s20, s20, s26
	s_cselect_b64 s[26:27], -1, 0
	s_cmp_lg_u64 s[26:27], 0
	s_subb_u32 s30, s28, s19
	s_sub_u32 s31, s20, s18
	s_cselect_b64 s[28:29], -1, 0
	s_cmp_lg_u64 s[28:29], 0
	s_subb_u32 s28, s30, 0
	s_cmp_ge_u32 s28, s19
	s_cselect_b32 s29, -1, 0
	s_cmp_ge_u32 s31, s18
	s_cselect_b32 s30, -1, 0
	s_cmp_eq_u32 s28, s19
	s_cselect_b32 s28, s30, s29
	s_add_u32 s29, s11, 1
	s_addc_u32 s30, s15, 0
	s_add_u32 s31, s11, 2
	s_addc_u32 s33, s15, 0
	s_cmp_lg_u32 s28, 0
	s_cselect_b32 s28, s31, s29
	s_cselect_b32 s29, s33, s30
	s_cmp_lg_u64 s[26:27], 0
	s_subb_u32 s21, s21, s23
	s_cmp_ge_u32 s21, s19
	s_cselect_b32 s23, -1, 0
	s_cmp_ge_u32 s20, s18
	s_cselect_b32 s18, -1, 0
	s_cmp_eq_u32 s21, s19
	s_cselect_b32 s18, s18, s23
	s_cmp_lg_u32 s18, 0
	s_cselect_b32 s19, s29, s15
	s_cselect_b32 s18, s28, s11
	s_xor_b64 s[20:21], s[24:25], 0
	s_xor_b64 s[18:19], s[18:19], s[20:21]
	s_sub_u32 s18, s18, s20
	s_cbranch_execnz .LBB70_6
.LBB70_5:
	v_cvt_f32_u32_e32 v1, s22
	s_sub_i32 s11, 0, s22
	v_rcp_iflag_f32_e32 v1, v1
	v_mul_f32_e32 v1, 0x4f7ffffe, v1
	v_cvt_u32_f32_e32 v1, v1
	s_waitcnt lgkmcnt(0)
	v_readfirstlane_b32 s15, v1
	s_mul_i32 s11, s11, s15
	s_mul_hi_u32 s11, s15, s11
	s_add_i32 s15, s15, s11
	s_mul_hi_u32 s11, s9, s15
	s_mul_i32 s16, s11, s22
	s_sub_i32 s9, s9, s16
	s_add_i32 s15, s11, 1
	s_sub_i32 s16, s9, s22
	s_cmp_ge_u32 s9, s22
	s_cselect_b32 s11, s15, s11
	s_cselect_b32 s9, s16, s9
	s_add_i32 s15, s11, 1
	s_cmp_ge_u32 s9, s22
	s_cselect_b32 s18, s15, s11
.LBB70_6:
	s_cmp_eq_u32 s10, s18
	s_waitcnt lgkmcnt(0)
	s_mul_hi_u32 s9, s10, s12
	s_cselect_b64 s[16:17], -1, 0
	s_add_i32 s9, s9, s10
	s_lshr_b32 s11, s9, s13
	s_mul_i32 s9, s11, s14
	s_cmp_eq_u32 s9, s10
	s_mul_hi_u32 s9, s18, s12
	s_cselect_b64 s[20:21], -1, 0
	s_add_i32 s9, s9, s18
	s_lshr_b32 s9, s9, s13
	s_cmp_eq_u32 s11, s9
	s_mul_i32 s9, s9, s14
	s_cselect_b64 s[24:25], -1, 0
	s_cmp_lg_u32 s9, s18
	s_cselect_b64 s[18:19], -1, 0
	s_and_b64 s[18:19], s[24:25], s[18:19]
	s_or_b64 s[16:17], s[16:17], s[20:21]
	s_or_b64 s[16:17], s[16:17], s[18:19]
	s_and_b64 vcc, exec, s[16:17]
	s_cbranch_vccnz .LBB70_23
; %bb.7:
	s_load_dwordx8 s[24:31], s[4:5], 0x20
	s_load_dword s15, s[4:5], 0x40
	s_waitcnt lgkmcnt(0)
	s_mul_hi_u32 s9, s10, s24
	s_add_i32 s9, s9, s10
	s_lshr_b32 s9, s9, s25
	s_mul_i32 s16, s9, s26
	s_sub_i32 s16, s10, s16
	s_mul_hi_u32 s17, s16, s27
	s_add_i32 s17, s16, s17
	s_lshr_b32 s23, s17, s28
	s_mul_i32 s17, s23, s29
	s_sub_i32 s16, s16, s17
	;; [unrolled: 5-line block ×3, first 2 shown]
	s_mul_hi_u32 s16, s15, s12
	s_add_i32 s15, s15, s16
	s_lshr_b32 s24, s15, s13
	s_lshl_b32 s15, s24, 1
	s_add_i32 s15, s15, s7
	s_cmp_lt_i32 s15, s0
	s_cselect_b64 s[16:17], -1, 0
	s_add_i32 s25, s25, s8
	s_cmp_lt_i32 s25, s2
	s_cselect_b64 s[18:19], -1, 0
	s_and_b64 s[16:17], s[16:17], s[18:19]
	s_andn2_b64 vcc, exec, s[16:17]
	s_cbranch_vccnz .LBB70_23
; %bb.8:
	s_load_dwordx4 s[16:19], s[4:5], 0x0
	s_mov_b32 s4, 0
	s_lshl_b32 s20, s22, 3
	s_mov_b32 s21, s4
	s_add_i32 s15, s7, s8
	s_lshl_b64 s[20:21], s[20:21], 2
	s_waitcnt lgkmcnt(0)
	s_add_u32 s20, s18, s20
	s_mul_i32 s0, s9, s0
	s_addc_u32 s21, s19, s21
	s_mul_i32 s23, s23, s2
	s_add_i32 s0, s0, s7
	s_mul_i32 s2, s1, s24
	s_mul_i32 s0, s0, s1
	s_add_i32 s1, s25, s23
	s_add_i32 s0, s1, s0
	s_mulk_i32 s2, 0xe0
	s_mulk_i32 s0, 0x70
	s_add_i32 s2, s2, s0
	v_add_u32_e32 v1, s2, v0
	v_ashrrev_i32_e32 v2, 31, v1
	v_lshlrev_b64 v[1:2], 2, v[1:2]
	v_mov_b32_e32 v3, s17
	v_add_co_u32_e32 v1, vcc, s16, v1
	v_addc_co_u32_e32 v2, vcc, v3, v2, vcc
	global_load_dword v3, v[1:2], off
	v_cvt_f32_u32_e32 v4, s22
	s_lshl_b32 s0, s6, 1
	s_add_i32 s0, s0, s15
	s_ashr_i32 s1, s0, 31
	s_lshl_b64 s[0:1], s[0:1], 3
	v_rcp_iflag_f32_e32 v4, v4
	s_add_u32 s0, s18, s0
	s_addc_u32 s1, s19, s1
	s_load_dwordx2 s[0:1], s[0:1], 0x0
	v_mul_f32_e32 v4, 0x4f7ffffe, v4
	v_cvt_u32_f32_e32 v4, v4
	s_mul_i32 s2, s15, 0x70
	s_add_i32 s24, s6, -1
	v_add_u32_e32 v0, s2, v0
	s_waitcnt lgkmcnt(0)
	v_mov_b32_e32 v6, s1
	v_mov_b32_e32 v7, s0
	s_mov_b32 s2, 0x3fb8aa3b
	s_mov_b32 s16, 0xc2ce8ed0
	;; [unrolled: 1-line block ×4, first 2 shown]
	v_mov_b32_e32 v5, 0x7f800000
	s_mul_hi_i32 s5, s24, s3
	s_cmp_lg_u64 s[4:5], 0
	s_mul_i32 s8, s24, s3
	s_cbranch_scc0 .LBB70_19
.LBB70_9:
	s_add_u32 s0, s22, 0
	s_addc_u32 s1, 0, 0
	s_xor_b64 s[0:1], s[0:1], 0
	v_cvt_f32_u32_e32 v8, s0
	v_cvt_f32_u32_e32 v9, s1
	s_sub_u32 s9, 0, s0
	s_subb_u32 s25, 0, s1
	v_mac_f32_e32 v8, 0x4f800000, v9
	v_rcp_f32_e32 v8, v8
	v_mul_f32_e32 v8, 0x5f7ffffc, v8
	v_mul_f32_e32 v9, 0x2f800000, v8
	v_trunc_f32_e32 v9, v9
	v_mac_f32_e32 v8, 0xcf800000, v9
	v_cvt_u32_f32_e32 v9, v9
	v_cvt_u32_f32_e32 v8, v8
	v_readfirstlane_b32 s26, v9
	v_readfirstlane_b32 s6, v8
	s_mul_i32 s7, s9, s26
	s_mul_hi_u32 s28, s9, s6
	s_mul_i32 s27, s25, s6
	s_add_i32 s7, s28, s7
	s_mul_i32 s29, s9, s6
	s_add_i32 s7, s7, s27
	s_mul_i32 s28, s6, s7
	s_mul_hi_u32 s30, s6, s29
	s_mul_hi_u32 s27, s6, s7
	s_add_u32 s28, s30, s28
	s_addc_u32 s27, 0, s27
	s_mul_hi_u32 s31, s26, s29
	s_mul_i32 s29, s26, s29
	s_add_u32 s28, s28, s29
	s_mul_hi_u32 s30, s26, s7
	s_addc_u32 s27, s27, s31
	s_addc_u32 s28, s30, 0
	s_mul_i32 s7, s26, s7
	s_add_u32 s7, s27, s7
	s_addc_u32 s27, 0, s28
	s_add_u32 s28, s6, s7
	s_cselect_b64 s[6:7], -1, 0
	s_cmp_lg_u64 s[6:7], 0
	s_addc_u32 s26, s26, s27
	s_mul_i32 s6, s9, s26
	s_mul_hi_u32 s7, s9, s28
	s_add_i32 s6, s7, s6
	s_mul_i32 s25, s25, s28
	s_add_i32 s6, s6, s25
	s_mul_i32 s9, s9, s28
	s_mul_hi_u32 s25, s26, s9
	s_mul_i32 s27, s26, s9
	s_mul_i32 s30, s28, s6
	s_mul_hi_u32 s9, s28, s9
	s_mul_hi_u32 s29, s28, s6
	s_add_u32 s9, s9, s30
	s_addc_u32 s29, 0, s29
	s_add_u32 s9, s9, s27
	s_mul_hi_u32 s7, s26, s6
	s_addc_u32 s9, s29, s25
	s_addc_u32 s7, s7, 0
	s_mul_i32 s6, s26, s6
	s_add_u32 s6, s9, s6
	s_addc_u32 s9, 0, s7
	s_add_u32 s25, s28, s6
	s_cselect_b64 s[6:7], -1, 0
	s_cmp_lg_u64 s[6:7], 0
	s_addc_u32 s9, s26, s9
	s_ashr_i32 s6, s5, 31
	s_add_u32 s26, s8, s6
	s_mov_b32 s7, s6
	s_addc_u32 s27, s5, s6
	s_xor_b64 s[26:27], s[26:27], s[6:7]
	s_mul_i32 s28, s26, s9
	s_mul_hi_u32 s29, s26, s25
	s_mul_hi_u32 s5, s26, s9
	s_add_u32 s28, s29, s28
	s_addc_u32 s5, 0, s5
	s_mul_hi_u32 s30, s27, s25
	s_mul_i32 s25, s27, s25
	s_add_u32 s25, s28, s25
	s_mul_hi_u32 s29, s27, s9
	s_addc_u32 s5, s5, s30
	s_addc_u32 s25, s29, 0
	s_mul_i32 s9, s27, s9
	s_add_u32 s5, s5, s9
	s_addc_u32 s9, 0, s25
	s_mul_i32 s25, s0, s9
	s_mul_hi_u32 s28, s0, s5
	s_add_i32 s25, s28, s25
	s_mul_i32 s28, s1, s5
	s_add_i32 s25, s25, s28
	s_sub_i32 s30, s27, s25
	s_mul_i32 s28, s0, s5
	s_sub_u32 s26, s26, s28
	s_cselect_b64 s[28:29], -1, 0
	s_cmp_lg_u64 s[28:29], 0
	s_subb_u32 s33, s30, s1
	s_sub_u32 s34, s26, s0
	s_cselect_b64 s[30:31], -1, 0
	s_cmp_lg_u64 s[30:31], 0
	s_subb_u32 s30, s33, 0
	s_cmp_ge_u32 s30, s1
	s_cselect_b32 s31, -1, 0
	s_cmp_ge_u32 s34, s0
	s_cselect_b32 s33, -1, 0
	s_cmp_eq_u32 s30, s1
	s_cselect_b32 s30, s33, s31
	s_add_u32 s31, s5, 1
	s_addc_u32 s33, s9, 0
	s_add_u32 s34, s5, 2
	s_addc_u32 s35, s9, 0
	s_cmp_lg_u32 s30, 0
	s_cselect_b32 s30, s34, s31
	s_cselect_b32 s31, s35, s33
	s_cmp_lg_u64 s[28:29], 0
	s_subb_u32 s25, s27, s25
	s_cmp_ge_u32 s25, s1
	s_cselect_b32 s27, -1, 0
	s_cmp_ge_u32 s26, s0
	s_cselect_b32 s0, -1, 0
	s_cmp_eq_u32 s25, s1
	s_cselect_b32 s0, s0, s27
	s_cmp_lg_u32 s0, 0
	s_cselect_b32 s1, s31, s9
	s_cselect_b32 s0, s30, s5
	s_xor_b64 s[6:7], s[6:7], 0
	s_xor_b64 s[0:1], s[0:1], s[6:7]
	s_sub_u32 s6, s0, s6
	s_cbranch_execnz .LBB70_11
.LBB70_10:
	s_sub_i32 s0, 0, s22
	v_readfirstlane_b32 s1, v4
	s_mul_i32 s0, s0, s1
	s_mul_hi_u32 s0, s1, s0
	s_add_i32 s1, s1, s0
	s_mul_hi_u32 s0, s8, s1
	s_mul_i32 s5, s0, s22
	s_sub_i32 s5, s8, s5
	s_add_i32 s1, s0, 1
	s_sub_i32 s6, s5, s22
	s_cmp_ge_u32 s5, s22
	s_cselect_b32 s0, s1, s0
	s_cselect_b32 s5, s6, s5
	s_add_i32 s1, s0, 1
	s_cmp_ge_u32 s5, s22
	s_cselect_b32 s6, s1, s0
.LBB70_11:
	s_cmp_lg_u32 s10, s6
	s_mov_b64 s[8:9], -1
                                        ; implicit-def: $sgpr0_sgpr1
                                        ; implicit-def: $vgpr10
                                        ; implicit-def: $vgpr8
                                        ; implicit-def: $vgpr9
                                        ; implicit-def: $sgpr5
                                        ; implicit-def: $sgpr7
	s_cbranch_scc1 .LBB70_14
; %bb.12:
	s_andn2_b64 vcc, exec, s[8:9]
	s_cbranch_vccz .LBB70_17
.LBB70_13:
	s_andn2_b64 vcc, exec, s[0:1]
	s_cbranch_vccnz .LBB70_18
	s_branch .LBB70_22
.LBB70_14:
	s_add_i32 s0, s24, s22
	s_lshl_b32 s0, s0, 1
	s_add_i32 s0, s0, s15
	s_mov_b32 s1, s4
	s_lshl_b64 s[0:1], s[0:1], 3
	s_add_u32 s8, s18, s0
	s_mul_hi_u32 s0, s6, s12
	s_addc_u32 s9, s19, s1
	s_add_i32 s0, s0, s6
	s_lshr_b32 s5, s0, s13
	s_mul_i32 s0, s5, s14
	s_cmp_eq_u32 s0, s6
	s_cselect_b64 s[0:1], -1, 0
	s_cmp_lt_u32 s5, s11
	s_cselect_b64 s[26:27], -1, 0
	s_or_b64 s[26:27], s[26:27], s[0:1]
	s_mov_b64 s[0:1], -1
	s_and_b64 vcc, exec, s[26:27]
	s_mov_b32 s5, s24
	s_mov_b32 s7, s10
	s_cbranch_vccnz .LBB70_16
; %bb.15:
	s_add_i32 s5, s24, -1
	s_mov_b64 s[0:1], 0
	s_mov_b32 s7, s6
.LBB70_16:
	s_mul_i32 s6, s24, 0xe0
	v_add_u32_e32 v8, s6, v0
	v_ashrrev_i32_e32 v9, 31, v8
	v_lshlrev_b64 v[8:9], 2, v[8:9]
	v_mov_b32_e32 v10, s21
	v_add_co_u32_e32 v8, vcc, s20, v8
	v_addc_co_u32_e32 v9, vcc, v10, v9, vcc
	global_load_dword v10, v[8:9], off
	s_load_dwordx2 s[8:9], s[8:9], 0x0
	v_max_f32_e32 v8, v7, v7
	s_waitcnt lgkmcnt(0)
	v_max_f32_e64 v9, s8, s8
	v_max_f32_e32 v8, v8, v9
	v_sub_f32_e32 v9, v7, v8
	v_sub_f32_e32 v11, s8, v8
	v_mul_f32_e32 v12, 0x3fb8aa3b, v9
	v_mul_f32_e32 v13, 0x3fb8aa3b, v11
	v_fma_f32 v14, v9, s2, -v12
	v_rndne_f32_e32 v15, v12
	v_fma_f32 v16, v11, s2, -v13
	v_rndne_f32_e32 v17, v13
	v_fmac_f32_e32 v14, 0x32a5705f, v9
	v_sub_f32_e32 v12, v12, v15
	v_fmac_f32_e32 v16, 0x32a5705f, v11
	v_sub_f32_e32 v13, v13, v17
	v_add_f32_e32 v12, v12, v14
	v_cvt_i32_f32_e32 v15, v15
	v_add_f32_e32 v13, v13, v16
	v_exp_f32_e32 v12, v12
	v_cvt_i32_f32_e32 v17, v17
	v_exp_f32_e32 v13, v13
	v_cmp_ngt_f32_e32 vcc, s16, v9
	v_ldexp_f32 v12, v12, v15
	v_cndmask_b32_e32 v12, 0, v12, vcc
	v_ldexp_f32 v13, v13, v17
	v_cmp_ngt_f32_e32 vcc, s16, v11
	v_cndmask_b32_e32 v13, 0, v13, vcc
	v_cmp_nlt_f32_e32 vcc, s17, v9
	v_cndmask_b32_e32 v12, v5, v12, vcc
	v_cmp_nlt_f32_e32 vcc, s17, v11
	v_cndmask_b32_e32 v13, v5, v13, vcc
	v_cmp_le_f32_e32 vcc, s23, v9
	v_cndmask_b32_e32 v12, 0, v12, vcc
	v_cmp_le_f32_e32 vcc, s23, v11
	v_cndmask_b32_e32 v11, 0, v13, vcc
	v_mul_f32_e32 v9, s9, v11
	v_fmac_f32_e32 v9, v6, v12
	s_waitcnt vmcnt(0)
	v_mul_f32_e32 v10, v10, v11
	v_fmac_f32_e32 v10, v3, v12
	s_cbranch_execnz .LBB70_13
.LBB70_17:
	s_add_i32 s5, s24, -1
	s_mov_b32 s7, s10
	v_mov_b32_e32 v9, v6
	v_mov_b32_e32 v8, v7
	s_waitcnt vmcnt(0)
	v_mov_b32_e32 v10, v3
	s_cbranch_execz .LBB70_22
.LBB70_18:
	s_mov_b32 s10, s7
	s_mov_b32 s24, s5
	v_mov_b32_e32 v6, v9
	v_mov_b32_e32 v7, v8
	s_waitcnt vmcnt(0)
	v_mov_b32_e32 v3, v10
	s_mul_hi_i32 s5, s24, s3
	s_cmp_lg_u64 s[4:5], 0
	s_mul_i32 s8, s24, s3
	s_cbranch_scc1 .LBB70_9
.LBB70_19:
                                        ; implicit-def: $sgpr6_sgpr7
	s_branch .LBB70_10
.LBB70_20:
                                        ; implicit-def: $sgpr10_sgpr11
	s_load_dwordx4 s[12:15], s[4:5], 0x44
	s_branch .LBB70_2
.LBB70_21:
                                        ; implicit-def: $sgpr18_sgpr19
	s_branch .LBB70_5
.LBB70_22:
	v_div_scale_f32 v0, s[0:1], v9, v9, v10
	s_waitcnt vmcnt(0)
	v_div_scale_f32 v3, vcc, v10, v9, v10
	v_rcp_f32_e32 v4, v0
	v_fma_f32 v5, -v0, v4, 1.0
	v_fmac_f32_e32 v4, v5, v4
	v_mul_f32_e32 v5, v3, v4
	v_fma_f32 v6, -v0, v5, v3
	v_fmac_f32_e32 v5, v6, v4
	v_fma_f32 v0, -v0, v5, v3
	v_div_fmas_f32 v0, v0, v4, v5
	v_div_fixup_f32 v0, v0, v9, v10
	global_store_dword v[1:2], v0, off
.LBB70_23:
	s_endpgm
	.section	.rodata,"a",@progbits
	.p2align	6, 0x0
	.amdhsa_kernel _ZL33flash_attn_stream_k_fixup_generalILi112ELi2ELi1EEvPfPK15HIP_vector_typeIfLj2EEiiiiS1_IjLj3EES5_S5_S5_
		.amdhsa_group_segment_fixed_size 0
		.amdhsa_private_segment_fixed_size 0
		.amdhsa_kernarg_size 336
		.amdhsa_user_sgpr_count 6
		.amdhsa_user_sgpr_private_segment_buffer 1
		.amdhsa_user_sgpr_dispatch_ptr 0
		.amdhsa_user_sgpr_queue_ptr 0
		.amdhsa_user_sgpr_kernarg_segment_ptr 1
		.amdhsa_user_sgpr_dispatch_id 0
		.amdhsa_user_sgpr_flat_scratch_init 0
		.amdhsa_user_sgpr_private_segment_size 0
		.amdhsa_uses_dynamic_stack 0
		.amdhsa_system_sgpr_private_segment_wavefront_offset 0
		.amdhsa_system_sgpr_workgroup_id_x 1
		.amdhsa_system_sgpr_workgroup_id_y 1
		.amdhsa_system_sgpr_workgroup_id_z 1
		.amdhsa_system_sgpr_workgroup_info 0
		.amdhsa_system_vgpr_workitem_id 0
		.amdhsa_next_free_vgpr 18
		.amdhsa_next_free_sgpr 36
		.amdhsa_reserve_vcc 1
		.amdhsa_reserve_flat_scratch 0
		.amdhsa_float_round_mode_32 0
		.amdhsa_float_round_mode_16_64 0
		.amdhsa_float_denorm_mode_32 3
		.amdhsa_float_denorm_mode_16_64 3
		.amdhsa_dx10_clamp 1
		.amdhsa_ieee_mode 1
		.amdhsa_fp16_overflow 0
		.amdhsa_exception_fp_ieee_invalid_op 0
		.amdhsa_exception_fp_denorm_src 0
		.amdhsa_exception_fp_ieee_div_zero 0
		.amdhsa_exception_fp_ieee_overflow 0
		.amdhsa_exception_fp_ieee_underflow 0
		.amdhsa_exception_fp_ieee_inexact 0
		.amdhsa_exception_int_div_zero 0
	.end_amdhsa_kernel
	.section	.text._ZL33flash_attn_stream_k_fixup_generalILi112ELi2ELi1EEvPfPK15HIP_vector_typeIfLj2EEiiiiS1_IjLj3EES5_S5_S5_,"axG",@progbits,_ZL33flash_attn_stream_k_fixup_generalILi112ELi2ELi1EEvPfPK15HIP_vector_typeIfLj2EEiiiiS1_IjLj3EES5_S5_S5_,comdat
.Lfunc_end70:
	.size	_ZL33flash_attn_stream_k_fixup_generalILi112ELi2ELi1EEvPfPK15HIP_vector_typeIfLj2EEiiiiS1_IjLj3EES5_S5_S5_, .Lfunc_end70-_ZL33flash_attn_stream_k_fixup_generalILi112ELi2ELi1EEvPfPK15HIP_vector_typeIfLj2EEiiiiS1_IjLj3EES5_S5_S5_
                                        ; -- End function
	.set _ZL33flash_attn_stream_k_fixup_generalILi112ELi2ELi1EEvPfPK15HIP_vector_typeIfLj2EEiiiiS1_IjLj3EES5_S5_S5_.num_vgpr, 18
	.set _ZL33flash_attn_stream_k_fixup_generalILi112ELi2ELi1EEvPfPK15HIP_vector_typeIfLj2EEiiiiS1_IjLj3EES5_S5_S5_.num_agpr, 0
	.set _ZL33flash_attn_stream_k_fixup_generalILi112ELi2ELi1EEvPfPK15HIP_vector_typeIfLj2EEiiiiS1_IjLj3EES5_S5_S5_.numbered_sgpr, 36
	.set _ZL33flash_attn_stream_k_fixup_generalILi112ELi2ELi1EEvPfPK15HIP_vector_typeIfLj2EEiiiiS1_IjLj3EES5_S5_S5_.num_named_barrier, 0
	.set _ZL33flash_attn_stream_k_fixup_generalILi112ELi2ELi1EEvPfPK15HIP_vector_typeIfLj2EEiiiiS1_IjLj3EES5_S5_S5_.private_seg_size, 0
	.set _ZL33flash_attn_stream_k_fixup_generalILi112ELi2ELi1EEvPfPK15HIP_vector_typeIfLj2EEiiiiS1_IjLj3EES5_S5_S5_.uses_vcc, 1
	.set _ZL33flash_attn_stream_k_fixup_generalILi112ELi2ELi1EEvPfPK15HIP_vector_typeIfLj2EEiiiiS1_IjLj3EES5_S5_S5_.uses_flat_scratch, 0
	.set _ZL33flash_attn_stream_k_fixup_generalILi112ELi2ELi1EEvPfPK15HIP_vector_typeIfLj2EEiiiiS1_IjLj3EES5_S5_S5_.has_dyn_sized_stack, 0
	.set _ZL33flash_attn_stream_k_fixup_generalILi112ELi2ELi1EEvPfPK15HIP_vector_typeIfLj2EEiiiiS1_IjLj3EES5_S5_S5_.has_recursion, 0
	.set _ZL33flash_attn_stream_k_fixup_generalILi112ELi2ELi1EEvPfPK15HIP_vector_typeIfLj2EEiiiiS1_IjLj3EES5_S5_S5_.has_indirect_call, 0
	.section	.AMDGPU.csdata,"",@progbits
; Kernel info:
; codeLenInByte = 2936
; TotalNumSgprs: 40
; NumVgprs: 18
; ScratchSize: 0
; MemoryBound: 0
; FloatMode: 240
; IeeeMode: 1
; LDSByteSize: 0 bytes/workgroup (compile time only)
; SGPRBlocks: 4
; VGPRBlocks: 4
; NumSGPRsForWavesPerEU: 40
; NumVGPRsForWavesPerEU: 18
; Occupancy: 10
; WaveLimiterHint : 0
; COMPUTE_PGM_RSRC2:SCRATCH_EN: 0
; COMPUTE_PGM_RSRC2:USER_SGPR: 6
; COMPUTE_PGM_RSRC2:TRAP_HANDLER: 0
; COMPUTE_PGM_RSRC2:TGID_X_EN: 1
; COMPUTE_PGM_RSRC2:TGID_Y_EN: 1
; COMPUTE_PGM_RSRC2:TGID_Z_EN: 1
; COMPUTE_PGM_RSRC2:TIDIG_COMP_CNT: 0
	.text
	.p2align	2                               ; -- Begin function __ockl_printf_append_string_n
	.type	__ockl_printf_append_string_n,@function
__ockl_printf_append_string_n:          ; @__ockl_printf_append_string_n
; %bb.0:
	s_waitcnt vmcnt(0) expcnt(0) lgkmcnt(0)
	s_getpc_b64 s[4:5]
	s_add_u32 s4, s4, __FUNCTION__._ZL15flash_attn_tileILi112ELi112ELi8ELi8ELb1EEvPKcS1_S1_S1_S1_PKiPfP15HIP_vector_typeIfLj2EEffffjfiS5_IjLj3EEiiiiiiiiiiiliiliiiiil@rel32@lo+4
	s_addc_u32 s5, s5, __FUNCTION__._ZL15flash_attn_tileILi112ELi112ELi8ELi8ELb1EEvPKcS1_S1_S1_S1_PKiPfP15HIP_vector_typeIfLj2EEffffjfiS5_IjLj3EEiiiiiiiiiiiliiliiiiil@rel32@hi+12
	v_mov_b32_e32 v3, v0
	s_mov_b64 s[6:7], 0
	s_cmp_lg_u64 s[4:5], 0
	v_mbcnt_lo_u32_b32 v2, -1, 0
	s_cbranch_scc0 .LBB71_87
; %bb.1:
	s_load_dwordx2 s[10:11], s[8:9], 0x50
	s_getpc_b64 s[4:5]
	s_add_u32 s4, s4, __FUNCTION__._ZL15flash_attn_tileILi112ELi112ELi8ELi8ELb1EEvPKcS1_S1_S1_S1_PKiPfP15HIP_vector_typeIfLj2EEffffjfiS5_IjLj3EEiiiiiiiiiiiliiliiiiil@rel32@lo+4
	s_addc_u32 s5, s5, __FUNCTION__._ZL15flash_attn_tileILi112ELi112ELi8ELi8ELb1EEvPKcS1_S1_S1_S1_PKiPfP15HIP_vector_typeIfLj2EEffffjfiS5_IjLj3EEiiiiiiiiiiiliiliiiiil@rel32@hi+12
	v_and_b32_e32 v0, -3, v3
	v_mov_b32_e32 v32, s5
	v_mov_b32_e32 v7, v1
	v_and_b32_e32 v37, 2, v3
	s_mov_b32 s20, 0
	v_mov_b32_e32 v30, 0
	v_mbcnt_hi_u32_b32 v38, -1, v2
	v_mov_b32_e32 v31, s4
	s_movk_i32 s21, 0x1e0
	v_mov_b32_e32 v12, 2
	v_mov_b32_e32 v13, 1
	v_mov_b32_e32 v6, v0
	s_branch .LBB71_3
.LBB71_2:                               ;   in Loop: Header=BB71_3 Depth=1
	s_or_b64 exec, exec, s[14:15]
	v_sub_co_u32_e32 v4, vcc, v4, v33
	v_subb_co_u32_e32 v5, vcc, v5, v34, vcc
	v_cmp_eq_u64_e32 vcc, 0, v[4:5]
	s_or_b64 s[6:7], vcc, s[6:7]
	v_add_co_u32_e32 v31, vcc, v31, v33
	v_addc_co_u32_e32 v32, vcc, v32, v34, vcc
	s_andn2_b64 exec, exec, s[6:7]
	s_cbranch_execz .LBB71_85
.LBB71_3:                               ; =>This Loop Header: Depth=1
                                        ;     Child Loop BB71_6 Depth 2
                                        ;     Child Loop BB71_14 Depth 2
	;; [unrolled: 1-line block ×11, first 2 shown]
	v_cmp_gt_u64_e32 vcc, 56, v[4:5]
	v_add_co_u32_e64 v16, s[4:5], 8, v31
	v_cndmask_b32_e32 v34, 0, v5, vcc
	v_cndmask_b32_e32 v33, 56, v4, vcc
	v_cmp_gt_u64_e32 vcc, 8, v[4:5]
	v_addc_co_u32_e64 v17, s[4:5], 0, v32, s[4:5]
	s_and_saveexec_b64 s[4:5], vcc
	s_xor_b64 s[4:5], exec, s[4:5]
	s_cbranch_execz .LBB71_9
; %bb.4:                                ;   in Loop: Header=BB71_3 Depth=1
	v_mov_b32_e32 v8, 0
	v_cmp_ne_u64_e32 vcc, 0, v[4:5]
	v_mov_b32_e32 v9, 0
	s_and_saveexec_b64 s[12:13], vcc
	s_cbranch_execz .LBB71_8
; %bb.5:                                ;   in Loop: Header=BB71_3 Depth=1
	v_lshlrev_b64 v[10:11], 3, v[33:34]
	v_mov_b32_e32 v8, 0
	v_mov_b32_e32 v14, v31
	s_mov_b64 s[14:15], 0
	v_mov_b32_e32 v9, 0
	v_mov_b32_e32 v15, v32
	s_mov_b64 s[16:17], 0
.LBB71_6:                               ;   Parent Loop BB71_3 Depth=1
                                        ; =>  This Inner Loop Header: Depth=2
	global_load_ubyte v0, v[14:15], off
	v_mov_b32_e32 v17, s20
	v_add_co_u32_e32 v14, vcc, 1, v14
	v_addc_co_u32_e32 v15, vcc, 0, v15, vcc
	s_waitcnt vmcnt(0)
	v_and_b32_e32 v16, 0xffff, v0
	v_lshlrev_b64 v[16:17], s16, v[16:17]
	s_add_u32 s16, s16, 8
	s_addc_u32 s17, s17, 0
	v_cmp_eq_u32_e32 vcc, s16, v10
	v_or_b32_e32 v9, v17, v9
	s_or_b64 s[14:15], vcc, s[14:15]
	v_or_b32_e32 v8, v16, v8
	s_andn2_b64 exec, exec, s[14:15]
	s_cbranch_execnz .LBB71_6
; %bb.7:                                ;   in Loop: Header=BB71_3 Depth=1
	s_or_b64 exec, exec, s[14:15]
.LBB71_8:                               ;   in Loop: Header=BB71_3 Depth=1
	s_or_b64 exec, exec, s[12:13]
	v_mov_b32_e32 v16, v31
	v_mov_b32_e32 v17, v32
.LBB71_9:                               ;   in Loop: Header=BB71_3 Depth=1
	s_or_saveexec_b64 s[4:5], s[4:5]
	v_mov_b32_e32 v0, 0
	s_xor_b64 exec, exec, s[4:5]
	s_cbranch_execz .LBB71_11
; %bb.10:                               ;   in Loop: Header=BB71_3 Depth=1
	global_load_dwordx2 v[8:9], v[31:32], off
	v_add_u32_e32 v0, -8, v33
.LBB71_11:                              ;   in Loop: Header=BB71_3 Depth=1
	s_or_b64 exec, exec, s[4:5]
	v_add_co_u32_e64 v10, s[4:5], 8, v16
	v_cmp_gt_u32_e32 vcc, 8, v0
	v_addc_co_u32_e64 v11, s[4:5], 0, v17, s[4:5]
                                        ; implicit-def: $vgpr14_vgpr15
	s_and_saveexec_b64 s[4:5], vcc
	s_xor_b64 s[4:5], exec, s[4:5]
	s_cbranch_execz .LBB71_17
; %bb.12:                               ;   in Loop: Header=BB71_3 Depth=1
	v_mov_b32_e32 v14, 0
	v_mov_b32_e32 v15, 0
	v_cmp_ne_u32_e32 vcc, 0, v0
	s_and_saveexec_b64 s[12:13], vcc
	s_cbranch_execz .LBB71_16
; %bb.13:                               ;   in Loop: Header=BB71_3 Depth=1
	v_mov_b32_e32 v14, 0
	s_mov_b64 s[14:15], 0
	v_mov_b32_e32 v15, 0
	s_mov_b64 s[16:17], 0
	s_mov_b64 s[18:19], 0
.LBB71_14:                              ;   Parent Loop BB71_3 Depth=1
                                        ; =>  This Inner Loop Header: Depth=2
	v_mov_b32_e32 v11, s19
	v_add_co_u32_e32 v10, vcc, s18, v16
	v_addc_co_u32_e32 v11, vcc, v17, v11, vcc
	global_load_ubyte v10, v[10:11], off
	s_add_u32 s18, s18, 1
	v_mov_b32_e32 v11, s20
	s_addc_u32 s19, s19, 0
	v_cmp_eq_u32_e32 vcc, s18, v0
	s_waitcnt vmcnt(0)
	v_and_b32_e32 v10, 0xffff, v10
	v_lshlrev_b64 v[10:11], s16, v[10:11]
	s_add_u32 s16, s16, 8
	s_addc_u32 s17, s17, 0
	v_or_b32_e32 v15, v11, v15
	s_or_b64 s[14:15], vcc, s[14:15]
	v_or_b32_e32 v14, v10, v14
	s_andn2_b64 exec, exec, s[14:15]
	s_cbranch_execnz .LBB71_14
; %bb.15:                               ;   in Loop: Header=BB71_3 Depth=1
	s_or_b64 exec, exec, s[14:15]
.LBB71_16:                              ;   in Loop: Header=BB71_3 Depth=1
	s_or_b64 exec, exec, s[12:13]
	v_mov_b32_e32 v10, v16
	v_mov_b32_e32 v11, v17
                                        ; implicit-def: $vgpr0
.LBB71_17:                              ;   in Loop: Header=BB71_3 Depth=1
	s_or_saveexec_b64 s[4:5], s[4:5]
	v_mov_b32_e32 v18, 0
	s_xor_b64 exec, exec, s[4:5]
	s_cbranch_execz .LBB71_19
; %bb.18:                               ;   in Loop: Header=BB71_3 Depth=1
	global_load_dwordx2 v[14:15], v[16:17], off
	v_add_u32_e32 v18, -8, v0
.LBB71_19:                              ;   in Loop: Header=BB71_3 Depth=1
	s_or_b64 exec, exec, s[4:5]
	v_add_co_u32_e64 v20, s[4:5], 8, v10
	v_cmp_gt_u32_e32 vcc, 8, v18
	v_addc_co_u32_e64 v21, s[4:5], 0, v11, s[4:5]
	s_and_saveexec_b64 s[4:5], vcc
	s_xor_b64 s[4:5], exec, s[4:5]
	s_cbranch_execz .LBB71_25
; %bb.20:                               ;   in Loop: Header=BB71_3 Depth=1
	v_mov_b32_e32 v16, 0
	v_mov_b32_e32 v17, 0
	v_cmp_ne_u32_e32 vcc, 0, v18
	s_and_saveexec_b64 s[12:13], vcc
	s_cbranch_execz .LBB71_24
; %bb.21:                               ;   in Loop: Header=BB71_3 Depth=1
	v_mov_b32_e32 v16, 0
	s_mov_b64 s[14:15], 0
	v_mov_b32_e32 v17, 0
	s_mov_b64 s[16:17], 0
	s_mov_b64 s[18:19], 0
.LBB71_22:                              ;   Parent Loop BB71_3 Depth=1
                                        ; =>  This Inner Loop Header: Depth=2
	v_mov_b32_e32 v0, s19
	v_add_co_u32_e32 v19, vcc, s18, v10
	v_addc_co_u32_e32 v20, vcc, v11, v0, vcc
	global_load_ubyte v0, v[19:20], off
	s_add_u32 s18, s18, 1
	v_mov_b32_e32 v20, s20
	s_addc_u32 s19, s19, 0
	v_cmp_eq_u32_e32 vcc, s18, v18
	s_waitcnt vmcnt(0)
	v_and_b32_e32 v19, 0xffff, v0
	v_lshlrev_b64 v[19:20], s16, v[19:20]
	s_add_u32 s16, s16, 8
	s_addc_u32 s17, s17, 0
	v_or_b32_e32 v17, v20, v17
	s_or_b64 s[14:15], vcc, s[14:15]
	v_or_b32_e32 v16, v19, v16
	s_andn2_b64 exec, exec, s[14:15]
	s_cbranch_execnz .LBB71_22
; %bb.23:                               ;   in Loop: Header=BB71_3 Depth=1
	s_or_b64 exec, exec, s[14:15]
.LBB71_24:                              ;   in Loop: Header=BB71_3 Depth=1
	s_or_b64 exec, exec, s[12:13]
	v_mov_b32_e32 v21, v11
	v_mov_b32_e32 v20, v10
                                        ; implicit-def: $vgpr18
.LBB71_25:                              ;   in Loop: Header=BB71_3 Depth=1
	s_or_saveexec_b64 s[4:5], s[4:5]
	v_mov_b32_e32 v0, 0
	s_xor_b64 exec, exec, s[4:5]
	s_cbranch_execz .LBB71_27
; %bb.26:                               ;   in Loop: Header=BB71_3 Depth=1
	global_load_dwordx2 v[16:17], v[10:11], off
	v_add_u32_e32 v0, -8, v18
.LBB71_27:                              ;   in Loop: Header=BB71_3 Depth=1
	s_or_b64 exec, exec, s[4:5]
	v_add_co_u32_e64 v10, s[4:5], 8, v20
	v_cmp_gt_u32_e32 vcc, 8, v0
	v_addc_co_u32_e64 v11, s[4:5], 0, v21, s[4:5]
                                        ; implicit-def: $vgpr18_vgpr19
	s_and_saveexec_b64 s[4:5], vcc
	s_xor_b64 s[4:5], exec, s[4:5]
	s_cbranch_execz .LBB71_33
; %bb.28:                               ;   in Loop: Header=BB71_3 Depth=1
	v_mov_b32_e32 v18, 0
	v_mov_b32_e32 v19, 0
	v_cmp_ne_u32_e32 vcc, 0, v0
	s_and_saveexec_b64 s[12:13], vcc
	s_cbranch_execz .LBB71_32
; %bb.29:                               ;   in Loop: Header=BB71_3 Depth=1
	v_mov_b32_e32 v18, 0
	s_mov_b64 s[14:15], 0
	v_mov_b32_e32 v19, 0
	s_mov_b64 s[16:17], 0
	s_mov_b64 s[18:19], 0
.LBB71_30:                              ;   Parent Loop BB71_3 Depth=1
                                        ; =>  This Inner Loop Header: Depth=2
	v_mov_b32_e32 v11, s19
	v_add_co_u32_e32 v10, vcc, s18, v20
	v_addc_co_u32_e32 v11, vcc, v21, v11, vcc
	global_load_ubyte v10, v[10:11], off
	s_add_u32 s18, s18, 1
	v_mov_b32_e32 v11, s20
	s_addc_u32 s19, s19, 0
	v_cmp_eq_u32_e32 vcc, s18, v0
	s_waitcnt vmcnt(0)
	v_and_b32_e32 v10, 0xffff, v10
	v_lshlrev_b64 v[10:11], s16, v[10:11]
	s_add_u32 s16, s16, 8
	s_addc_u32 s17, s17, 0
	v_or_b32_e32 v19, v11, v19
	s_or_b64 s[14:15], vcc, s[14:15]
	v_or_b32_e32 v18, v10, v18
	s_andn2_b64 exec, exec, s[14:15]
	s_cbranch_execnz .LBB71_30
; %bb.31:                               ;   in Loop: Header=BB71_3 Depth=1
	s_or_b64 exec, exec, s[14:15]
.LBB71_32:                              ;   in Loop: Header=BB71_3 Depth=1
	s_or_b64 exec, exec, s[12:13]
	v_mov_b32_e32 v10, v20
	v_mov_b32_e32 v11, v21
                                        ; implicit-def: $vgpr0
.LBB71_33:                              ;   in Loop: Header=BB71_3 Depth=1
	s_or_saveexec_b64 s[4:5], s[4:5]
	v_mov_b32_e32 v22, 0
	s_xor_b64 exec, exec, s[4:5]
	s_cbranch_execz .LBB71_35
; %bb.34:                               ;   in Loop: Header=BB71_3 Depth=1
	global_load_dwordx2 v[18:19], v[20:21], off
	v_add_u32_e32 v22, -8, v0
.LBB71_35:                              ;   in Loop: Header=BB71_3 Depth=1
	s_or_b64 exec, exec, s[4:5]
	v_add_co_u32_e64 v24, s[4:5], 8, v10
	v_cmp_gt_u32_e32 vcc, 8, v22
	v_addc_co_u32_e64 v25, s[4:5], 0, v11, s[4:5]
	s_and_saveexec_b64 s[4:5], vcc
	s_xor_b64 s[4:5], exec, s[4:5]
	s_cbranch_execz .LBB71_41
; %bb.36:                               ;   in Loop: Header=BB71_3 Depth=1
	v_mov_b32_e32 v20, 0
	v_mov_b32_e32 v21, 0
	v_cmp_ne_u32_e32 vcc, 0, v22
	s_and_saveexec_b64 s[12:13], vcc
	s_cbranch_execz .LBB71_40
; %bb.37:                               ;   in Loop: Header=BB71_3 Depth=1
	v_mov_b32_e32 v20, 0
	s_mov_b64 s[14:15], 0
	v_mov_b32_e32 v21, 0
	s_mov_b64 s[16:17], 0
	s_mov_b64 s[18:19], 0
.LBB71_38:                              ;   Parent Loop BB71_3 Depth=1
                                        ; =>  This Inner Loop Header: Depth=2
	v_mov_b32_e32 v0, s19
	v_add_co_u32_e32 v23, vcc, s18, v10
	v_addc_co_u32_e32 v24, vcc, v11, v0, vcc
	global_load_ubyte v0, v[23:24], off
	s_add_u32 s18, s18, 1
	v_mov_b32_e32 v24, s20
	s_addc_u32 s19, s19, 0
	v_cmp_eq_u32_e32 vcc, s18, v22
	s_waitcnt vmcnt(0)
	v_and_b32_e32 v23, 0xffff, v0
	v_lshlrev_b64 v[23:24], s16, v[23:24]
	s_add_u32 s16, s16, 8
	s_addc_u32 s17, s17, 0
	v_or_b32_e32 v21, v24, v21
	s_or_b64 s[14:15], vcc, s[14:15]
	v_or_b32_e32 v20, v23, v20
	s_andn2_b64 exec, exec, s[14:15]
	s_cbranch_execnz .LBB71_38
; %bb.39:                               ;   in Loop: Header=BB71_3 Depth=1
	s_or_b64 exec, exec, s[14:15]
.LBB71_40:                              ;   in Loop: Header=BB71_3 Depth=1
	s_or_b64 exec, exec, s[12:13]
	v_mov_b32_e32 v25, v11
	v_mov_b32_e32 v24, v10
                                        ; implicit-def: $vgpr22
.LBB71_41:                              ;   in Loop: Header=BB71_3 Depth=1
	s_or_saveexec_b64 s[4:5], s[4:5]
	v_mov_b32_e32 v0, 0
	s_xor_b64 exec, exec, s[4:5]
	s_cbranch_execz .LBB71_43
; %bb.42:                               ;   in Loop: Header=BB71_3 Depth=1
	global_load_dwordx2 v[20:21], v[10:11], off
	v_add_u32_e32 v0, -8, v22
.LBB71_43:                              ;   in Loop: Header=BB71_3 Depth=1
	s_or_b64 exec, exec, s[4:5]
	v_add_co_u32_e64 v10, s[4:5], 8, v24
	v_cmp_gt_u32_e32 vcc, 8, v0
	v_addc_co_u32_e64 v11, s[4:5], 0, v25, s[4:5]
                                        ; implicit-def: $vgpr22_vgpr23
	s_and_saveexec_b64 s[4:5], vcc
	s_xor_b64 s[4:5], exec, s[4:5]
	s_cbranch_execz .LBB71_49
; %bb.44:                               ;   in Loop: Header=BB71_3 Depth=1
	v_mov_b32_e32 v22, 0
	v_mov_b32_e32 v23, 0
	v_cmp_ne_u32_e32 vcc, 0, v0
	s_and_saveexec_b64 s[12:13], vcc
	s_cbranch_execz .LBB71_48
; %bb.45:                               ;   in Loop: Header=BB71_3 Depth=1
	v_mov_b32_e32 v22, 0
	s_mov_b64 s[14:15], 0
	v_mov_b32_e32 v23, 0
	s_mov_b64 s[16:17], 0
	s_mov_b64 s[18:19], 0
.LBB71_46:                              ;   Parent Loop BB71_3 Depth=1
                                        ; =>  This Inner Loop Header: Depth=2
	v_mov_b32_e32 v11, s19
	v_add_co_u32_e32 v10, vcc, s18, v24
	v_addc_co_u32_e32 v11, vcc, v25, v11, vcc
	global_load_ubyte v10, v[10:11], off
	s_add_u32 s18, s18, 1
	v_mov_b32_e32 v11, s20
	s_addc_u32 s19, s19, 0
	v_cmp_eq_u32_e32 vcc, s18, v0
	s_waitcnt vmcnt(0)
	v_and_b32_e32 v10, 0xffff, v10
	v_lshlrev_b64 v[10:11], s16, v[10:11]
	s_add_u32 s16, s16, 8
	s_addc_u32 s17, s17, 0
	v_or_b32_e32 v23, v11, v23
	s_or_b64 s[14:15], vcc, s[14:15]
	v_or_b32_e32 v22, v10, v22
	s_andn2_b64 exec, exec, s[14:15]
	s_cbranch_execnz .LBB71_46
; %bb.47:                               ;   in Loop: Header=BB71_3 Depth=1
	s_or_b64 exec, exec, s[14:15]
.LBB71_48:                              ;   in Loop: Header=BB71_3 Depth=1
	s_or_b64 exec, exec, s[12:13]
	v_mov_b32_e32 v10, v24
	v_mov_b32_e32 v11, v25
                                        ; implicit-def: $vgpr0
.LBB71_49:                              ;   in Loop: Header=BB71_3 Depth=1
	s_or_saveexec_b64 s[4:5], s[4:5]
	v_mov_b32_e32 v26, 0
	s_xor_b64 exec, exec, s[4:5]
	s_cbranch_execz .LBB71_51
; %bb.50:                               ;   in Loop: Header=BB71_3 Depth=1
	global_load_dwordx2 v[22:23], v[24:25], off
	v_add_u32_e32 v26, -8, v0
.LBB71_51:                              ;   in Loop: Header=BB71_3 Depth=1
	s_or_b64 exec, exec, s[4:5]
	v_cmp_gt_u32_e32 vcc, 8, v26
	s_and_saveexec_b64 s[4:5], vcc
	s_xor_b64 s[4:5], exec, s[4:5]
	s_cbranch_execz .LBB71_57
; %bb.52:                               ;   in Loop: Header=BB71_3 Depth=1
	v_mov_b32_e32 v24, 0
	v_mov_b32_e32 v25, 0
	v_cmp_ne_u32_e32 vcc, 0, v26
	s_and_saveexec_b64 s[12:13], vcc
	s_cbranch_execz .LBB71_56
; %bb.53:                               ;   in Loop: Header=BB71_3 Depth=1
	v_mov_b32_e32 v24, 0
	s_mov_b64 s[14:15], 0
	v_mov_b32_e32 v25, 0
	s_mov_b64 s[16:17], 0
.LBB71_54:                              ;   Parent Loop BB71_3 Depth=1
                                        ; =>  This Inner Loop Header: Depth=2
	global_load_ubyte v0, v[10:11], off
	v_mov_b32_e32 v28, s20
	v_add_co_u32_e32 v10, vcc, 1, v10
	v_add_u32_e32 v26, -1, v26
	v_addc_co_u32_e32 v11, vcc, 0, v11, vcc
	v_cmp_eq_u32_e32 vcc, 0, v26
	s_waitcnt vmcnt(0)
	v_and_b32_e32 v27, 0xffff, v0
	v_lshlrev_b64 v[27:28], s16, v[27:28]
	s_add_u32 s16, s16, 8
	s_addc_u32 s17, s17, 0
	v_or_b32_e32 v25, v28, v25
	s_or_b64 s[14:15], vcc, s[14:15]
	v_or_b32_e32 v24, v27, v24
	s_andn2_b64 exec, exec, s[14:15]
	s_cbranch_execnz .LBB71_54
; %bb.55:                               ;   in Loop: Header=BB71_3 Depth=1
	s_or_b64 exec, exec, s[14:15]
.LBB71_56:                              ;   in Loop: Header=BB71_3 Depth=1
	s_or_b64 exec, exec, s[12:13]
                                        ; implicit-def: $vgpr10_vgpr11
.LBB71_57:                              ;   in Loop: Header=BB71_3 Depth=1
	s_andn2_saveexec_b64 s[4:5], s[4:5]
	s_cbranch_execz .LBB71_59
; %bb.58:                               ;   in Loop: Header=BB71_3 Depth=1
	global_load_dwordx2 v[24:25], v[10:11], off
.LBB71_59:                              ;   in Loop: Header=BB71_3 Depth=1
	s_or_b64 exec, exec, s[4:5]
	v_readfirstlane_b32 s4, v38
	v_mov_b32_e32 v10, 0
	v_mov_b32_e32 v11, 0
	v_cmp_eq_u32_e64 s[4:5], s4, v38
	s_and_saveexec_b64 s[12:13], s[4:5]
	s_cbranch_execz .LBB71_65
; %bb.60:                               ;   in Loop: Header=BB71_3 Depth=1
	s_waitcnt lgkmcnt(0)
	global_load_dwordx2 v[28:29], v30, s[10:11] offset:24 glc
	s_waitcnt vmcnt(0)
	buffer_wbinvl1_vol
	global_load_dwordx2 v[10:11], v30, s[10:11] offset:40
	global_load_dwordx2 v[26:27], v30, s[10:11]
	s_waitcnt vmcnt(1)
	v_and_b32_e32 v0, v10, v28
	v_and_b32_e32 v10, v11, v29
	v_mul_lo_u32 v10, v10, 24
	v_mul_hi_u32 v11, v0, 24
	v_mul_lo_u32 v0, v0, 24
	v_add_u32_e32 v11, v11, v10
	s_waitcnt vmcnt(0)
	v_add_co_u32_e32 v10, vcc, v26, v0
	v_addc_co_u32_e32 v11, vcc, v27, v11, vcc
	global_load_dwordx2 v[26:27], v[10:11], off glc
	s_waitcnt vmcnt(0)
	global_atomic_cmpswap_x2 v[10:11], v30, v[26:29], s[10:11] offset:24 glc
	s_waitcnt vmcnt(0)
	buffer_wbinvl1_vol
	v_cmp_ne_u64_e32 vcc, v[10:11], v[28:29]
	s_and_saveexec_b64 s[14:15], vcc
	s_cbranch_execz .LBB71_64
; %bb.61:                               ;   in Loop: Header=BB71_3 Depth=1
	s_mov_b64 s[16:17], 0
.LBB71_62:                              ;   Parent Loop BB71_3 Depth=1
                                        ; =>  This Inner Loop Header: Depth=2
	s_sleep 1
	global_load_dwordx2 v[26:27], v30, s[10:11] offset:40
	global_load_dwordx2 v[35:36], v30, s[10:11]
	v_mov_b32_e32 v29, v11
	v_mov_b32_e32 v28, v10
	s_waitcnt vmcnt(1)
	v_and_b32_e32 v0, v26, v28
	s_waitcnt vmcnt(0)
	v_mad_u64_u32 v[10:11], s[18:19], v0, 24, v[35:36]
	v_and_b32_e32 v26, v27, v29
	v_mov_b32_e32 v0, v11
	v_mad_u64_u32 v[26:27], s[18:19], v26, 24, v[0:1]
	v_mov_b32_e32 v11, v26
	global_load_dwordx2 v[26:27], v[10:11], off glc
	s_waitcnt vmcnt(0)
	global_atomic_cmpswap_x2 v[10:11], v30, v[26:29], s[10:11] offset:24 glc
	s_waitcnt vmcnt(0)
	buffer_wbinvl1_vol
	v_cmp_eq_u64_e32 vcc, v[10:11], v[28:29]
	s_or_b64 s[16:17], vcc, s[16:17]
	s_andn2_b64 exec, exec, s[16:17]
	s_cbranch_execnz .LBB71_62
; %bb.63:                               ;   in Loop: Header=BB71_3 Depth=1
	s_or_b64 exec, exec, s[16:17]
.LBB71_64:                              ;   in Loop: Header=BB71_3 Depth=1
	s_or_b64 exec, exec, s[14:15]
.LBB71_65:                              ;   in Loop: Header=BB71_3 Depth=1
	s_or_b64 exec, exec, s[12:13]
	s_waitcnt lgkmcnt(0)
	global_load_dwordx2 v[35:36], v30, s[10:11] offset:40
	global_load_dwordx4 v[26:29], v30, s[10:11]
	v_readfirstlane_b32 s13, v11
	v_readfirstlane_b32 s12, v10
	s_mov_b64 s[14:15], exec
	s_waitcnt vmcnt(1)
	v_readfirstlane_b32 s16, v35
	v_readfirstlane_b32 s17, v36
	s_and_b64 s[16:17], s[16:17], s[12:13]
	s_mul_i32 s18, s17, 24
	s_mul_hi_u32 s19, s16, 24
	s_mul_i32 s22, s16, 24
	s_add_i32 s18, s19, s18
	v_mov_b32_e32 v0, s18
	s_waitcnt vmcnt(0)
	v_add_co_u32_e32 v35, vcc, s22, v26
	v_addc_co_u32_e32 v36, vcc, v27, v0, vcc
	s_and_saveexec_b64 s[18:19], s[4:5]
	s_cbranch_execz .LBB71_67
; %bb.66:                               ;   in Loop: Header=BB71_3 Depth=1
	v_mov_b32_e32 v10, s14
	v_mov_b32_e32 v11, s15
	global_store_dwordx4 v[35:36], v[10:13], off offset:8
.LBB71_67:                              ;   in Loop: Header=BB71_3 Depth=1
	s_or_b64 exec, exec, s[18:19]
	s_lshl_b64 s[14:15], s[16:17], 12
	v_mov_b32_e32 v10, s15
	v_add_co_u32_e32 v0, vcc, s14, v28
	v_addc_co_u32_e32 v28, vcc, v29, v10, vcc
	v_cmp_gt_u64_e32 vcc, 57, v[4:5]
	v_and_b32_e32 v6, 0xffffff1f, v6
	v_cndmask_b32_e32 v10, 0, v37, vcc
	v_lshl_add_u32 v11, v33, 2, 28
	v_or_b32_e32 v6, v6, v10
	v_and_or_b32 v6, v11, s21, v6
	v_lshlrev_b32_e32 v39, 6, v38
	v_readfirstlane_b32 s14, v0
	v_readfirstlane_b32 s15, v28
	s_nop 4
	global_store_dwordx4 v39, v[6:9], s[14:15]
	global_store_dwordx4 v39, v[14:17], s[14:15] offset:16
	global_store_dwordx4 v39, v[18:21], s[14:15] offset:32
	;; [unrolled: 1-line block ×3, first 2 shown]
	s_and_saveexec_b64 s[14:15], s[4:5]
	s_cbranch_execz .LBB71_75
; %bb.68:                               ;   in Loop: Header=BB71_3 Depth=1
	global_load_dwordx2 v[16:17], v30, s[10:11] offset:32 glc
	global_load_dwordx2 v[6:7], v30, s[10:11] offset:40
	v_mov_b32_e32 v14, s12
	v_mov_b32_e32 v15, s13
	s_waitcnt vmcnt(0)
	v_readfirstlane_b32 s16, v6
	v_readfirstlane_b32 s17, v7
	s_and_b64 s[16:17], s[16:17], s[12:13]
	s_mul_i32 s17, s17, 24
	s_mul_hi_u32 s18, s16, 24
	s_mul_i32 s16, s16, 24
	s_add_i32 s17, s18, s17
	v_mov_b32_e32 v6, s17
	v_add_co_u32_e32 v10, vcc, s16, v26
	v_addc_co_u32_e32 v11, vcc, v27, v6, vcc
	global_store_dwordx2 v[10:11], v[16:17], off
	s_waitcnt vmcnt(0)
	global_atomic_cmpswap_x2 v[8:9], v30, v[14:17], s[10:11] offset:32 glc
	s_waitcnt vmcnt(0)
	v_cmp_ne_u64_e32 vcc, v[8:9], v[16:17]
	s_and_saveexec_b64 s[16:17], vcc
	s_cbranch_execz .LBB71_71
; %bb.69:                               ;   in Loop: Header=BB71_3 Depth=1
	s_mov_b64 s[18:19], 0
.LBB71_70:                              ;   Parent Loop BB71_3 Depth=1
                                        ; =>  This Inner Loop Header: Depth=2
	s_sleep 1
	global_store_dwordx2 v[10:11], v[8:9], off
	v_mov_b32_e32 v6, s12
	v_mov_b32_e32 v7, s13
	s_waitcnt vmcnt(0)
	global_atomic_cmpswap_x2 v[6:7], v30, v[6:9], s[10:11] offset:32 glc
	s_waitcnt vmcnt(0)
	v_cmp_eq_u64_e32 vcc, v[6:7], v[8:9]
	v_mov_b32_e32 v9, v7
	s_or_b64 s[18:19], vcc, s[18:19]
	v_mov_b32_e32 v8, v6
	s_andn2_b64 exec, exec, s[18:19]
	s_cbranch_execnz .LBB71_70
.LBB71_71:                              ;   in Loop: Header=BB71_3 Depth=1
	s_or_b64 exec, exec, s[16:17]
	global_load_dwordx2 v[6:7], v30, s[10:11] offset:16
	s_mov_b64 s[18:19], exec
	v_mbcnt_lo_u32_b32 v8, s18, 0
	v_mbcnt_hi_u32_b32 v8, s19, v8
	v_cmp_eq_u32_e32 vcc, 0, v8
	s_and_saveexec_b64 s[16:17], vcc
	s_cbranch_execz .LBB71_73
; %bb.72:                               ;   in Loop: Header=BB71_3 Depth=1
	s_bcnt1_i32_b64 s18, s[18:19]
	v_mov_b32_e32 v29, s18
	s_waitcnt vmcnt(0)
	global_atomic_add_x2 v[6:7], v[29:30], off offset:8
.LBB71_73:                              ;   in Loop: Header=BB71_3 Depth=1
	s_or_b64 exec, exec, s[16:17]
	s_waitcnt vmcnt(0)
	global_load_dwordx2 v[8:9], v[6:7], off offset:16
	s_waitcnt vmcnt(0)
	v_cmp_eq_u64_e32 vcc, 0, v[8:9]
	s_cbranch_vccnz .LBB71_75
; %bb.74:                               ;   in Loop: Header=BB71_3 Depth=1
	global_load_dword v29, v[6:7], off offset:24
	s_waitcnt vmcnt(0)
	v_readfirstlane_b32 s16, v29
	s_and_b32 m0, s16, 0xffffff
	global_store_dwordx2 v[8:9], v[29:30], off
	s_sendmsg sendmsg(MSG_INTERRUPT)
.LBB71_75:                              ;   in Loop: Header=BB71_3 Depth=1
	s_or_b64 exec, exec, s[14:15]
	v_add_co_u32_e32 v6, vcc, v0, v39
	v_addc_co_u32_e32 v7, vcc, 0, v28, vcc
	s_branch .LBB71_79
.LBB71_76:                              ;   in Loop: Header=BB71_79 Depth=2
	s_or_b64 exec, exec, s[14:15]
	v_readfirstlane_b32 s14, v0
	s_cmp_eq_u32 s14, 0
	s_cbranch_scc1 .LBB71_78
; %bb.77:                               ;   in Loop: Header=BB71_79 Depth=2
	s_sleep 1
	s_cbranch_execnz .LBB71_79
	s_branch .LBB71_81
.LBB71_78:                              ;   in Loop: Header=BB71_3 Depth=1
	s_branch .LBB71_81
.LBB71_79:                              ;   Parent Loop BB71_3 Depth=1
                                        ; =>  This Inner Loop Header: Depth=2
	v_mov_b32_e32 v0, 1
	s_and_saveexec_b64 s[14:15], s[4:5]
	s_cbranch_execz .LBB71_76
; %bb.80:                               ;   in Loop: Header=BB71_79 Depth=2
	global_load_dword v0, v[35:36], off offset:20 glc
	s_waitcnt vmcnt(0)
	buffer_wbinvl1_vol
	v_and_b32_e32 v0, 1, v0
	s_branch .LBB71_76
.LBB71_81:                              ;   in Loop: Header=BB71_3 Depth=1
	global_load_dwordx2 v[6:7], v[6:7], off
	s_and_saveexec_b64 s[14:15], s[4:5]
	s_cbranch_execz .LBB71_2
; %bb.82:                               ;   in Loop: Header=BB71_3 Depth=1
	global_load_dwordx2 v[8:9], v30, s[10:11] offset:40
	global_load_dwordx2 v[18:19], v30, s[10:11] offset:24 glc
	global_load_dwordx2 v[10:11], v30, s[10:11]
	s_waitcnt vmcnt(2)
	v_readfirstlane_b32 s16, v8
	v_readfirstlane_b32 s17, v9
	s_add_u32 s18, s16, 1
	s_addc_u32 s19, s17, 0
	s_add_u32 s4, s18, s12
	s_addc_u32 s5, s19, s13
	s_cmp_eq_u64 s[4:5], 0
	s_cselect_b32 s5, s19, s5
	s_cselect_b32 s4, s18, s4
	s_and_b64 s[12:13], s[4:5], s[16:17]
	s_mul_i32 s13, s13, 24
	s_mul_hi_u32 s16, s12, 24
	s_mul_i32 s12, s12, 24
	s_add_i32 s13, s16, s13
	v_mov_b32_e32 v0, s13
	s_waitcnt vmcnt(0)
	v_add_co_u32_e32 v14, vcc, s12, v10
	v_addc_co_u32_e32 v15, vcc, v11, v0, vcc
	v_mov_b32_e32 v16, s4
	global_store_dwordx2 v[14:15], v[18:19], off
	v_mov_b32_e32 v17, s5
	s_waitcnt vmcnt(0)
	global_atomic_cmpswap_x2 v[10:11], v30, v[16:19], s[10:11] offset:24 glc
	s_waitcnt vmcnt(0)
	v_cmp_ne_u64_e32 vcc, v[10:11], v[18:19]
	s_and_b64 exec, exec, vcc
	s_cbranch_execz .LBB71_2
; %bb.83:                               ;   in Loop: Header=BB71_3 Depth=1
	s_mov_b64 s[12:13], 0
.LBB71_84:                              ;   Parent Loop BB71_3 Depth=1
                                        ; =>  This Inner Loop Header: Depth=2
	s_sleep 1
	global_store_dwordx2 v[14:15], v[10:11], off
	v_mov_b32_e32 v8, s4
	v_mov_b32_e32 v9, s5
	s_waitcnt vmcnt(0)
	global_atomic_cmpswap_x2 v[8:9], v30, v[8:11], s[10:11] offset:24 glc
	s_waitcnt vmcnt(0)
	v_cmp_eq_u64_e32 vcc, v[8:9], v[10:11]
	v_mov_b32_e32 v11, v9
	s_or_b64 s[12:13], vcc, s[12:13]
	v_mov_b32_e32 v10, v8
	s_andn2_b64 exec, exec, s[12:13]
	s_cbranch_execnz .LBB71_84
	s_branch .LBB71_2
.LBB71_85:
	s_or_b64 exec, exec, s[6:7]
.LBB71_86:
	s_waitcnt vmcnt(0)
	v_mov_b32_e32 v0, v6
	v_mov_b32_e32 v1, v7
	s_waitcnt lgkmcnt(0)
	s_setpc_b64 s[30:31]
.LBB71_87:
                                        ; implicit-def: $vgpr6_vgpr7
	s_cbranch_execz .LBB71_86
; %bb.88:
	s_load_dwordx2 s[6:7], s[8:9], 0x50
	v_mbcnt_hi_u32_b32 v10, -1, v2
	v_readfirstlane_b32 s4, v10
	v_mov_b32_e32 v8, 0
	v_mov_b32_e32 v9, 0
	v_cmp_eq_u32_e64 s[4:5], s4, v10
	s_and_saveexec_b64 s[8:9], s[4:5]
	s_cbranch_execz .LBB71_94
; %bb.89:
	v_mov_b32_e32 v0, 0
	s_waitcnt lgkmcnt(0)
	global_load_dwordx2 v[6:7], v0, s[6:7] offset:24 glc
	s_waitcnt vmcnt(0)
	buffer_wbinvl1_vol
	global_load_dwordx2 v[4:5], v0, s[6:7] offset:40
	global_load_dwordx2 v[8:9], v0, s[6:7]
	s_waitcnt vmcnt(1)
	v_and_b32_e32 v2, v4, v6
	v_and_b32_e32 v4, v5, v7
	v_mul_lo_u32 v4, v4, 24
	v_mul_hi_u32 v5, v2, 24
	v_mul_lo_u32 v2, v2, 24
	v_add_u32_e32 v5, v5, v4
	s_waitcnt vmcnt(0)
	v_add_co_u32_e32 v4, vcc, v8, v2
	v_addc_co_u32_e32 v5, vcc, v9, v5, vcc
	global_load_dwordx2 v[4:5], v[4:5], off glc
	s_waitcnt vmcnt(0)
	global_atomic_cmpswap_x2 v[8:9], v0, v[4:7], s[6:7] offset:24 glc
	s_waitcnt vmcnt(0)
	buffer_wbinvl1_vol
	v_cmp_ne_u64_e32 vcc, v[8:9], v[6:7]
	s_and_saveexec_b64 s[10:11], vcc
	s_cbranch_execz .LBB71_93
; %bb.90:
	s_mov_b64 s[12:13], 0
.LBB71_91:                              ; =>This Inner Loop Header: Depth=1
	s_sleep 1
	global_load_dwordx2 v[4:5], v0, s[6:7] offset:40
	global_load_dwordx2 v[11:12], v0, s[6:7]
	v_mov_b32_e32 v6, v8
	v_mov_b32_e32 v7, v9
	s_waitcnt vmcnt(1)
	v_and_b32_e32 v2, v4, v6
	s_waitcnt vmcnt(0)
	v_mad_u64_u32 v[8:9], s[14:15], v2, 24, v[11:12]
	v_and_b32_e32 v4, v5, v7
	v_mov_b32_e32 v2, v9
	v_mad_u64_u32 v[4:5], s[14:15], v4, 24, v[2:3]
	v_mov_b32_e32 v9, v4
	global_load_dwordx2 v[4:5], v[8:9], off glc
	s_waitcnt vmcnt(0)
	global_atomic_cmpswap_x2 v[8:9], v0, v[4:7], s[6:7] offset:24 glc
	s_waitcnt vmcnt(0)
	buffer_wbinvl1_vol
	v_cmp_eq_u64_e32 vcc, v[8:9], v[6:7]
	s_or_b64 s[12:13], vcc, s[12:13]
	s_andn2_b64 exec, exec, s[12:13]
	s_cbranch_execnz .LBB71_91
; %bb.92:
	s_or_b64 exec, exec, s[12:13]
.LBB71_93:
	s_or_b64 exec, exec, s[10:11]
.LBB71_94:
	s_or_b64 exec, exec, s[8:9]
	v_mov_b32_e32 v2, 0
	s_waitcnt lgkmcnt(0)
	global_load_dwordx2 v[11:12], v2, s[6:7] offset:40
	global_load_dwordx4 v[4:7], v2, s[6:7]
	v_readfirstlane_b32 s9, v9
	v_readfirstlane_b32 s8, v8
	s_mov_b64 s[10:11], exec
	s_waitcnt vmcnt(1)
	v_readfirstlane_b32 s12, v11
	v_readfirstlane_b32 s13, v12
	s_and_b64 s[12:13], s[12:13], s[8:9]
	s_mul_i32 s14, s13, 24
	s_mul_hi_u32 s15, s12, 24
	s_mul_i32 s16, s12, 24
	s_add_i32 s14, s15, s14
	v_mov_b32_e32 v0, s14
	s_waitcnt vmcnt(0)
	v_add_co_u32_e32 v8, vcc, s16, v4
	v_addc_co_u32_e32 v9, vcc, v5, v0, vcc
	s_and_saveexec_b64 s[14:15], s[4:5]
	s_cbranch_execz .LBB71_96
; %bb.95:
	v_mov_b32_e32 v12, s11
	v_mov_b32_e32 v11, s10
	;; [unrolled: 1-line block ×4, first 2 shown]
	global_store_dwordx4 v[8:9], v[11:14], off offset:8
.LBB71_96:
	s_or_b64 exec, exec, s[14:15]
	s_lshl_b64 s[10:11], s[12:13], 12
	v_mov_b32_e32 v0, s11
	v_add_co_u32_e32 v11, vcc, s10, v6
	v_addc_co_u32_e32 v12, vcc, v7, v0, vcc
	s_movk_i32 s10, 0xff1f
	v_and_or_b32 v0, v3, s10, 32
	v_lshlrev_b32_e32 v10, 6, v10
	s_mov_b32 s12, 0
	v_mov_b32_e32 v3, v2
	v_readfirstlane_b32 s10, v11
	v_readfirstlane_b32 s11, v12
	v_add_co_u32_e32 v6, vcc, v11, v10
	s_mov_b32 s13, s12
	s_mov_b32 s14, s12
	;; [unrolled: 1-line block ×3, first 2 shown]
	s_nop 0
	global_store_dwordx4 v10, v[0:3], s[10:11]
	v_addc_co_u32_e32 v7, vcc, 0, v12, vcc
	v_mov_b32_e32 v0, s12
	v_mov_b32_e32 v1, s13
	;; [unrolled: 1-line block ×4, first 2 shown]
	global_store_dwordx4 v10, v[0:3], s[10:11] offset:16
	global_store_dwordx4 v10, v[0:3], s[10:11] offset:32
	;; [unrolled: 1-line block ×3, first 2 shown]
	s_and_saveexec_b64 s[10:11], s[4:5]
	s_cbranch_execz .LBB71_104
; %bb.97:
	v_mov_b32_e32 v10, 0
	global_load_dwordx2 v[13:14], v10, s[6:7] offset:32 glc
	global_load_dwordx2 v[0:1], v10, s[6:7] offset:40
	v_mov_b32_e32 v11, s8
	v_mov_b32_e32 v12, s9
	s_waitcnt vmcnt(0)
	v_and_b32_e32 v0, s8, v0
	v_and_b32_e32 v1, s9, v1
	v_mul_lo_u32 v1, v1, 24
	v_mul_hi_u32 v2, v0, 24
	v_mul_lo_u32 v0, v0, 24
	v_add_u32_e32 v1, v2, v1
	v_add_co_u32_e32 v4, vcc, v4, v0
	v_addc_co_u32_e32 v5, vcc, v5, v1, vcc
	global_store_dwordx2 v[4:5], v[13:14], off
	s_waitcnt vmcnt(0)
	global_atomic_cmpswap_x2 v[2:3], v10, v[11:14], s[6:7] offset:32 glc
	s_waitcnt vmcnt(0)
	v_cmp_ne_u64_e32 vcc, v[2:3], v[13:14]
	s_and_saveexec_b64 s[12:13], vcc
	s_cbranch_execz .LBB71_100
; %bb.98:
	s_mov_b64 s[14:15], 0
.LBB71_99:                              ; =>This Inner Loop Header: Depth=1
	s_sleep 1
	global_store_dwordx2 v[4:5], v[2:3], off
	v_mov_b32_e32 v0, s8
	v_mov_b32_e32 v1, s9
	s_waitcnt vmcnt(0)
	global_atomic_cmpswap_x2 v[0:1], v10, v[0:3], s[6:7] offset:32 glc
	s_waitcnt vmcnt(0)
	v_cmp_eq_u64_e32 vcc, v[0:1], v[2:3]
	v_mov_b32_e32 v3, v1
	s_or_b64 s[14:15], vcc, s[14:15]
	v_mov_b32_e32 v2, v0
	s_andn2_b64 exec, exec, s[14:15]
	s_cbranch_execnz .LBB71_99
.LBB71_100:
	s_or_b64 exec, exec, s[12:13]
	v_mov_b32_e32 v3, 0
	global_load_dwordx2 v[0:1], v3, s[6:7] offset:16
	s_mov_b64 s[12:13], exec
	v_mbcnt_lo_u32_b32 v2, s12, 0
	v_mbcnt_hi_u32_b32 v2, s13, v2
	v_cmp_eq_u32_e32 vcc, 0, v2
	s_and_saveexec_b64 s[14:15], vcc
	s_cbranch_execz .LBB71_102
; %bb.101:
	s_bcnt1_i32_b64 s12, s[12:13]
	v_mov_b32_e32 v2, s12
	s_waitcnt vmcnt(0)
	global_atomic_add_x2 v[0:1], v[2:3], off offset:8
.LBB71_102:
	s_or_b64 exec, exec, s[14:15]
	s_waitcnt vmcnt(0)
	global_load_dwordx2 v[2:3], v[0:1], off offset:16
	s_waitcnt vmcnt(0)
	v_cmp_eq_u64_e32 vcc, 0, v[2:3]
	s_cbranch_vccnz .LBB71_104
; %bb.103:
	global_load_dword v0, v[0:1], off offset:24
	v_mov_b32_e32 v1, 0
	s_waitcnt vmcnt(0)
	v_readfirstlane_b32 s12, v0
	s_and_b32 m0, s12, 0xffffff
	global_store_dwordx2 v[2:3], v[0:1], off
	s_sendmsg sendmsg(MSG_INTERRUPT)
.LBB71_104:
	s_or_b64 exec, exec, s[10:11]
	s_branch .LBB71_108
.LBB71_105:                             ;   in Loop: Header=BB71_108 Depth=1
	s_or_b64 exec, exec, s[10:11]
	v_readfirstlane_b32 s10, v0
	s_cmp_eq_u32 s10, 0
	s_cbranch_scc1 .LBB71_107
; %bb.106:                              ;   in Loop: Header=BB71_108 Depth=1
	s_sleep 1
	s_cbranch_execnz .LBB71_108
	s_branch .LBB71_110
.LBB71_107:
	s_branch .LBB71_110
.LBB71_108:                             ; =>This Inner Loop Header: Depth=1
	v_mov_b32_e32 v0, 1
	s_and_saveexec_b64 s[10:11], s[4:5]
	s_cbranch_execz .LBB71_105
; %bb.109:                              ;   in Loop: Header=BB71_108 Depth=1
	global_load_dword v0, v[8:9], off offset:20 glc
	s_waitcnt vmcnt(0)
	buffer_wbinvl1_vol
	v_and_b32_e32 v0, 1, v0
	s_branch .LBB71_105
.LBB71_110:
	global_load_dwordx2 v[6:7], v[6:7], off
	s_and_saveexec_b64 s[10:11], s[4:5]
	s_cbranch_execz .LBB71_113
; %bb.111:
	v_mov_b32_e32 v8, 0
	global_load_dwordx2 v[0:1], v8, s[6:7] offset:40
	global_load_dwordx2 v[11:12], v8, s[6:7] offset:24 glc
	global_load_dwordx2 v[2:3], v8, s[6:7]
	s_waitcnt vmcnt(2)
	v_readfirstlane_b32 s12, v0
	v_readfirstlane_b32 s13, v1
	s_add_u32 s14, s12, 1
	s_addc_u32 s15, s13, 0
	s_add_u32 s4, s14, s8
	s_addc_u32 s5, s15, s9
	s_cmp_eq_u64 s[4:5], 0
	s_cselect_b32 s5, s15, s5
	s_cselect_b32 s4, s14, s4
	s_and_b64 s[8:9], s[4:5], s[12:13]
	s_mul_i32 s9, s9, 24
	s_mul_hi_u32 s12, s8, 24
	s_mul_i32 s8, s8, 24
	s_add_i32 s9, s12, s9
	v_mov_b32_e32 v0, s9
	s_waitcnt vmcnt(0)
	v_add_co_u32_e32 v4, vcc, s8, v2
	v_addc_co_u32_e32 v5, vcc, v3, v0, vcc
	v_mov_b32_e32 v9, s4
	global_store_dwordx2 v[4:5], v[11:12], off
	v_mov_b32_e32 v10, s5
	s_waitcnt vmcnt(0)
	global_atomic_cmpswap_x2 v[2:3], v8, v[9:12], s[6:7] offset:24 glc
	s_mov_b64 s[8:9], 0
	s_waitcnt vmcnt(0)
	v_cmp_ne_u64_e32 vcc, v[2:3], v[11:12]
	s_and_b64 exec, exec, vcc
	s_cbranch_execz .LBB71_113
.LBB71_112:                             ; =>This Inner Loop Header: Depth=1
	s_sleep 1
	global_store_dwordx2 v[4:5], v[2:3], off
	v_mov_b32_e32 v0, s4
	v_mov_b32_e32 v1, s5
	s_waitcnt vmcnt(0)
	global_atomic_cmpswap_x2 v[0:1], v8, v[0:3], s[6:7] offset:24 glc
	s_waitcnt vmcnt(0)
	v_cmp_eq_u64_e32 vcc, v[0:1], v[2:3]
	v_mov_b32_e32 v3, v1
	s_or_b64 s[8:9], vcc, s[8:9]
	v_mov_b32_e32 v2, v0
	s_andn2_b64 exec, exec, s[8:9]
	s_cbranch_execnz .LBB71_112
.LBB71_113:
	s_or_b64 exec, exec, s[10:11]
	s_waitcnt vmcnt(0)
	v_mov_b32_e32 v0, v6
	v_mov_b32_e32 v1, v7
	s_waitcnt lgkmcnt(0)
	s_setpc_b64 s[30:31]
.Lfunc_end71:
	.size	__ockl_printf_append_string_n, .Lfunc_end71-__ockl_printf_append_string_n
                                        ; -- End function
	.set .L__ockl_printf_append_string_n.num_vgpr, 40
	.set .L__ockl_printf_append_string_n.num_agpr, 0
	.set .L__ockl_printf_append_string_n.numbered_sgpr, 32
	.set .L__ockl_printf_append_string_n.num_named_barrier, 0
	.set .L__ockl_printf_append_string_n.private_seg_size, 0
	.set .L__ockl_printf_append_string_n.uses_vcc, 1
	.set .L__ockl_printf_append_string_n.uses_flat_scratch, 0
	.set .L__ockl_printf_append_string_n.has_dyn_sized_stack, 0
	.set .L__ockl_printf_append_string_n.has_recursion, 0
	.set .L__ockl_printf_append_string_n.has_indirect_call, 0
	.section	.AMDGPU.csdata,"",@progbits
; Function info:
; codeLenInByte = 3920
; TotalNumSgprs: 36
; NumVgprs: 40
; ScratchSize: 0
; MemoryBound: 0
	.text
	.p2align	2                               ; -- Begin function __ockl_printf_append_args
	.type	__ockl_printf_append_args,@function
__ockl_printf_append_args:              ; @__ockl_printf_append_args
; %bb.0:
	s_waitcnt vmcnt(0) expcnt(0) lgkmcnt(0)
	s_load_dwordx2 s[6:7], s[8:9], 0x50
	v_mbcnt_lo_u32_b32 v5, -1, 0
	v_mbcnt_hi_u32_b32 v11, -1, v5
	v_readfirstlane_b32 s4, v11
	v_mov_b32_e32 v9, 0
	v_mov_b32_e32 v10, 0
	v_cmp_eq_u32_e64 s[4:5], s4, v11
	s_and_saveexec_b64 s[8:9], s[4:5]
	s_cbranch_execz .LBB72_6
; %bb.1:
	v_mov_b32_e32 v5, 0
	s_waitcnt lgkmcnt(0)
	global_load_dwordx2 v[14:15], v5, s[6:7] offset:24 glc
	s_waitcnt vmcnt(0)
	buffer_wbinvl1_vol
	global_load_dwordx2 v[6:7], v5, s[6:7] offset:40
	global_load_dwordx2 v[8:9], v5, s[6:7]
	s_waitcnt vmcnt(1)
	v_and_b32_e32 v6, v6, v14
	v_and_b32_e32 v7, v7, v15
	v_mul_lo_u32 v7, v7, 24
	v_mul_hi_u32 v10, v6, 24
	v_mul_lo_u32 v6, v6, 24
	v_add_u32_e32 v7, v10, v7
	s_waitcnt vmcnt(0)
	v_add_co_u32_e32 v6, vcc, v8, v6
	v_addc_co_u32_e32 v7, vcc, v9, v7, vcc
	global_load_dwordx2 v[12:13], v[6:7], off glc
	s_waitcnt vmcnt(0)
	global_atomic_cmpswap_x2 v[9:10], v5, v[12:15], s[6:7] offset:24 glc
	s_waitcnt vmcnt(0)
	buffer_wbinvl1_vol
	v_cmp_ne_u64_e32 vcc, v[9:10], v[14:15]
	s_and_saveexec_b64 s[10:11], vcc
	s_cbranch_execz .LBB72_5
; %bb.2:
	s_mov_b64 s[12:13], 0
.LBB72_3:                               ; =>This Inner Loop Header: Depth=1
	s_sleep 1
	global_load_dwordx2 v[6:7], v5, s[6:7] offset:40
	global_load_dwordx2 v[12:13], v5, s[6:7]
	v_mov_b32_e32 v15, v10
	v_mov_b32_e32 v14, v9
	s_waitcnt vmcnt(1)
	v_and_b32_e32 v6, v6, v14
	s_waitcnt vmcnt(0)
	v_mad_u64_u32 v[8:9], s[14:15], v6, 24, v[12:13]
	v_and_b32_e32 v7, v7, v15
	v_mov_b32_e32 v6, v9
	v_mad_u64_u32 v[6:7], s[14:15], v7, 24, v[6:7]
	v_mov_b32_e32 v9, v6
	global_load_dwordx2 v[12:13], v[8:9], off glc
	s_waitcnt vmcnt(0)
	global_atomic_cmpswap_x2 v[9:10], v5, v[12:15], s[6:7] offset:24 glc
	s_waitcnt vmcnt(0)
	buffer_wbinvl1_vol
	v_cmp_eq_u64_e32 vcc, v[9:10], v[14:15]
	s_or_b64 s[12:13], vcc, s[12:13]
	s_andn2_b64 exec, exec, s[12:13]
	s_cbranch_execnz .LBB72_3
; %bb.4:
	s_or_b64 exec, exec, s[12:13]
.LBB72_5:
	s_or_b64 exec, exec, s[10:11]
.LBB72_6:
	s_or_b64 exec, exec, s[8:9]
	v_mov_b32_e32 v14, 0
	s_waitcnt lgkmcnt(0)
	global_load_dwordx2 v[12:13], v14, s[6:7] offset:40
	global_load_dwordx4 v[5:8], v14, s[6:7]
	v_readfirstlane_b32 s9, v10
	v_readfirstlane_b32 s8, v9
	s_mov_b64 s[10:11], exec
	s_waitcnt vmcnt(1)
	v_readfirstlane_b32 s12, v12
	v_readfirstlane_b32 s13, v13
	s_and_b64 s[12:13], s[12:13], s[8:9]
	s_mul_i32 s14, s13, 24
	s_mul_hi_u32 s15, s12, 24
	s_mul_i32 s16, s12, 24
	s_add_i32 s14, s15, s14
	v_mov_b32_e32 v10, s14
	s_waitcnt vmcnt(0)
	v_add_co_u32_e32 v9, vcc, s16, v5
	v_addc_co_u32_e32 v10, vcc, v6, v10, vcc
	s_and_saveexec_b64 s[14:15], s[4:5]
	s_cbranch_execz .LBB72_8
; %bb.7:
	v_mov_b32_e32 v13, s11
	v_mov_b32_e32 v12, s10
	v_mov_b32_e32 v14, 2
	v_mov_b32_e32 v15, 1
	global_store_dwordx4 v[9:10], v[12:15], off offset:8
.LBB72_8:
	s_or_b64 exec, exec, s[14:15]
	s_lshl_b64 s[10:11], s[12:13], 12
	v_mov_b32_e32 v12, s11
	v_add_co_u32_e32 v7, vcc, s10, v7
	v_addc_co_u32_e32 v8, vcc, v8, v12, vcc
	v_or_b32_e32 v12, 2, v0
	v_cmp_eq_u32_e32 vcc, 0, v4
	v_cndmask_b32_e32 v0, v12, v0, vcc
	s_movk_i32 s10, 0xff1f
	s_mov_b32 s12, 0
	v_and_or_b32 v0, v0, s10, 32
	v_lshlrev_b32_e32 v4, 6, v11
	v_readfirstlane_b32 s10, v7
	v_readfirstlane_b32 s11, v8
	s_mov_b32 s13, s12
	s_mov_b32 s14, s12
	s_mov_b32 s15, s12
	s_nop 1
	global_store_dwordx4 v4, v[0:3], s[10:11]
	s_nop 0
	v_mov_b32_e32 v0, s12
	v_mov_b32_e32 v1, s13
	;; [unrolled: 1-line block ×4, first 2 shown]
	global_store_dwordx4 v4, v[0:3], s[10:11] offset:16
	global_store_dwordx4 v4, v[0:3], s[10:11] offset:32
	;; [unrolled: 1-line block ×3, first 2 shown]
	s_and_saveexec_b64 s[10:11], s[4:5]
	s_cbranch_execz .LBB72_16
; %bb.9:
	v_mov_b32_e32 v7, 0
	global_load_dwordx2 v[13:14], v7, s[6:7] offset:32 glc
	global_load_dwordx2 v[0:1], v7, s[6:7] offset:40
	v_mov_b32_e32 v11, s8
	v_mov_b32_e32 v12, s9
	s_waitcnt vmcnt(0)
	v_and_b32_e32 v0, s8, v0
	v_and_b32_e32 v1, s9, v1
	v_mul_lo_u32 v1, v1, 24
	v_mul_hi_u32 v2, v0, 24
	v_mul_lo_u32 v0, v0, 24
	v_add_u32_e32 v1, v2, v1
	v_add_co_u32_e32 v4, vcc, v5, v0
	v_addc_co_u32_e32 v5, vcc, v6, v1, vcc
	global_store_dwordx2 v[4:5], v[13:14], off
	s_waitcnt vmcnt(0)
	global_atomic_cmpswap_x2 v[2:3], v7, v[11:14], s[6:7] offset:32 glc
	s_waitcnt vmcnt(0)
	v_cmp_ne_u64_e32 vcc, v[2:3], v[13:14]
	s_and_saveexec_b64 s[12:13], vcc
	s_cbranch_execz .LBB72_12
; %bb.10:
	s_mov_b64 s[14:15], 0
.LBB72_11:                              ; =>This Inner Loop Header: Depth=1
	s_sleep 1
	global_store_dwordx2 v[4:5], v[2:3], off
	v_mov_b32_e32 v0, s8
	v_mov_b32_e32 v1, s9
	s_waitcnt vmcnt(0)
	global_atomic_cmpswap_x2 v[0:1], v7, v[0:3], s[6:7] offset:32 glc
	s_waitcnt vmcnt(0)
	v_cmp_eq_u64_e32 vcc, v[0:1], v[2:3]
	v_mov_b32_e32 v3, v1
	s_or_b64 s[14:15], vcc, s[14:15]
	v_mov_b32_e32 v2, v0
	s_andn2_b64 exec, exec, s[14:15]
	s_cbranch_execnz .LBB72_11
.LBB72_12:
	s_or_b64 exec, exec, s[12:13]
	v_mov_b32_e32 v3, 0
	global_load_dwordx2 v[0:1], v3, s[6:7] offset:16
	s_mov_b64 s[12:13], exec
	v_mbcnt_lo_u32_b32 v2, s12, 0
	v_mbcnt_hi_u32_b32 v2, s13, v2
	v_cmp_eq_u32_e32 vcc, 0, v2
	s_and_saveexec_b64 s[14:15], vcc
	s_cbranch_execz .LBB72_14
; %bb.13:
	s_bcnt1_i32_b64 s12, s[12:13]
	v_mov_b32_e32 v2, s12
	s_waitcnt vmcnt(0)
	global_atomic_add_x2 v[0:1], v[2:3], off offset:8
.LBB72_14:
	s_or_b64 exec, exec, s[14:15]
	s_waitcnt vmcnt(0)
	global_load_dwordx2 v[2:3], v[0:1], off offset:16
	s_waitcnt vmcnt(0)
	v_cmp_eq_u64_e32 vcc, 0, v[2:3]
	s_cbranch_vccnz .LBB72_16
; %bb.15:
	global_load_dword v0, v[0:1], off offset:24
	v_mov_b32_e32 v1, 0
	s_waitcnt vmcnt(0)
	v_readfirstlane_b32 s12, v0
	s_and_b32 m0, s12, 0xffffff
	global_store_dwordx2 v[2:3], v[0:1], off
	s_sendmsg sendmsg(MSG_INTERRUPT)
.LBB72_16:
	s_or_b64 exec, exec, s[10:11]
	s_branch .LBB72_20
.LBB72_17:                              ;   in Loop: Header=BB72_20 Depth=1
	s_or_b64 exec, exec, s[10:11]
	v_readfirstlane_b32 s10, v0
	s_cmp_eq_u32 s10, 0
	s_cbranch_scc1 .LBB72_19
; %bb.18:                               ;   in Loop: Header=BB72_20 Depth=1
	s_sleep 1
	s_cbranch_execnz .LBB72_20
	s_branch .LBB72_22
.LBB72_19:
	s_branch .LBB72_22
.LBB72_20:                              ; =>This Inner Loop Header: Depth=1
	v_mov_b32_e32 v0, 1
	s_and_saveexec_b64 s[10:11], s[4:5]
	s_cbranch_execz .LBB72_17
; %bb.21:                               ;   in Loop: Header=BB72_20 Depth=1
	global_load_dword v0, v[9:10], off offset:20 glc
	s_waitcnt vmcnt(0)
	buffer_wbinvl1_vol
	v_and_b32_e32 v0, 1, v0
	s_branch .LBB72_17
.LBB72_22:
	s_and_saveexec_b64 s[10:11], s[4:5]
	s_cbranch_execz .LBB72_25
; %bb.23:
	v_mov_b32_e32 v6, 0
	global_load_dwordx2 v[0:1], v6, s[6:7] offset:40
	global_load_dwordx2 v[9:10], v6, s[6:7] offset:24 glc
	global_load_dwordx2 v[2:3], v6, s[6:7]
	s_waitcnt vmcnt(2)
	v_readfirstlane_b32 s12, v0
	v_readfirstlane_b32 s13, v1
	s_add_u32 s14, s12, 1
	s_addc_u32 s15, s13, 0
	s_add_u32 s4, s14, s8
	s_addc_u32 s5, s15, s9
	s_cmp_eq_u64 s[4:5], 0
	s_cselect_b32 s5, s15, s5
	s_cselect_b32 s4, s14, s4
	s_and_b64 s[8:9], s[4:5], s[12:13]
	s_mul_i32 s9, s9, 24
	s_mul_hi_u32 s12, s8, 24
	s_mul_i32 s8, s8, 24
	s_add_i32 s9, s12, s9
	v_mov_b32_e32 v0, s9
	s_waitcnt vmcnt(0)
	v_add_co_u32_e32 v4, vcc, s8, v2
	v_addc_co_u32_e32 v5, vcc, v3, v0, vcc
	v_mov_b32_e32 v7, s4
	global_store_dwordx2 v[4:5], v[9:10], off
	v_mov_b32_e32 v8, s5
	s_waitcnt vmcnt(0)
	global_atomic_cmpswap_x2 v[2:3], v6, v[7:10], s[6:7] offset:24 glc
	s_mov_b64 s[8:9], 0
	s_waitcnt vmcnt(0)
	v_cmp_ne_u64_e32 vcc, v[2:3], v[9:10]
	s_and_b64 exec, exec, vcc
	s_cbranch_execz .LBB72_25
.LBB72_24:                              ; =>This Inner Loop Header: Depth=1
	s_sleep 1
	global_store_dwordx2 v[4:5], v[2:3], off
	v_mov_b32_e32 v0, s4
	v_mov_b32_e32 v1, s5
	s_waitcnt vmcnt(0)
	global_atomic_cmpswap_x2 v[0:1], v6, v[0:3], s[6:7] offset:24 glc
	s_waitcnt vmcnt(0)
	v_cmp_eq_u64_e32 vcc, v[0:1], v[2:3]
	v_mov_b32_e32 v3, v1
	s_or_b64 s[8:9], vcc, s[8:9]
	v_mov_b32_e32 v2, v0
	s_andn2_b64 exec, exec, s[8:9]
	s_cbranch_execnz .LBB72_24
.LBB72_25:
	s_or_b64 exec, exec, s[10:11]
	s_waitcnt vmcnt(0) lgkmcnt(0)
	s_setpc_b64 s[30:31]
.Lfunc_end72:
	.size	__ockl_printf_append_args, .Lfunc_end72-__ockl_printf_append_args
                                        ; -- End function
	.set .L__ockl_printf_append_args.num_vgpr, 16
	.set .L__ockl_printf_append_args.num_agpr, 0
	.set .L__ockl_printf_append_args.numbered_sgpr, 32
	.set .L__ockl_printf_append_args.num_named_barrier, 0
	.set .L__ockl_printf_append_args.private_seg_size, 0
	.set .L__ockl_printf_append_args.uses_vcc, 1
	.set .L__ockl_printf_append_args.uses_flat_scratch, 0
	.set .L__ockl_printf_append_args.has_dyn_sized_stack, 0
	.set .L__ockl_printf_append_args.has_recursion, 0
	.set .L__ockl_printf_append_args.has_indirect_call, 0
	.section	.AMDGPU.csdata,"",@progbits
; Function info:
; codeLenInByte = 1204
; TotalNumSgprs: 36
; NumVgprs: 16
; ScratchSize: 0
; MemoryBound: 0
	.text
	.p2align	2                               ; -- Begin function _ZL14no_device_codePKciS0_iS0_
	.type	_ZL14no_device_codePKciS0_iS0_,@function
_ZL14no_device_codePKciS0_iS0_:         ; @_ZL14no_device_codePKciS0_iS0_
; %bb.0:
	s_waitcnt vmcnt(0) expcnt(0) lgkmcnt(0)
	s_mov_b32 s26, s33
	s_mov_b32 s33, s32
	s_or_saveexec_b64 s[4:5], -1
	buffer_store_dword v40, off, s[0:3], s33 ; 4-byte Folded Spill
	s_mov_b64 exec, s[4:5]
	v_writelane_b32 v40, s30, 0
	s_addk_i32 s32, 0x400
	v_writelane_b32 v40, s31, 1
	s_load_dwordx2 s[6:7], s[8:9], 0x50
	v_mbcnt_lo_u32_b32 v0, -1, 0
	v_mbcnt_hi_u32_b32 v30, -1, v0
	v_readfirstlane_b32 s4, v30
	v_mov_b32_e32 v5, 0
	v_mov_b32_e32 v6, 0
	v_cmp_eq_u32_e64 s[4:5], s4, v30
	s_and_saveexec_b64 s[10:11], s[4:5]
	s_cbranch_execz .LBB73_6
; %bb.1:
	v_mov_b32_e32 v0, 0
	s_waitcnt lgkmcnt(0)
	global_load_dwordx2 v[3:4], v0, s[6:7] offset:24 glc
	s_waitcnt vmcnt(0)
	buffer_wbinvl1_vol
	global_load_dwordx2 v[1:2], v0, s[6:7] offset:40
	global_load_dwordx2 v[5:6], v0, s[6:7]
	s_waitcnt vmcnt(1)
	v_and_b32_e32 v1, v1, v3
	v_and_b32_e32 v2, v2, v4
	v_mul_lo_u32 v2, v2, 24
	v_mul_hi_u32 v7, v1, 24
	v_mul_lo_u32 v1, v1, 24
	v_add_u32_e32 v2, v7, v2
	s_waitcnt vmcnt(0)
	v_add_co_u32_e32 v1, vcc, v5, v1
	v_addc_co_u32_e32 v2, vcc, v6, v2, vcc
	global_load_dwordx2 v[1:2], v[1:2], off glc
	s_waitcnt vmcnt(0)
	global_atomic_cmpswap_x2 v[5:6], v0, v[1:4], s[6:7] offset:24 glc
	s_waitcnt vmcnt(0)
	buffer_wbinvl1_vol
	v_cmp_ne_u64_e32 vcc, v[5:6], v[3:4]
	s_and_saveexec_b64 s[12:13], vcc
	s_cbranch_execz .LBB73_5
; %bb.2:
	s_mov_b64 s[14:15], 0
.LBB73_3:                               ; =>This Inner Loop Header: Depth=1
	s_sleep 1
	global_load_dwordx2 v[1:2], v0, s[6:7] offset:40
	global_load_dwordx2 v[7:8], v0, s[6:7]
	v_mov_b32_e32 v3, v5
	v_mov_b32_e32 v4, v6
	s_waitcnt vmcnt(1)
	v_and_b32_e32 v1, v1, v3
	s_waitcnt vmcnt(0)
	v_mad_u64_u32 v[5:6], s[16:17], v1, 24, v[7:8]
	v_and_b32_e32 v2, v2, v4
	v_mov_b32_e32 v1, v6
	v_mad_u64_u32 v[1:2], s[16:17], v2, 24, v[1:2]
	v_mov_b32_e32 v6, v1
	global_load_dwordx2 v[1:2], v[5:6], off glc
	s_waitcnt vmcnt(0)
	global_atomic_cmpswap_x2 v[5:6], v0, v[1:4], s[6:7] offset:24 glc
	s_waitcnt vmcnt(0)
	buffer_wbinvl1_vol
	v_cmp_eq_u64_e32 vcc, v[5:6], v[3:4]
	s_or_b64 s[14:15], vcc, s[14:15]
	s_andn2_b64 exec, exec, s[14:15]
	s_cbranch_execnz .LBB73_3
; %bb.4:
	s_or_b64 exec, exec, s[14:15]
.LBB73_5:
	s_or_b64 exec, exec, s[12:13]
.LBB73_6:
	s_or_b64 exec, exec, s[10:11]
	v_mov_b32_e32 v4, 0
	s_waitcnt lgkmcnt(0)
	global_load_dwordx2 v[7:8], v4, s[6:7] offset:40
	global_load_dwordx4 v[0:3], v4, s[6:7]
	v_readfirstlane_b32 s11, v6
	v_readfirstlane_b32 s10, v5
	s_mov_b64 s[12:13], exec
	s_waitcnt vmcnt(1)
	v_readfirstlane_b32 s14, v7
	v_readfirstlane_b32 s15, v8
	s_and_b64 s[14:15], s[14:15], s[10:11]
	s_mul_i32 s16, s15, 24
	s_mul_hi_u32 s17, s14, 24
	s_mul_i32 s18, s14, 24
	s_add_i32 s16, s17, s16
	v_mov_b32_e32 v5, s16
	s_waitcnt vmcnt(0)
	v_add_co_u32_e32 v7, vcc, s18, v0
	v_addc_co_u32_e32 v8, vcc, v1, v5, vcc
	s_and_saveexec_b64 s[16:17], s[4:5]
	s_cbranch_execz .LBB73_8
; %bb.7:
	v_mov_b32_e32 v9, s12
	v_mov_b32_e32 v10, s13
	v_mov_b32_e32 v11, 2
	v_mov_b32_e32 v12, 1
	global_store_dwordx4 v[7:8], v[9:12], off offset:8
.LBB73_8:
	s_or_b64 exec, exec, s[16:17]
	s_lshl_b64 s[12:13], s[14:15], 12
	v_mov_b32_e32 v5, s13
	v_add_co_u32_e32 v2, vcc, s12, v2
	v_addc_co_u32_e32 v11, vcc, v3, v5, vcc
	v_lshlrev_b32_e32 v29, 6, v30
	s_mov_b32 s12, 0
	v_mov_b32_e32 v3, 33
	v_mov_b32_e32 v5, v4
	;; [unrolled: 1-line block ×3, first 2 shown]
	v_readfirstlane_b32 s16, v2
	v_readfirstlane_b32 s17, v11
	v_add_co_u32_e32 v9, vcc, v2, v29
	s_mov_b32 s13, s12
	s_mov_b32 s14, s12
	;; [unrolled: 1-line block ×3, first 2 shown]
	s_nop 0
	global_store_dwordx4 v29, v[3:6], s[16:17]
	v_mov_b32_e32 v2, s12
	v_addc_co_u32_e32 v10, vcc, 0, v11, vcc
	v_mov_b32_e32 v3, s13
	v_mov_b32_e32 v4, s14
	;; [unrolled: 1-line block ×3, first 2 shown]
	global_store_dwordx4 v29, v[2:5], s[16:17] offset:16
	global_store_dwordx4 v29, v[2:5], s[16:17] offset:32
	;; [unrolled: 1-line block ×3, first 2 shown]
	s_and_saveexec_b64 s[12:13], s[4:5]
	s_cbranch_execz .LBB73_16
; %bb.9:
	v_mov_b32_e32 v6, 0
	global_load_dwordx2 v[13:14], v6, s[6:7] offset:32 glc
	global_load_dwordx2 v[2:3], v6, s[6:7] offset:40
	v_mov_b32_e32 v11, s10
	v_mov_b32_e32 v12, s11
	s_waitcnt vmcnt(0)
	v_and_b32_e32 v2, s10, v2
	v_and_b32_e32 v3, s11, v3
	v_mul_lo_u32 v3, v3, 24
	v_mul_hi_u32 v4, v2, 24
	v_mul_lo_u32 v2, v2, 24
	v_add_u32_e32 v3, v4, v3
	v_add_co_u32_e32 v4, vcc, v0, v2
	v_addc_co_u32_e32 v5, vcc, v1, v3, vcc
	global_store_dwordx2 v[4:5], v[13:14], off
	s_waitcnt vmcnt(0)
	global_atomic_cmpswap_x2 v[2:3], v6, v[11:14], s[6:7] offset:32 glc
	s_waitcnt vmcnt(0)
	v_cmp_ne_u64_e32 vcc, v[2:3], v[13:14]
	s_and_saveexec_b64 s[14:15], vcc
	s_cbranch_execz .LBB73_12
; %bb.10:
	s_mov_b64 s[16:17], 0
.LBB73_11:                              ; =>This Inner Loop Header: Depth=1
	s_sleep 1
	global_store_dwordx2 v[4:5], v[2:3], off
	v_mov_b32_e32 v0, s10
	v_mov_b32_e32 v1, s11
	s_waitcnt vmcnt(0)
	global_atomic_cmpswap_x2 v[0:1], v6, v[0:3], s[6:7] offset:32 glc
	s_waitcnt vmcnt(0)
	v_cmp_eq_u64_e32 vcc, v[0:1], v[2:3]
	v_mov_b32_e32 v3, v1
	s_or_b64 s[16:17], vcc, s[16:17]
	v_mov_b32_e32 v2, v0
	s_andn2_b64 exec, exec, s[16:17]
	s_cbranch_execnz .LBB73_11
.LBB73_12:
	s_or_b64 exec, exec, s[14:15]
	v_mov_b32_e32 v3, 0
	global_load_dwordx2 v[0:1], v3, s[6:7] offset:16
	s_mov_b64 s[14:15], exec
	v_mbcnt_lo_u32_b32 v2, s14, 0
	v_mbcnt_hi_u32_b32 v2, s15, v2
	v_cmp_eq_u32_e32 vcc, 0, v2
	s_and_saveexec_b64 s[16:17], vcc
	s_cbranch_execz .LBB73_14
; %bb.13:
	s_bcnt1_i32_b64 s14, s[14:15]
	v_mov_b32_e32 v2, s14
	s_waitcnt vmcnt(0)
	global_atomic_add_x2 v[0:1], v[2:3], off offset:8
.LBB73_14:
	s_or_b64 exec, exec, s[16:17]
	s_waitcnt vmcnt(0)
	global_load_dwordx2 v[2:3], v[0:1], off offset:16
	s_waitcnt vmcnt(0)
	v_cmp_eq_u64_e32 vcc, 0, v[2:3]
	s_cbranch_vccnz .LBB73_16
; %bb.15:
	global_load_dword v0, v[0:1], off offset:24
	v_mov_b32_e32 v1, 0
	s_waitcnt vmcnt(0)
	v_readfirstlane_b32 s14, v0
	s_and_b32 m0, s14, 0xffffff
	global_store_dwordx2 v[2:3], v[0:1], off
	s_sendmsg sendmsg(MSG_INTERRUPT)
.LBB73_16:
	s_or_b64 exec, exec, s[12:13]
	s_branch .LBB73_20
.LBB73_17:                              ;   in Loop: Header=BB73_20 Depth=1
	s_or_b64 exec, exec, s[12:13]
	v_readfirstlane_b32 s12, v0
	s_cmp_eq_u32 s12, 0
	s_cbranch_scc1 .LBB73_19
; %bb.18:                               ;   in Loop: Header=BB73_20 Depth=1
	s_sleep 1
	s_cbranch_execnz .LBB73_20
	s_branch .LBB73_22
.LBB73_19:
	s_branch .LBB73_22
.LBB73_20:                              ; =>This Inner Loop Header: Depth=1
	v_mov_b32_e32 v0, 1
	s_and_saveexec_b64 s[12:13], s[4:5]
	s_cbranch_execz .LBB73_17
; %bb.21:                               ;   in Loop: Header=BB73_20 Depth=1
	global_load_dword v0, v[7:8], off offset:20 glc
	s_waitcnt vmcnt(0)
	buffer_wbinvl1_vol
	v_and_b32_e32 v0, 1, v0
	s_branch .LBB73_17
.LBB73_22:
	global_load_dwordx2 v[4:5], v[9:10], off
	s_and_saveexec_b64 s[12:13], s[4:5]
	s_cbranch_execz .LBB73_25
; %bb.23:
	v_mov_b32_e32 v8, 0
	global_load_dwordx2 v[0:1], v8, s[6:7] offset:40
	global_load_dwordx2 v[11:12], v8, s[6:7] offset:24 glc
	global_load_dwordx2 v[2:3], v8, s[6:7]
	s_waitcnt vmcnt(2)
	v_readfirstlane_b32 s14, v0
	v_readfirstlane_b32 s15, v1
	s_add_u32 s16, s14, 1
	s_addc_u32 s17, s15, 0
	s_add_u32 s4, s16, s10
	s_addc_u32 s5, s17, s11
	s_cmp_eq_u64 s[4:5], 0
	s_cselect_b32 s5, s17, s5
	s_cselect_b32 s4, s16, s4
	s_and_b64 s[10:11], s[4:5], s[14:15]
	s_mul_i32 s11, s11, 24
	s_mul_hi_u32 s14, s10, 24
	s_mul_i32 s10, s10, 24
	s_add_i32 s11, s14, s11
	v_mov_b32_e32 v0, s11
	s_waitcnt vmcnt(0)
	v_add_co_u32_e32 v6, vcc, s10, v2
	v_addc_co_u32_e32 v7, vcc, v3, v0, vcc
	v_mov_b32_e32 v9, s4
	global_store_dwordx2 v[6:7], v[11:12], off
	v_mov_b32_e32 v10, s5
	s_waitcnt vmcnt(0)
	global_atomic_cmpswap_x2 v[2:3], v8, v[9:12], s[6:7] offset:24 glc
	s_mov_b64 s[10:11], 0
	s_waitcnt vmcnt(0)
	v_cmp_ne_u64_e32 vcc, v[2:3], v[11:12]
	s_and_b64 exec, exec, vcc
	s_cbranch_execz .LBB73_25
.LBB73_24:                              ; =>This Inner Loop Header: Depth=1
	s_sleep 1
	global_store_dwordx2 v[6:7], v[2:3], off
	v_mov_b32_e32 v0, s4
	v_mov_b32_e32 v1, s5
	s_waitcnt vmcnt(0)
	global_atomic_cmpswap_x2 v[0:1], v8, v[0:3], s[6:7] offset:24 glc
	s_waitcnt vmcnt(0)
	v_cmp_eq_u64_e32 vcc, v[0:1], v[2:3]
	v_mov_b32_e32 v3, v1
	s_or_b64 s[10:11], vcc, s[10:11]
	v_mov_b32_e32 v2, v0
	s_andn2_b64 exec, exec, s[10:11]
	s_cbranch_execnz .LBB73_24
.LBB73_25:
	s_or_b64 exec, exec, s[12:13]
	s_getpc_b64 s[10:11]
	s_add_u32 s10, s10, .str.5@rel32@lo+4
	s_addc_u32 s11, s11, .str.5@rel32@hi+12
	s_cmp_lg_u64 s[10:11], 0
	s_cbranch_scc0 .LBB73_110
; %bb.26:
	s_waitcnt vmcnt(0)
	v_and_b32_e32 v31, 2, v4
	v_mov_b32_e32 v26, 0
	v_and_b32_e32 v0, -3, v4
	v_mov_b32_e32 v1, v5
	s_mov_b64 s[12:13], 0x4d
	v_mov_b32_e32 v8, 2
	v_mov_b32_e32 v9, 1
	s_branch .LBB73_28
.LBB73_27:                              ;   in Loop: Header=BB73_28 Depth=1
	s_or_b64 exec, exec, s[18:19]
	s_sub_u32 s12, s12, s14
	s_subb_u32 s13, s13, s15
	s_add_u32 s10, s10, s14
	s_addc_u32 s11, s11, s15
	s_cmp_lg_u64 s[12:13], 0
	s_cbranch_scc0 .LBB73_111
.LBB73_28:                              ; =>This Loop Header: Depth=1
                                        ;     Child Loop BB73_31 Depth 2
                                        ;     Child Loop BB73_39 Depth 2
	;; [unrolled: 1-line block ×11, first 2 shown]
	v_cmp_lt_u64_e64 s[4:5], s[12:13], 56
	v_cmp_gt_u64_e64 s[16:17], s[12:13], 7
	s_and_b64 s[4:5], s[4:5], exec
	s_cselect_b32 s15, s13, 0
	s_cselect_b32 s14, s12, 56
	s_add_u32 s4, s10, 8
	s_addc_u32 s5, s11, 0
	s_and_b64 vcc, exec, s[16:17]
	s_cbranch_vccnz .LBB73_32
; %bb.29:                               ;   in Loop: Header=BB73_28 Depth=1
	s_cmp_eq_u64 s[12:13], 0
	s_cbranch_scc1 .LBB73_33
; %bb.30:                               ;   in Loop: Header=BB73_28 Depth=1
	v_mov_b32_e32 v2, 0
	s_lshl_b64 s[4:5], s[14:15], 3
	s_mov_b64 s[16:17], 0
	v_mov_b32_e32 v3, 0
	s_mov_b64 s[18:19], s[10:11]
.LBB73_31:                              ;   Parent Loop BB73_28 Depth=1
                                        ; =>  This Inner Loop Header: Depth=2
	global_load_ubyte v6, v26, s[18:19]
	s_waitcnt vmcnt(0)
	v_and_b32_e32 v25, 0xffff, v6
	v_lshlrev_b64 v[6:7], s16, v[25:26]
	s_add_u32 s16, s16, 8
	s_addc_u32 s17, s17, 0
	s_add_u32 s18, s18, 1
	s_addc_u32 s19, s19, 0
	v_or_b32_e32 v2, v6, v2
	s_cmp_lg_u32 s4, s16
	v_or_b32_e32 v3, v7, v3
	s_cbranch_scc1 .LBB73_31
	s_branch .LBB73_34
.LBB73_32:                              ;   in Loop: Header=BB73_28 Depth=1
	s_mov_b32 s20, 0
	s_branch .LBB73_35
.LBB73_33:                              ;   in Loop: Header=BB73_28 Depth=1
	v_mov_b32_e32 v2, 0
	v_mov_b32_e32 v3, 0
.LBB73_34:                              ;   in Loop: Header=BB73_28 Depth=1
	s_mov_b64 s[4:5], s[10:11]
	s_mov_b32 s20, 0
	s_cbranch_execnz .LBB73_36
.LBB73_35:                              ;   in Loop: Header=BB73_28 Depth=1
	global_load_dwordx2 v[2:3], v26, s[10:11]
	s_add_i32 s20, s14, -8
.LBB73_36:                              ;   in Loop: Header=BB73_28 Depth=1
	s_add_u32 s16, s4, 8
	s_addc_u32 s17, s5, 0
	s_cmp_gt_u32 s20, 7
	s_cbranch_scc1 .LBB73_40
; %bb.37:                               ;   in Loop: Header=BB73_28 Depth=1
	s_cmp_eq_u32 s20, 0
	s_cbranch_scc1 .LBB73_41
; %bb.38:                               ;   in Loop: Header=BB73_28 Depth=1
	v_mov_b32_e32 v10, 0
	s_mov_b64 s[16:17], 0
	v_mov_b32_e32 v11, 0
	s_mov_b64 s[18:19], 0
.LBB73_39:                              ;   Parent Loop BB73_28 Depth=1
                                        ; =>  This Inner Loop Header: Depth=2
	s_add_u32 s22, s4, s18
	s_addc_u32 s23, s5, s19
	global_load_ubyte v6, v26, s[22:23]
	s_add_u32 s18, s18, 1
	s_addc_u32 s19, s19, 0
	s_waitcnt vmcnt(0)
	v_and_b32_e32 v25, 0xffff, v6
	v_lshlrev_b64 v[6:7], s16, v[25:26]
	s_add_u32 s16, s16, 8
	s_addc_u32 s17, s17, 0
	v_or_b32_e32 v10, v6, v10
	s_cmp_lg_u32 s20, s18
	v_or_b32_e32 v11, v7, v11
	s_cbranch_scc1 .LBB73_39
	s_branch .LBB73_42
.LBB73_40:                              ;   in Loop: Header=BB73_28 Depth=1
                                        ; implicit-def: $vgpr10_vgpr11
	s_mov_b32 s21, 0
	s_branch .LBB73_43
.LBB73_41:                              ;   in Loop: Header=BB73_28 Depth=1
	v_mov_b32_e32 v10, 0
	v_mov_b32_e32 v11, 0
.LBB73_42:                              ;   in Loop: Header=BB73_28 Depth=1
	s_mov_b64 s[16:17], s[4:5]
	s_mov_b32 s21, 0
	s_cbranch_execnz .LBB73_44
.LBB73_43:                              ;   in Loop: Header=BB73_28 Depth=1
	global_load_dwordx2 v[10:11], v26, s[4:5]
	s_add_i32 s21, s20, -8
.LBB73_44:                              ;   in Loop: Header=BB73_28 Depth=1
	s_add_u32 s4, s16, 8
	s_addc_u32 s5, s17, 0
	s_cmp_gt_u32 s21, 7
	s_cbranch_scc1 .LBB73_48
; %bb.45:                               ;   in Loop: Header=BB73_28 Depth=1
	s_cmp_eq_u32 s21, 0
	s_cbranch_scc1 .LBB73_49
; %bb.46:                               ;   in Loop: Header=BB73_28 Depth=1
	v_mov_b32_e32 v12, 0
	s_mov_b64 s[4:5], 0
	v_mov_b32_e32 v13, 0
	s_mov_b64 s[18:19], 0
.LBB73_47:                              ;   Parent Loop BB73_28 Depth=1
                                        ; =>  This Inner Loop Header: Depth=2
	s_add_u32 s22, s16, s18
	s_addc_u32 s23, s17, s19
	global_load_ubyte v6, v26, s[22:23]
	s_add_u32 s18, s18, 1
	s_addc_u32 s19, s19, 0
	s_waitcnt vmcnt(0)
	v_and_b32_e32 v25, 0xffff, v6
	v_lshlrev_b64 v[6:7], s4, v[25:26]
	s_add_u32 s4, s4, 8
	s_addc_u32 s5, s5, 0
	v_or_b32_e32 v12, v6, v12
	s_cmp_lg_u32 s21, s18
	v_or_b32_e32 v13, v7, v13
	s_cbranch_scc1 .LBB73_47
	s_branch .LBB73_50
.LBB73_48:                              ;   in Loop: Header=BB73_28 Depth=1
	s_mov_b32 s20, 0
	s_branch .LBB73_51
.LBB73_49:                              ;   in Loop: Header=BB73_28 Depth=1
	v_mov_b32_e32 v12, 0
	v_mov_b32_e32 v13, 0
.LBB73_50:                              ;   in Loop: Header=BB73_28 Depth=1
	s_mov_b64 s[4:5], s[16:17]
	s_mov_b32 s20, 0
	s_cbranch_execnz .LBB73_52
.LBB73_51:                              ;   in Loop: Header=BB73_28 Depth=1
	global_load_dwordx2 v[12:13], v26, s[16:17]
	s_add_i32 s20, s21, -8
.LBB73_52:                              ;   in Loop: Header=BB73_28 Depth=1
	s_add_u32 s16, s4, 8
	s_addc_u32 s17, s5, 0
	s_cmp_gt_u32 s20, 7
	s_cbranch_scc1 .LBB73_56
; %bb.53:                               ;   in Loop: Header=BB73_28 Depth=1
	s_cmp_eq_u32 s20, 0
	s_cbranch_scc1 .LBB73_57
; %bb.54:                               ;   in Loop: Header=BB73_28 Depth=1
	v_mov_b32_e32 v14, 0
	s_mov_b64 s[16:17], 0
	v_mov_b32_e32 v15, 0
	s_mov_b64 s[18:19], 0
.LBB73_55:                              ;   Parent Loop BB73_28 Depth=1
                                        ; =>  This Inner Loop Header: Depth=2
	s_add_u32 s22, s4, s18
	s_addc_u32 s23, s5, s19
	global_load_ubyte v6, v26, s[22:23]
	s_add_u32 s18, s18, 1
	s_addc_u32 s19, s19, 0
	s_waitcnt vmcnt(0)
	v_and_b32_e32 v25, 0xffff, v6
	v_lshlrev_b64 v[6:7], s16, v[25:26]
	s_add_u32 s16, s16, 8
	s_addc_u32 s17, s17, 0
	v_or_b32_e32 v14, v6, v14
	s_cmp_lg_u32 s20, s18
	v_or_b32_e32 v15, v7, v15
	s_cbranch_scc1 .LBB73_55
	s_branch .LBB73_58
.LBB73_56:                              ;   in Loop: Header=BB73_28 Depth=1
                                        ; implicit-def: $vgpr14_vgpr15
	s_mov_b32 s21, 0
	s_branch .LBB73_59
.LBB73_57:                              ;   in Loop: Header=BB73_28 Depth=1
	v_mov_b32_e32 v14, 0
	v_mov_b32_e32 v15, 0
.LBB73_58:                              ;   in Loop: Header=BB73_28 Depth=1
	s_mov_b64 s[16:17], s[4:5]
	s_mov_b32 s21, 0
	s_cbranch_execnz .LBB73_60
.LBB73_59:                              ;   in Loop: Header=BB73_28 Depth=1
	global_load_dwordx2 v[14:15], v26, s[4:5]
	s_add_i32 s21, s20, -8
.LBB73_60:                              ;   in Loop: Header=BB73_28 Depth=1
	s_add_u32 s4, s16, 8
	s_addc_u32 s5, s17, 0
	s_cmp_gt_u32 s21, 7
	s_cbranch_scc1 .LBB73_64
; %bb.61:                               ;   in Loop: Header=BB73_28 Depth=1
	s_cmp_eq_u32 s21, 0
	s_cbranch_scc1 .LBB73_65
; %bb.62:                               ;   in Loop: Header=BB73_28 Depth=1
	v_mov_b32_e32 v16, 0
	s_mov_b64 s[4:5], 0
	v_mov_b32_e32 v17, 0
	s_mov_b64 s[18:19], 0
.LBB73_63:                              ;   Parent Loop BB73_28 Depth=1
                                        ; =>  This Inner Loop Header: Depth=2
	s_add_u32 s22, s16, s18
	s_addc_u32 s23, s17, s19
	global_load_ubyte v6, v26, s[22:23]
	s_add_u32 s18, s18, 1
	s_addc_u32 s19, s19, 0
	s_waitcnt vmcnt(0)
	v_and_b32_e32 v25, 0xffff, v6
	v_lshlrev_b64 v[6:7], s4, v[25:26]
	s_add_u32 s4, s4, 8
	s_addc_u32 s5, s5, 0
	v_or_b32_e32 v16, v6, v16
	s_cmp_lg_u32 s21, s18
	v_or_b32_e32 v17, v7, v17
	s_cbranch_scc1 .LBB73_63
	s_branch .LBB73_66
.LBB73_64:                              ;   in Loop: Header=BB73_28 Depth=1
	s_mov_b32 s20, 0
	s_branch .LBB73_67
.LBB73_65:                              ;   in Loop: Header=BB73_28 Depth=1
	v_mov_b32_e32 v16, 0
	v_mov_b32_e32 v17, 0
.LBB73_66:                              ;   in Loop: Header=BB73_28 Depth=1
	s_mov_b64 s[4:5], s[16:17]
	s_mov_b32 s20, 0
	s_cbranch_execnz .LBB73_68
.LBB73_67:                              ;   in Loop: Header=BB73_28 Depth=1
	global_load_dwordx2 v[16:17], v26, s[16:17]
	s_add_i32 s20, s21, -8
.LBB73_68:                              ;   in Loop: Header=BB73_28 Depth=1
	s_add_u32 s16, s4, 8
	s_addc_u32 s17, s5, 0
	s_cmp_gt_u32 s20, 7
	s_cbranch_scc1 .LBB73_72
; %bb.69:                               ;   in Loop: Header=BB73_28 Depth=1
	s_cmp_eq_u32 s20, 0
	s_cbranch_scc1 .LBB73_73
; %bb.70:                               ;   in Loop: Header=BB73_28 Depth=1
	v_mov_b32_e32 v18, 0
	s_mov_b64 s[16:17], 0
	v_mov_b32_e32 v19, 0
	s_mov_b64 s[18:19], 0
.LBB73_71:                              ;   Parent Loop BB73_28 Depth=1
                                        ; =>  This Inner Loop Header: Depth=2
	s_add_u32 s22, s4, s18
	s_addc_u32 s23, s5, s19
	global_load_ubyte v6, v26, s[22:23]
	s_add_u32 s18, s18, 1
	s_addc_u32 s19, s19, 0
	s_waitcnt vmcnt(0)
	v_and_b32_e32 v25, 0xffff, v6
	v_lshlrev_b64 v[6:7], s16, v[25:26]
	s_add_u32 s16, s16, 8
	s_addc_u32 s17, s17, 0
	v_or_b32_e32 v18, v6, v18
	s_cmp_lg_u32 s20, s18
	v_or_b32_e32 v19, v7, v19
	s_cbranch_scc1 .LBB73_71
	s_branch .LBB73_74
.LBB73_72:                              ;   in Loop: Header=BB73_28 Depth=1
                                        ; implicit-def: $vgpr18_vgpr19
	s_mov_b32 s21, 0
	s_branch .LBB73_75
.LBB73_73:                              ;   in Loop: Header=BB73_28 Depth=1
	v_mov_b32_e32 v18, 0
	v_mov_b32_e32 v19, 0
.LBB73_74:                              ;   in Loop: Header=BB73_28 Depth=1
	s_mov_b64 s[16:17], s[4:5]
	s_mov_b32 s21, 0
	s_cbranch_execnz .LBB73_76
.LBB73_75:                              ;   in Loop: Header=BB73_28 Depth=1
	global_load_dwordx2 v[18:19], v26, s[4:5]
	s_add_i32 s21, s20, -8
.LBB73_76:                              ;   in Loop: Header=BB73_28 Depth=1
	s_cmp_gt_u32 s21, 7
	s_cbranch_scc1 .LBB73_80
; %bb.77:                               ;   in Loop: Header=BB73_28 Depth=1
	s_cmp_eq_u32 s21, 0
	s_cbranch_scc1 .LBB73_81
; %bb.78:                               ;   in Loop: Header=BB73_28 Depth=1
	v_mov_b32_e32 v20, 0
	s_mov_b64 s[4:5], 0
	v_mov_b32_e32 v21, 0
	s_mov_b64 s[18:19], s[16:17]
.LBB73_79:                              ;   Parent Loop BB73_28 Depth=1
                                        ; =>  This Inner Loop Header: Depth=2
	global_load_ubyte v6, v26, s[18:19]
	s_add_i32 s21, s21, -1
	s_waitcnt vmcnt(0)
	v_and_b32_e32 v25, 0xffff, v6
	v_lshlrev_b64 v[6:7], s4, v[25:26]
	s_add_u32 s4, s4, 8
	s_addc_u32 s5, s5, 0
	s_add_u32 s18, s18, 1
	s_addc_u32 s19, s19, 0
	v_or_b32_e32 v20, v6, v20
	s_cmp_lg_u32 s21, 0
	v_or_b32_e32 v21, v7, v21
	s_cbranch_scc1 .LBB73_79
	s_branch .LBB73_82
.LBB73_80:                              ;   in Loop: Header=BB73_28 Depth=1
	s_branch .LBB73_83
.LBB73_81:                              ;   in Loop: Header=BB73_28 Depth=1
	v_mov_b32_e32 v20, 0
	v_mov_b32_e32 v21, 0
.LBB73_82:                              ;   in Loop: Header=BB73_28 Depth=1
	s_cbranch_execnz .LBB73_84
.LBB73_83:                              ;   in Loop: Header=BB73_28 Depth=1
	global_load_dwordx2 v[20:21], v26, s[16:17]
.LBB73_84:                              ;   in Loop: Header=BB73_28 Depth=1
	v_readfirstlane_b32 s4, v30
	v_mov_b32_e32 v6, 0
	v_mov_b32_e32 v7, 0
	v_cmp_eq_u32_e64 s[4:5], s4, v30
	s_and_saveexec_b64 s[16:17], s[4:5]
	s_cbranch_execz .LBB73_90
; %bb.85:                               ;   in Loop: Header=BB73_28 Depth=1
	global_load_dwordx2 v[24:25], v26, s[6:7] offset:24 glc
	s_waitcnt vmcnt(0)
	buffer_wbinvl1_vol
	global_load_dwordx2 v[6:7], v26, s[6:7] offset:40
	global_load_dwordx2 v[22:23], v26, s[6:7]
	s_waitcnt vmcnt(1)
	v_and_b32_e32 v6, v6, v24
	v_and_b32_e32 v7, v7, v25
	v_mul_lo_u32 v7, v7, 24
	v_mul_hi_u32 v27, v6, 24
	v_mul_lo_u32 v6, v6, 24
	v_add_u32_e32 v7, v27, v7
	s_waitcnt vmcnt(0)
	v_add_co_u32_e32 v6, vcc, v22, v6
	v_addc_co_u32_e32 v7, vcc, v23, v7, vcc
	global_load_dwordx2 v[22:23], v[6:7], off glc
	s_waitcnt vmcnt(0)
	global_atomic_cmpswap_x2 v[6:7], v26, v[22:25], s[6:7] offset:24 glc
	s_waitcnt vmcnt(0)
	buffer_wbinvl1_vol
	v_cmp_ne_u64_e32 vcc, v[6:7], v[24:25]
	s_and_saveexec_b64 s[18:19], vcc
	s_cbranch_execz .LBB73_89
; %bb.86:                               ;   in Loop: Header=BB73_28 Depth=1
	s_mov_b64 s[20:21], 0
.LBB73_87:                              ;   Parent Loop BB73_28 Depth=1
                                        ; =>  This Inner Loop Header: Depth=2
	s_sleep 1
	global_load_dwordx2 v[22:23], v26, s[6:7] offset:40
	global_load_dwordx2 v[27:28], v26, s[6:7]
	v_mov_b32_e32 v25, v7
	v_mov_b32_e32 v24, v6
	s_waitcnt vmcnt(1)
	v_and_b32_e32 v6, v22, v24
	s_waitcnt vmcnt(0)
	v_mad_u64_u32 v[6:7], s[22:23], v6, 24, v[27:28]
	v_and_b32_e32 v22, v23, v25
	v_mad_u64_u32 v[22:23], s[22:23], v22, 24, v[7:8]
	v_mov_b32_e32 v7, v22
	global_load_dwordx2 v[22:23], v[6:7], off glc
	s_waitcnt vmcnt(0)
	global_atomic_cmpswap_x2 v[6:7], v26, v[22:25], s[6:7] offset:24 glc
	s_waitcnt vmcnt(0)
	buffer_wbinvl1_vol
	v_cmp_eq_u64_e32 vcc, v[6:7], v[24:25]
	s_or_b64 s[20:21], vcc, s[20:21]
	s_andn2_b64 exec, exec, s[20:21]
	s_cbranch_execnz .LBB73_87
; %bb.88:                               ;   in Loop: Header=BB73_28 Depth=1
	s_or_b64 exec, exec, s[20:21]
.LBB73_89:                              ;   in Loop: Header=BB73_28 Depth=1
	s_or_b64 exec, exec, s[18:19]
.LBB73_90:                              ;   in Loop: Header=BB73_28 Depth=1
	s_or_b64 exec, exec, s[16:17]
	global_load_dwordx2 v[27:28], v26, s[6:7] offset:40
	global_load_dwordx4 v[22:25], v26, s[6:7]
	v_readfirstlane_b32 s17, v7
	v_readfirstlane_b32 s16, v6
	s_mov_b64 s[18:19], exec
	s_waitcnt vmcnt(1)
	v_readfirstlane_b32 s20, v27
	v_readfirstlane_b32 s21, v28
	s_and_b64 s[20:21], s[20:21], s[16:17]
	s_mul_i32 s22, s21, 24
	s_mul_hi_u32 s23, s20, 24
	s_mul_i32 s24, s20, 24
	s_add_i32 s22, s23, s22
	v_mov_b32_e32 v6, s22
	s_waitcnt vmcnt(0)
	v_add_co_u32_e32 v27, vcc, s24, v22
	v_addc_co_u32_e32 v28, vcc, v23, v6, vcc
	s_and_saveexec_b64 s[22:23], s[4:5]
	s_cbranch_execz .LBB73_92
; %bb.91:                               ;   in Loop: Header=BB73_28 Depth=1
	v_mov_b32_e32 v6, s18
	v_mov_b32_e32 v7, s19
	global_store_dwordx4 v[27:28], v[6:9], off offset:8
.LBB73_92:                              ;   in Loop: Header=BB73_28 Depth=1
	s_or_b64 exec, exec, s[22:23]
	s_lshl_b64 s[18:19], s[20:21], 12
	v_mov_b32_e32 v6, s19
	v_add_co_u32_e32 v24, vcc, s18, v24
	v_addc_co_u32_e32 v32, vcc, v25, v6, vcc
	v_cmp_lt_u64_e64 vcc, s[12:13], 57
	s_lshl_b32 s18, s14, 2
	v_cndmask_b32_e32 v6, 0, v31, vcc
	s_add_i32 s18, s18, 28
	v_and_b32_e32 v0, 0xffffff1f, v0
	s_and_b32 s18, s18, 0x1e0
	v_or_b32_e32 v0, v0, v6
	v_or_b32_e32 v0, s18, v0
	v_readfirstlane_b32 s18, v24
	v_readfirstlane_b32 s19, v32
	s_nop 4
	global_store_dwordx4 v29, v[0:3], s[18:19]
	global_store_dwordx4 v29, v[10:13], s[18:19] offset:16
	global_store_dwordx4 v29, v[14:17], s[18:19] offset:32
	;; [unrolled: 1-line block ×3, first 2 shown]
	s_and_saveexec_b64 s[18:19], s[4:5]
	s_cbranch_execz .LBB73_100
; %bb.93:                               ;   in Loop: Header=BB73_28 Depth=1
	global_load_dwordx2 v[12:13], v26, s[6:7] offset:32 glc
	global_load_dwordx2 v[0:1], v26, s[6:7] offset:40
	v_mov_b32_e32 v10, s16
	v_mov_b32_e32 v11, s17
	s_waitcnt vmcnt(0)
	v_readfirstlane_b32 s20, v0
	v_readfirstlane_b32 s21, v1
	s_and_b64 s[20:21], s[20:21], s[16:17]
	s_mul_i32 s21, s21, 24
	s_mul_hi_u32 s22, s20, 24
	s_mul_i32 s20, s20, 24
	s_add_i32 s21, s22, s21
	v_mov_b32_e32 v0, s21
	v_add_co_u32_e32 v6, vcc, s20, v22
	v_addc_co_u32_e32 v7, vcc, v23, v0, vcc
	global_store_dwordx2 v[6:7], v[12:13], off
	s_waitcnt vmcnt(0)
	global_atomic_cmpswap_x2 v[2:3], v26, v[10:13], s[6:7] offset:32 glc
	s_waitcnt vmcnt(0)
	v_cmp_ne_u64_e32 vcc, v[2:3], v[12:13]
	s_and_saveexec_b64 s[20:21], vcc
	s_cbranch_execz .LBB73_96
; %bb.94:                               ;   in Loop: Header=BB73_28 Depth=1
	s_mov_b64 s[22:23], 0
.LBB73_95:                              ;   Parent Loop BB73_28 Depth=1
                                        ; =>  This Inner Loop Header: Depth=2
	s_sleep 1
	global_store_dwordx2 v[6:7], v[2:3], off
	v_mov_b32_e32 v0, s16
	v_mov_b32_e32 v1, s17
	s_waitcnt vmcnt(0)
	global_atomic_cmpswap_x2 v[0:1], v26, v[0:3], s[6:7] offset:32 glc
	s_waitcnt vmcnt(0)
	v_cmp_eq_u64_e32 vcc, v[0:1], v[2:3]
	v_mov_b32_e32 v3, v1
	s_or_b64 s[22:23], vcc, s[22:23]
	v_mov_b32_e32 v2, v0
	s_andn2_b64 exec, exec, s[22:23]
	s_cbranch_execnz .LBB73_95
.LBB73_96:                              ;   in Loop: Header=BB73_28 Depth=1
	s_or_b64 exec, exec, s[20:21]
	global_load_dwordx2 v[0:1], v26, s[6:7] offset:16
	s_mov_b64 s[22:23], exec
	v_mbcnt_lo_u32_b32 v2, s22, 0
	v_mbcnt_hi_u32_b32 v2, s23, v2
	v_cmp_eq_u32_e32 vcc, 0, v2
	s_and_saveexec_b64 s[20:21], vcc
	s_cbranch_execz .LBB73_98
; %bb.97:                               ;   in Loop: Header=BB73_28 Depth=1
	s_bcnt1_i32_b64 s22, s[22:23]
	v_mov_b32_e32 v25, s22
	s_waitcnt vmcnt(0)
	global_atomic_add_x2 v[0:1], v[25:26], off offset:8
.LBB73_98:                              ;   in Loop: Header=BB73_28 Depth=1
	s_or_b64 exec, exec, s[20:21]
	s_waitcnt vmcnt(0)
	global_load_dwordx2 v[2:3], v[0:1], off offset:16
	s_waitcnt vmcnt(0)
	v_cmp_eq_u64_e32 vcc, 0, v[2:3]
	s_cbranch_vccnz .LBB73_100
; %bb.99:                               ;   in Loop: Header=BB73_28 Depth=1
	global_load_dword v25, v[0:1], off offset:24
	s_waitcnt vmcnt(0)
	v_readfirstlane_b32 s20, v25
	s_and_b32 m0, s20, 0xffffff
	global_store_dwordx2 v[2:3], v[25:26], off
	s_sendmsg sendmsg(MSG_INTERRUPT)
.LBB73_100:                             ;   in Loop: Header=BB73_28 Depth=1
	s_or_b64 exec, exec, s[18:19]
	v_add_co_u32_e32 v0, vcc, v24, v29
	v_addc_co_u32_e32 v1, vcc, 0, v32, vcc
	s_branch .LBB73_104
.LBB73_101:                             ;   in Loop: Header=BB73_104 Depth=2
	s_or_b64 exec, exec, s[18:19]
	v_readfirstlane_b32 s18, v2
	s_cmp_eq_u32 s18, 0
	s_cbranch_scc1 .LBB73_103
; %bb.102:                              ;   in Loop: Header=BB73_104 Depth=2
	s_sleep 1
	s_cbranch_execnz .LBB73_104
	s_branch .LBB73_106
.LBB73_103:                             ;   in Loop: Header=BB73_28 Depth=1
	s_branch .LBB73_106
.LBB73_104:                             ;   Parent Loop BB73_28 Depth=1
                                        ; =>  This Inner Loop Header: Depth=2
	v_mov_b32_e32 v2, 1
	s_and_saveexec_b64 s[18:19], s[4:5]
	s_cbranch_execz .LBB73_101
; %bb.105:                              ;   in Loop: Header=BB73_104 Depth=2
	global_load_dword v2, v[27:28], off offset:20 glc
	s_waitcnt vmcnt(0)
	buffer_wbinvl1_vol
	v_and_b32_e32 v2, 1, v2
	s_branch .LBB73_101
.LBB73_106:                             ;   in Loop: Header=BB73_28 Depth=1
	global_load_dwordx2 v[0:1], v[0:1], off
	s_and_saveexec_b64 s[18:19], s[4:5]
	s_cbranch_execz .LBB73_27
; %bb.107:                              ;   in Loop: Header=BB73_28 Depth=1
	global_load_dwordx2 v[2:3], v26, s[6:7] offset:40
	global_load_dwordx2 v[14:15], v26, s[6:7] offset:24 glc
	global_load_dwordx2 v[6:7], v26, s[6:7]
	s_waitcnt vmcnt(2)
	v_readfirstlane_b32 s20, v2
	v_readfirstlane_b32 s21, v3
	s_add_u32 s22, s20, 1
	s_addc_u32 s23, s21, 0
	s_add_u32 s4, s22, s16
	s_addc_u32 s5, s23, s17
	s_cmp_eq_u64 s[4:5], 0
	s_cselect_b32 s5, s23, s5
	s_cselect_b32 s4, s22, s4
	s_and_b64 s[16:17], s[4:5], s[20:21]
	s_mul_i32 s17, s17, 24
	s_mul_hi_u32 s20, s16, 24
	s_mul_i32 s16, s16, 24
	s_add_i32 s17, s20, s17
	v_mov_b32_e32 v3, s17
	s_waitcnt vmcnt(0)
	v_add_co_u32_e32 v2, vcc, s16, v6
	v_addc_co_u32_e32 v3, vcc, v7, v3, vcc
	v_mov_b32_e32 v12, s4
	global_store_dwordx2 v[2:3], v[14:15], off
	v_mov_b32_e32 v13, s5
	s_waitcnt vmcnt(0)
	global_atomic_cmpswap_x2 v[12:13], v26, v[12:15], s[6:7] offset:24 glc
	s_waitcnt vmcnt(0)
	v_cmp_ne_u64_e32 vcc, v[12:13], v[14:15]
	s_and_b64 exec, exec, vcc
	s_cbranch_execz .LBB73_27
; %bb.108:                              ;   in Loop: Header=BB73_28 Depth=1
	s_mov_b64 s[16:17], 0
.LBB73_109:                             ;   Parent Loop BB73_28 Depth=1
                                        ; =>  This Inner Loop Header: Depth=2
	s_sleep 1
	global_store_dwordx2 v[2:3], v[12:13], off
	v_mov_b32_e32 v10, s4
	v_mov_b32_e32 v11, s5
	s_waitcnt vmcnt(0)
	global_atomic_cmpswap_x2 v[6:7], v26, v[10:13], s[6:7] offset:24 glc
	s_waitcnt vmcnt(0)
	v_cmp_eq_u64_e32 vcc, v[6:7], v[12:13]
	v_mov_b32_e32 v13, v7
	s_or_b64 s[16:17], vcc, s[16:17]
	v_mov_b32_e32 v12, v6
	s_andn2_b64 exec, exec, s[16:17]
	s_cbranch_execnz .LBB73_109
	s_branch .LBB73_27
.LBB73_110:
                                        ; implicit-def: $vgpr0_vgpr1
	s_cbranch_execnz .LBB73_112
	s_branch .LBB73_138
.LBB73_111:
	s_branch .LBB73_138
.LBB73_112:
	v_readfirstlane_b32 s4, v30
	v_mov_b32_e32 v7, 0
	v_mov_b32_e32 v8, 0
	v_cmp_eq_u32_e64 s[4:5], s4, v30
	s_and_saveexec_b64 s[10:11], s[4:5]
	s_cbranch_execz .LBB73_118
; %bb.113:
	s_waitcnt vmcnt(0)
	v_mov_b32_e32 v0, 0
	global_load_dwordx2 v[9:10], v0, s[6:7] offset:24 glc
	s_waitcnt vmcnt(0)
	buffer_wbinvl1_vol
	global_load_dwordx2 v[1:2], v0, s[6:7] offset:40
	global_load_dwordx2 v[6:7], v0, s[6:7]
	s_waitcnt vmcnt(1)
	v_and_b32_e32 v1, v1, v9
	v_and_b32_e32 v2, v2, v10
	v_mul_lo_u32 v2, v2, 24
	v_mul_hi_u32 v3, v1, 24
	v_mul_lo_u32 v1, v1, 24
	v_add_u32_e32 v2, v3, v2
	s_waitcnt vmcnt(0)
	v_add_co_u32_e32 v1, vcc, v6, v1
	v_addc_co_u32_e32 v2, vcc, v7, v2, vcc
	global_load_dwordx2 v[7:8], v[1:2], off glc
	s_waitcnt vmcnt(0)
	global_atomic_cmpswap_x2 v[7:8], v0, v[7:10], s[6:7] offset:24 glc
	s_waitcnt vmcnt(0)
	buffer_wbinvl1_vol
	v_cmp_ne_u64_e32 vcc, v[7:8], v[9:10]
	s_and_saveexec_b64 s[12:13], vcc
	s_cbranch_execz .LBB73_117
; %bb.114:
	s_mov_b64 s[14:15], 0
.LBB73_115:                             ; =>This Inner Loop Header: Depth=1
	s_sleep 1
	global_load_dwordx2 v[1:2], v0, s[6:7] offset:40
	global_load_dwordx2 v[11:12], v0, s[6:7]
	v_mov_b32_e32 v10, v8
	v_mov_b32_e32 v9, v7
	s_waitcnt vmcnt(1)
	v_and_b32_e32 v1, v1, v9
	s_waitcnt vmcnt(0)
	v_mad_u64_u32 v[6:7], s[16:17], v1, 24, v[11:12]
	v_and_b32_e32 v2, v2, v10
	v_mov_b32_e32 v1, v7
	v_mad_u64_u32 v[1:2], s[16:17], v2, 24, v[1:2]
	v_mov_b32_e32 v7, v1
	global_load_dwordx2 v[7:8], v[6:7], off glc
	s_waitcnt vmcnt(0)
	global_atomic_cmpswap_x2 v[7:8], v0, v[7:10], s[6:7] offset:24 glc
	s_waitcnt vmcnt(0)
	buffer_wbinvl1_vol
	v_cmp_eq_u64_e32 vcc, v[7:8], v[9:10]
	s_or_b64 s[14:15], vcc, s[14:15]
	s_andn2_b64 exec, exec, s[14:15]
	s_cbranch_execnz .LBB73_115
; %bb.116:
	s_or_b64 exec, exec, s[14:15]
.LBB73_117:
	s_or_b64 exec, exec, s[12:13]
.LBB73_118:
	s_or_b64 exec, exec, s[10:11]
	v_mov_b32_e32 v6, 0
	global_load_dwordx2 v[9:10], v6, s[6:7] offset:40
	global_load_dwordx4 v[0:3], v6, s[6:7]
	v_readfirstlane_b32 s11, v8
	v_readfirstlane_b32 s10, v7
	s_mov_b64 s[12:13], exec
	s_waitcnt vmcnt(1)
	v_readfirstlane_b32 s14, v9
	v_readfirstlane_b32 s15, v10
	s_and_b64 s[14:15], s[14:15], s[10:11]
	s_mul_i32 s16, s15, 24
	s_mul_hi_u32 s17, s14, 24
	s_mul_i32 s18, s14, 24
	s_add_i32 s16, s17, s16
	v_mov_b32_e32 v7, s16
	s_waitcnt vmcnt(0)
	v_add_co_u32_e32 v8, vcc, s18, v0
	v_addc_co_u32_e32 v9, vcc, v1, v7, vcc
	s_and_saveexec_b64 s[16:17], s[4:5]
	s_cbranch_execz .LBB73_120
; %bb.119:
	v_mov_b32_e32 v10, s12
	v_mov_b32_e32 v11, s13
	;; [unrolled: 1-line block ×4, first 2 shown]
	global_store_dwordx4 v[8:9], v[10:13], off offset:8
.LBB73_120:
	s_or_b64 exec, exec, s[16:17]
	s_lshl_b64 s[12:13], s[14:15], 12
	v_mov_b32_e32 v7, s13
	v_add_co_u32_e32 v2, vcc, s12, v2
	v_addc_co_u32_e32 v3, vcc, v3, v7, vcc
	s_movk_i32 s12, 0xff1f
	v_and_or_b32 v4, v4, s12, 32
	v_add_co_u32_e32 v10, vcc, v2, v29
	s_mov_b32 s12, 0
	v_mov_b32_e32 v7, v6
	v_readfirstlane_b32 s16, v2
	v_readfirstlane_b32 s17, v3
	v_addc_co_u32_e32 v11, vcc, 0, v3, vcc
	s_mov_b32 s13, s12
	s_mov_b32 s14, s12
	;; [unrolled: 1-line block ×3, first 2 shown]
	s_nop 0
	global_store_dwordx4 v29, v[4:7], s[16:17]
	v_mov_b32_e32 v2, s12
	v_mov_b32_e32 v3, s13
	;; [unrolled: 1-line block ×4, first 2 shown]
	global_store_dwordx4 v29, v[2:5], s[16:17] offset:16
	global_store_dwordx4 v29, v[2:5], s[16:17] offset:32
	global_store_dwordx4 v29, v[2:5], s[16:17] offset:48
	s_and_saveexec_b64 s[12:13], s[4:5]
	s_cbranch_execz .LBB73_128
; %bb.121:
	v_mov_b32_e32 v6, 0
	global_load_dwordx2 v[14:15], v6, s[6:7] offset:32 glc
	global_load_dwordx2 v[2:3], v6, s[6:7] offset:40
	v_mov_b32_e32 v12, s10
	v_mov_b32_e32 v13, s11
	s_waitcnt vmcnt(0)
	v_readfirstlane_b32 s14, v2
	v_readfirstlane_b32 s15, v3
	s_and_b64 s[14:15], s[14:15], s[10:11]
	s_mul_i32 s15, s15, 24
	s_mul_hi_u32 s16, s14, 24
	s_mul_i32 s14, s14, 24
	s_add_i32 s15, s16, s15
	v_mov_b32_e32 v2, s15
	v_add_co_u32_e32 v4, vcc, s14, v0
	v_addc_co_u32_e32 v5, vcc, v1, v2, vcc
	global_store_dwordx2 v[4:5], v[14:15], off
	s_waitcnt vmcnt(0)
	global_atomic_cmpswap_x2 v[2:3], v6, v[12:15], s[6:7] offset:32 glc
	s_waitcnt vmcnt(0)
	v_cmp_ne_u64_e32 vcc, v[2:3], v[14:15]
	s_and_saveexec_b64 s[14:15], vcc
	s_cbranch_execz .LBB73_124
; %bb.122:
	s_mov_b64 s[16:17], 0
.LBB73_123:                             ; =>This Inner Loop Header: Depth=1
	s_sleep 1
	global_store_dwordx2 v[4:5], v[2:3], off
	v_mov_b32_e32 v0, s10
	v_mov_b32_e32 v1, s11
	s_waitcnt vmcnt(0)
	global_atomic_cmpswap_x2 v[0:1], v6, v[0:3], s[6:7] offset:32 glc
	s_waitcnt vmcnt(0)
	v_cmp_eq_u64_e32 vcc, v[0:1], v[2:3]
	v_mov_b32_e32 v3, v1
	s_or_b64 s[16:17], vcc, s[16:17]
	v_mov_b32_e32 v2, v0
	s_andn2_b64 exec, exec, s[16:17]
	s_cbranch_execnz .LBB73_123
.LBB73_124:
	s_or_b64 exec, exec, s[14:15]
	v_mov_b32_e32 v3, 0
	global_load_dwordx2 v[0:1], v3, s[6:7] offset:16
	s_mov_b64 s[14:15], exec
	v_mbcnt_lo_u32_b32 v2, s14, 0
	v_mbcnt_hi_u32_b32 v2, s15, v2
	v_cmp_eq_u32_e32 vcc, 0, v2
	s_and_saveexec_b64 s[16:17], vcc
	s_cbranch_execz .LBB73_126
; %bb.125:
	s_bcnt1_i32_b64 s14, s[14:15]
	v_mov_b32_e32 v2, s14
	s_waitcnt vmcnt(0)
	global_atomic_add_x2 v[0:1], v[2:3], off offset:8
.LBB73_126:
	s_or_b64 exec, exec, s[16:17]
	s_waitcnt vmcnt(0)
	global_load_dwordx2 v[2:3], v[0:1], off offset:16
	s_waitcnt vmcnt(0)
	v_cmp_eq_u64_e32 vcc, 0, v[2:3]
	s_cbranch_vccnz .LBB73_128
; %bb.127:
	global_load_dword v0, v[0:1], off offset:24
	v_mov_b32_e32 v1, 0
	s_waitcnt vmcnt(0)
	v_readfirstlane_b32 s14, v0
	s_and_b32 m0, s14, 0xffffff
	global_store_dwordx2 v[2:3], v[0:1], off
	s_sendmsg sendmsg(MSG_INTERRUPT)
.LBB73_128:
	s_or_b64 exec, exec, s[12:13]
	s_branch .LBB73_132
.LBB73_129:                             ;   in Loop: Header=BB73_132 Depth=1
	s_or_b64 exec, exec, s[12:13]
	v_readfirstlane_b32 s12, v0
	s_cmp_eq_u32 s12, 0
	s_cbranch_scc1 .LBB73_131
; %bb.130:                              ;   in Loop: Header=BB73_132 Depth=1
	s_sleep 1
	s_cbranch_execnz .LBB73_132
	s_branch .LBB73_134
.LBB73_131:
	s_branch .LBB73_134
.LBB73_132:                             ; =>This Inner Loop Header: Depth=1
	v_mov_b32_e32 v0, 1
	s_and_saveexec_b64 s[12:13], s[4:5]
	s_cbranch_execz .LBB73_129
; %bb.133:                              ;   in Loop: Header=BB73_132 Depth=1
	global_load_dword v0, v[8:9], off offset:20 glc
	s_waitcnt vmcnt(0)
	buffer_wbinvl1_vol
	v_and_b32_e32 v0, 1, v0
	s_branch .LBB73_129
.LBB73_134:
	global_load_dwordx2 v[0:1], v[10:11], off
	s_and_saveexec_b64 s[12:13], s[4:5]
	s_cbranch_execz .LBB73_137
; %bb.135:
	v_mov_b32_e32 v8, 0
	global_load_dwordx2 v[2:3], v8, s[6:7] offset:40
	global_load_dwordx2 v[11:12], v8, s[6:7] offset:24 glc
	global_load_dwordx2 v[4:5], v8, s[6:7]
	s_waitcnt vmcnt(2)
	v_readfirstlane_b32 s14, v2
	v_readfirstlane_b32 s15, v3
	s_add_u32 s16, s14, 1
	s_addc_u32 s17, s15, 0
	s_add_u32 s4, s16, s10
	s_addc_u32 s5, s17, s11
	s_cmp_eq_u64 s[4:5], 0
	s_cselect_b32 s5, s17, s5
	s_cselect_b32 s4, s16, s4
	s_and_b64 s[10:11], s[4:5], s[14:15]
	s_mul_i32 s11, s11, 24
	s_mul_hi_u32 s14, s10, 24
	s_mul_i32 s10, s10, 24
	s_add_i32 s11, s14, s11
	v_mov_b32_e32 v2, s11
	s_waitcnt vmcnt(0)
	v_add_co_u32_e32 v6, vcc, s10, v4
	v_addc_co_u32_e32 v7, vcc, v5, v2, vcc
	v_mov_b32_e32 v9, s4
	global_store_dwordx2 v[6:7], v[11:12], off
	v_mov_b32_e32 v10, s5
	s_waitcnt vmcnt(0)
	global_atomic_cmpswap_x2 v[4:5], v8, v[9:12], s[6:7] offset:24 glc
	s_mov_b64 s[10:11], 0
	s_waitcnt vmcnt(0)
	v_cmp_ne_u64_e32 vcc, v[4:5], v[11:12]
	s_and_b64 exec, exec, vcc
	s_cbranch_execz .LBB73_137
.LBB73_136:                             ; =>This Inner Loop Header: Depth=1
	s_sleep 1
	global_store_dwordx2 v[6:7], v[4:5], off
	v_mov_b32_e32 v2, s4
	v_mov_b32_e32 v3, s5
	s_waitcnt vmcnt(0)
	global_atomic_cmpswap_x2 v[2:3], v8, v[2:5], s[6:7] offset:24 glc
	s_waitcnt vmcnt(0)
	v_cmp_eq_u64_e32 vcc, v[2:3], v[4:5]
	v_mov_b32_e32 v5, v3
	s_or_b64 s[10:11], vcc, s[10:11]
	v_mov_b32_e32 v4, v2
	s_andn2_b64 exec, exec, s[10:11]
	s_cbranch_execnz .LBB73_136
.LBB73_137:
	s_or_b64 exec, exec, s[12:13]
.LBB73_138:
	s_getpc_b64 s[10:11]
	s_add_u32 s10, s10, .str.3@rel32@lo+4
	s_addc_u32 s11, s11, .str.3@rel32@hi+12
	s_cmp_lg_u64 s[10:11], 0
	s_cselect_b64 s[4:5], -1, 0
	s_cmp_eq_u64 s[10:11], 0
	s_mov_b64 s[10:11], 0
	s_cbranch_scc1 .LBB73_142
; %bb.139:
	v_mov_b32_e32 v2, 0
	s_getpc_b64 s[10:11]
	s_add_u32 s10, s10, .str.3@rel32@lo+3
	s_addc_u32 s11, s11, .str.3@rel32@hi+11
.LBB73_140:                             ; =>This Inner Loop Header: Depth=1
	global_load_ubyte v3, v2, s[10:11] offset:1
	s_add_u32 s12, s10, 1
	s_addc_u32 s13, s11, 0
	s_mov_b64 s[10:11], s[12:13]
	s_waitcnt vmcnt(0)
	v_cmp_ne_u32_e32 vcc, 0, v3
	s_cbranch_vccnz .LBB73_140
; %bb.141:
	s_getpc_b64 s[10:11]
	s_add_u32 s10, s10, .str.3@rel32@lo+4
	s_addc_u32 s11, s11, .str.3@rel32@hi+12
	s_sub_u32 s10, s12, s10
	s_subb_u32 s11, s13, s11
	s_add_u32 s10, s10, 1
	s_addc_u32 s11, s11, 0
.LBB73_142:
	s_and_b64 vcc, exec, s[4:5]
	s_cbranch_vccz .LBB73_227
; %bb.143:
	s_waitcnt vmcnt(0)
	v_and_b32_e32 v31, 2, v0
	v_mov_b32_e32 v26, 0
	v_and_b32_e32 v2, -3, v0
	v_mov_b32_e32 v3, v1
	v_mov_b32_e32 v8, 2
	;; [unrolled: 1-line block ×3, first 2 shown]
	s_getpc_b64 s[12:13]
	s_add_u32 s12, s12, .str.3@rel32@lo+4
	s_addc_u32 s13, s13, .str.3@rel32@hi+12
	s_branch .LBB73_145
.LBB73_144:                             ;   in Loop: Header=BB73_145 Depth=1
	s_or_b64 exec, exec, s[18:19]
	s_sub_u32 s10, s10, s14
	s_subb_u32 s11, s11, s15
	s_add_u32 s12, s12, s14
	s_addc_u32 s13, s13, s15
	s_cmp_lg_u64 s[10:11], 0
	s_cbranch_scc0 .LBB73_228
.LBB73_145:                             ; =>This Loop Header: Depth=1
                                        ;     Child Loop BB73_148 Depth 2
                                        ;     Child Loop BB73_156 Depth 2
	;; [unrolled: 1-line block ×11, first 2 shown]
	v_cmp_lt_u64_e64 s[4:5], s[10:11], 56
	v_cmp_gt_u64_e64 s[16:17], s[10:11], 7
	s_and_b64 s[4:5], s[4:5], exec
	s_cselect_b32 s15, s11, 0
	s_cselect_b32 s14, s10, 56
	s_add_u32 s4, s12, 8
	s_addc_u32 s5, s13, 0
	s_and_b64 vcc, exec, s[16:17]
	s_cbranch_vccnz .LBB73_149
; %bb.146:                              ;   in Loop: Header=BB73_145 Depth=1
	s_cmp_eq_u64 s[10:11], 0
	s_cbranch_scc1 .LBB73_150
; %bb.147:                              ;   in Loop: Header=BB73_145 Depth=1
	v_mov_b32_e32 v4, 0
	s_lshl_b64 s[4:5], s[14:15], 3
	s_mov_b64 s[16:17], 0
	v_mov_b32_e32 v5, 0
	s_mov_b64 s[18:19], s[12:13]
.LBB73_148:                             ;   Parent Loop BB73_145 Depth=1
                                        ; =>  This Inner Loop Header: Depth=2
	global_load_ubyte v6, v26, s[18:19]
	s_waitcnt vmcnt(0)
	v_and_b32_e32 v25, 0xffff, v6
	v_lshlrev_b64 v[6:7], s16, v[25:26]
	s_add_u32 s16, s16, 8
	s_addc_u32 s17, s17, 0
	s_add_u32 s18, s18, 1
	s_addc_u32 s19, s19, 0
	v_or_b32_e32 v4, v6, v4
	s_cmp_lg_u32 s4, s16
	v_or_b32_e32 v5, v7, v5
	s_cbranch_scc1 .LBB73_148
	s_branch .LBB73_151
.LBB73_149:                             ;   in Loop: Header=BB73_145 Depth=1
	s_mov_b32 s20, 0
	s_branch .LBB73_152
.LBB73_150:                             ;   in Loop: Header=BB73_145 Depth=1
	v_mov_b32_e32 v4, 0
	v_mov_b32_e32 v5, 0
.LBB73_151:                             ;   in Loop: Header=BB73_145 Depth=1
	s_mov_b64 s[4:5], s[12:13]
	s_mov_b32 s20, 0
	s_cbranch_execnz .LBB73_153
.LBB73_152:                             ;   in Loop: Header=BB73_145 Depth=1
	global_load_dwordx2 v[4:5], v26, s[12:13]
	s_add_i32 s20, s14, -8
.LBB73_153:                             ;   in Loop: Header=BB73_145 Depth=1
	s_add_u32 s16, s4, 8
	s_addc_u32 s17, s5, 0
	s_cmp_gt_u32 s20, 7
	s_cbranch_scc1 .LBB73_157
; %bb.154:                              ;   in Loop: Header=BB73_145 Depth=1
	s_cmp_eq_u32 s20, 0
	s_cbranch_scc1 .LBB73_158
; %bb.155:                              ;   in Loop: Header=BB73_145 Depth=1
	v_mov_b32_e32 v10, 0
	s_mov_b64 s[16:17], 0
	v_mov_b32_e32 v11, 0
	s_mov_b64 s[18:19], 0
.LBB73_156:                             ;   Parent Loop BB73_145 Depth=1
                                        ; =>  This Inner Loop Header: Depth=2
	s_add_u32 s22, s4, s18
	s_addc_u32 s23, s5, s19
	global_load_ubyte v6, v26, s[22:23]
	s_add_u32 s18, s18, 1
	s_addc_u32 s19, s19, 0
	s_waitcnt vmcnt(0)
	v_and_b32_e32 v25, 0xffff, v6
	v_lshlrev_b64 v[6:7], s16, v[25:26]
	s_add_u32 s16, s16, 8
	s_addc_u32 s17, s17, 0
	v_or_b32_e32 v10, v6, v10
	s_cmp_lg_u32 s20, s18
	v_or_b32_e32 v11, v7, v11
	s_cbranch_scc1 .LBB73_156
	s_branch .LBB73_159
.LBB73_157:                             ;   in Loop: Header=BB73_145 Depth=1
                                        ; implicit-def: $vgpr10_vgpr11
	s_mov_b32 s21, 0
	s_branch .LBB73_160
.LBB73_158:                             ;   in Loop: Header=BB73_145 Depth=1
	v_mov_b32_e32 v10, 0
	v_mov_b32_e32 v11, 0
.LBB73_159:                             ;   in Loop: Header=BB73_145 Depth=1
	s_mov_b64 s[16:17], s[4:5]
	s_mov_b32 s21, 0
	s_cbranch_execnz .LBB73_161
.LBB73_160:                             ;   in Loop: Header=BB73_145 Depth=1
	global_load_dwordx2 v[10:11], v26, s[4:5]
	s_add_i32 s21, s20, -8
.LBB73_161:                             ;   in Loop: Header=BB73_145 Depth=1
	s_add_u32 s4, s16, 8
	s_addc_u32 s5, s17, 0
	s_cmp_gt_u32 s21, 7
	s_cbranch_scc1 .LBB73_165
; %bb.162:                              ;   in Loop: Header=BB73_145 Depth=1
	s_cmp_eq_u32 s21, 0
	s_cbranch_scc1 .LBB73_166
; %bb.163:                              ;   in Loop: Header=BB73_145 Depth=1
	v_mov_b32_e32 v12, 0
	s_mov_b64 s[4:5], 0
	v_mov_b32_e32 v13, 0
	s_mov_b64 s[18:19], 0
.LBB73_164:                             ;   Parent Loop BB73_145 Depth=1
                                        ; =>  This Inner Loop Header: Depth=2
	s_add_u32 s22, s16, s18
	s_addc_u32 s23, s17, s19
	global_load_ubyte v6, v26, s[22:23]
	s_add_u32 s18, s18, 1
	s_addc_u32 s19, s19, 0
	s_waitcnt vmcnt(0)
	v_and_b32_e32 v25, 0xffff, v6
	v_lshlrev_b64 v[6:7], s4, v[25:26]
	s_add_u32 s4, s4, 8
	s_addc_u32 s5, s5, 0
	v_or_b32_e32 v12, v6, v12
	s_cmp_lg_u32 s21, s18
	v_or_b32_e32 v13, v7, v13
	s_cbranch_scc1 .LBB73_164
	s_branch .LBB73_167
.LBB73_165:                             ;   in Loop: Header=BB73_145 Depth=1
	s_mov_b32 s20, 0
	s_branch .LBB73_168
.LBB73_166:                             ;   in Loop: Header=BB73_145 Depth=1
	v_mov_b32_e32 v12, 0
	v_mov_b32_e32 v13, 0
.LBB73_167:                             ;   in Loop: Header=BB73_145 Depth=1
	s_mov_b64 s[4:5], s[16:17]
	s_mov_b32 s20, 0
	s_cbranch_execnz .LBB73_169
.LBB73_168:                             ;   in Loop: Header=BB73_145 Depth=1
	global_load_dwordx2 v[12:13], v26, s[16:17]
	s_add_i32 s20, s21, -8
.LBB73_169:                             ;   in Loop: Header=BB73_145 Depth=1
	s_add_u32 s16, s4, 8
	s_addc_u32 s17, s5, 0
	s_cmp_gt_u32 s20, 7
	s_cbranch_scc1 .LBB73_173
; %bb.170:                              ;   in Loop: Header=BB73_145 Depth=1
	s_cmp_eq_u32 s20, 0
	s_cbranch_scc1 .LBB73_174
; %bb.171:                              ;   in Loop: Header=BB73_145 Depth=1
	v_mov_b32_e32 v14, 0
	s_mov_b64 s[16:17], 0
	v_mov_b32_e32 v15, 0
	s_mov_b64 s[18:19], 0
.LBB73_172:                             ;   Parent Loop BB73_145 Depth=1
                                        ; =>  This Inner Loop Header: Depth=2
	s_add_u32 s22, s4, s18
	s_addc_u32 s23, s5, s19
	global_load_ubyte v6, v26, s[22:23]
	s_add_u32 s18, s18, 1
	s_addc_u32 s19, s19, 0
	s_waitcnt vmcnt(0)
	v_and_b32_e32 v25, 0xffff, v6
	v_lshlrev_b64 v[6:7], s16, v[25:26]
	s_add_u32 s16, s16, 8
	s_addc_u32 s17, s17, 0
	v_or_b32_e32 v14, v6, v14
	s_cmp_lg_u32 s20, s18
	v_or_b32_e32 v15, v7, v15
	s_cbranch_scc1 .LBB73_172
	s_branch .LBB73_175
.LBB73_173:                             ;   in Loop: Header=BB73_145 Depth=1
                                        ; implicit-def: $vgpr14_vgpr15
	s_mov_b32 s21, 0
	s_branch .LBB73_176
.LBB73_174:                             ;   in Loop: Header=BB73_145 Depth=1
	v_mov_b32_e32 v14, 0
	v_mov_b32_e32 v15, 0
.LBB73_175:                             ;   in Loop: Header=BB73_145 Depth=1
	s_mov_b64 s[16:17], s[4:5]
	s_mov_b32 s21, 0
	s_cbranch_execnz .LBB73_177
.LBB73_176:                             ;   in Loop: Header=BB73_145 Depth=1
	global_load_dwordx2 v[14:15], v26, s[4:5]
	s_add_i32 s21, s20, -8
.LBB73_177:                             ;   in Loop: Header=BB73_145 Depth=1
	s_add_u32 s4, s16, 8
	s_addc_u32 s5, s17, 0
	s_cmp_gt_u32 s21, 7
	s_cbranch_scc1 .LBB73_181
; %bb.178:                              ;   in Loop: Header=BB73_145 Depth=1
	s_cmp_eq_u32 s21, 0
	s_cbranch_scc1 .LBB73_182
; %bb.179:                              ;   in Loop: Header=BB73_145 Depth=1
	v_mov_b32_e32 v16, 0
	s_mov_b64 s[4:5], 0
	v_mov_b32_e32 v17, 0
	s_mov_b64 s[18:19], 0
.LBB73_180:                             ;   Parent Loop BB73_145 Depth=1
                                        ; =>  This Inner Loop Header: Depth=2
	s_add_u32 s22, s16, s18
	s_addc_u32 s23, s17, s19
	global_load_ubyte v6, v26, s[22:23]
	s_add_u32 s18, s18, 1
	s_addc_u32 s19, s19, 0
	s_waitcnt vmcnt(0)
	v_and_b32_e32 v25, 0xffff, v6
	v_lshlrev_b64 v[6:7], s4, v[25:26]
	s_add_u32 s4, s4, 8
	s_addc_u32 s5, s5, 0
	v_or_b32_e32 v16, v6, v16
	s_cmp_lg_u32 s21, s18
	v_or_b32_e32 v17, v7, v17
	s_cbranch_scc1 .LBB73_180
	s_branch .LBB73_183
.LBB73_181:                             ;   in Loop: Header=BB73_145 Depth=1
	s_mov_b32 s20, 0
	s_branch .LBB73_184
.LBB73_182:                             ;   in Loop: Header=BB73_145 Depth=1
	v_mov_b32_e32 v16, 0
	v_mov_b32_e32 v17, 0
.LBB73_183:                             ;   in Loop: Header=BB73_145 Depth=1
	s_mov_b64 s[4:5], s[16:17]
	s_mov_b32 s20, 0
	s_cbranch_execnz .LBB73_185
.LBB73_184:                             ;   in Loop: Header=BB73_145 Depth=1
	global_load_dwordx2 v[16:17], v26, s[16:17]
	s_add_i32 s20, s21, -8
.LBB73_185:                             ;   in Loop: Header=BB73_145 Depth=1
	s_add_u32 s16, s4, 8
	s_addc_u32 s17, s5, 0
	s_cmp_gt_u32 s20, 7
	s_cbranch_scc1 .LBB73_189
; %bb.186:                              ;   in Loop: Header=BB73_145 Depth=1
	s_cmp_eq_u32 s20, 0
	s_cbranch_scc1 .LBB73_190
; %bb.187:                              ;   in Loop: Header=BB73_145 Depth=1
	v_mov_b32_e32 v18, 0
	s_mov_b64 s[16:17], 0
	v_mov_b32_e32 v19, 0
	s_mov_b64 s[18:19], 0
.LBB73_188:                             ;   Parent Loop BB73_145 Depth=1
                                        ; =>  This Inner Loop Header: Depth=2
	s_add_u32 s22, s4, s18
	s_addc_u32 s23, s5, s19
	global_load_ubyte v6, v26, s[22:23]
	s_add_u32 s18, s18, 1
	s_addc_u32 s19, s19, 0
	s_waitcnt vmcnt(0)
	v_and_b32_e32 v25, 0xffff, v6
	v_lshlrev_b64 v[6:7], s16, v[25:26]
	s_add_u32 s16, s16, 8
	s_addc_u32 s17, s17, 0
	v_or_b32_e32 v18, v6, v18
	s_cmp_lg_u32 s20, s18
	v_or_b32_e32 v19, v7, v19
	s_cbranch_scc1 .LBB73_188
	s_branch .LBB73_191
.LBB73_189:                             ;   in Loop: Header=BB73_145 Depth=1
                                        ; implicit-def: $vgpr18_vgpr19
	s_mov_b32 s21, 0
	s_branch .LBB73_192
.LBB73_190:                             ;   in Loop: Header=BB73_145 Depth=1
	v_mov_b32_e32 v18, 0
	v_mov_b32_e32 v19, 0
.LBB73_191:                             ;   in Loop: Header=BB73_145 Depth=1
	s_mov_b64 s[16:17], s[4:5]
	s_mov_b32 s21, 0
	s_cbranch_execnz .LBB73_193
.LBB73_192:                             ;   in Loop: Header=BB73_145 Depth=1
	global_load_dwordx2 v[18:19], v26, s[4:5]
	s_add_i32 s21, s20, -8
.LBB73_193:                             ;   in Loop: Header=BB73_145 Depth=1
	s_cmp_gt_u32 s21, 7
	s_cbranch_scc1 .LBB73_197
; %bb.194:                              ;   in Loop: Header=BB73_145 Depth=1
	s_cmp_eq_u32 s21, 0
	s_cbranch_scc1 .LBB73_198
; %bb.195:                              ;   in Loop: Header=BB73_145 Depth=1
	v_mov_b32_e32 v20, 0
	s_mov_b64 s[4:5], 0
	v_mov_b32_e32 v21, 0
	s_mov_b64 s[18:19], s[16:17]
.LBB73_196:                             ;   Parent Loop BB73_145 Depth=1
                                        ; =>  This Inner Loop Header: Depth=2
	global_load_ubyte v6, v26, s[18:19]
	s_add_i32 s21, s21, -1
	s_waitcnt vmcnt(0)
	v_and_b32_e32 v25, 0xffff, v6
	v_lshlrev_b64 v[6:7], s4, v[25:26]
	s_add_u32 s4, s4, 8
	s_addc_u32 s5, s5, 0
	s_add_u32 s18, s18, 1
	s_addc_u32 s19, s19, 0
	v_or_b32_e32 v20, v6, v20
	s_cmp_lg_u32 s21, 0
	v_or_b32_e32 v21, v7, v21
	s_cbranch_scc1 .LBB73_196
	s_branch .LBB73_199
.LBB73_197:                             ;   in Loop: Header=BB73_145 Depth=1
	s_branch .LBB73_200
.LBB73_198:                             ;   in Loop: Header=BB73_145 Depth=1
	v_mov_b32_e32 v20, 0
	v_mov_b32_e32 v21, 0
.LBB73_199:                             ;   in Loop: Header=BB73_145 Depth=1
	s_cbranch_execnz .LBB73_201
.LBB73_200:                             ;   in Loop: Header=BB73_145 Depth=1
	global_load_dwordx2 v[20:21], v26, s[16:17]
.LBB73_201:                             ;   in Loop: Header=BB73_145 Depth=1
	v_readfirstlane_b32 s4, v30
	v_mov_b32_e32 v6, 0
	v_mov_b32_e32 v7, 0
	v_cmp_eq_u32_e64 s[4:5], s4, v30
	s_and_saveexec_b64 s[16:17], s[4:5]
	s_cbranch_execz .LBB73_207
; %bb.202:                              ;   in Loop: Header=BB73_145 Depth=1
	global_load_dwordx2 v[24:25], v26, s[6:7] offset:24 glc
	s_waitcnt vmcnt(0)
	buffer_wbinvl1_vol
	global_load_dwordx2 v[6:7], v26, s[6:7] offset:40
	global_load_dwordx2 v[22:23], v26, s[6:7]
	s_waitcnt vmcnt(1)
	v_and_b32_e32 v6, v6, v24
	v_and_b32_e32 v7, v7, v25
	v_mul_lo_u32 v7, v7, 24
	v_mul_hi_u32 v27, v6, 24
	v_mul_lo_u32 v6, v6, 24
	v_add_u32_e32 v7, v27, v7
	s_waitcnt vmcnt(0)
	v_add_co_u32_e32 v6, vcc, v22, v6
	v_addc_co_u32_e32 v7, vcc, v23, v7, vcc
	global_load_dwordx2 v[22:23], v[6:7], off glc
	s_waitcnt vmcnt(0)
	global_atomic_cmpswap_x2 v[6:7], v26, v[22:25], s[6:7] offset:24 glc
	s_waitcnt vmcnt(0)
	buffer_wbinvl1_vol
	v_cmp_ne_u64_e32 vcc, v[6:7], v[24:25]
	s_and_saveexec_b64 s[18:19], vcc
	s_cbranch_execz .LBB73_206
; %bb.203:                              ;   in Loop: Header=BB73_145 Depth=1
	s_mov_b64 s[20:21], 0
.LBB73_204:                             ;   Parent Loop BB73_145 Depth=1
                                        ; =>  This Inner Loop Header: Depth=2
	s_sleep 1
	global_load_dwordx2 v[22:23], v26, s[6:7] offset:40
	global_load_dwordx2 v[27:28], v26, s[6:7]
	v_mov_b32_e32 v25, v7
	v_mov_b32_e32 v24, v6
	s_waitcnt vmcnt(1)
	v_and_b32_e32 v6, v22, v24
	s_waitcnt vmcnt(0)
	v_mad_u64_u32 v[6:7], s[22:23], v6, 24, v[27:28]
	v_and_b32_e32 v22, v23, v25
	v_mad_u64_u32 v[22:23], s[22:23], v22, 24, v[7:8]
	v_mov_b32_e32 v7, v22
	global_load_dwordx2 v[22:23], v[6:7], off glc
	s_waitcnt vmcnt(0)
	global_atomic_cmpswap_x2 v[6:7], v26, v[22:25], s[6:7] offset:24 glc
	s_waitcnt vmcnt(0)
	buffer_wbinvl1_vol
	v_cmp_eq_u64_e32 vcc, v[6:7], v[24:25]
	s_or_b64 s[20:21], vcc, s[20:21]
	s_andn2_b64 exec, exec, s[20:21]
	s_cbranch_execnz .LBB73_204
; %bb.205:                              ;   in Loop: Header=BB73_145 Depth=1
	s_or_b64 exec, exec, s[20:21]
.LBB73_206:                             ;   in Loop: Header=BB73_145 Depth=1
	s_or_b64 exec, exec, s[18:19]
.LBB73_207:                             ;   in Loop: Header=BB73_145 Depth=1
	s_or_b64 exec, exec, s[16:17]
	global_load_dwordx2 v[27:28], v26, s[6:7] offset:40
	global_load_dwordx4 v[22:25], v26, s[6:7]
	v_readfirstlane_b32 s17, v7
	v_readfirstlane_b32 s16, v6
	s_mov_b64 s[18:19], exec
	s_waitcnt vmcnt(1)
	v_readfirstlane_b32 s20, v27
	v_readfirstlane_b32 s21, v28
	s_and_b64 s[20:21], s[20:21], s[16:17]
	s_mul_i32 s22, s21, 24
	s_mul_hi_u32 s23, s20, 24
	s_mul_i32 s24, s20, 24
	s_add_i32 s22, s23, s22
	v_mov_b32_e32 v6, s22
	s_waitcnt vmcnt(0)
	v_add_co_u32_e32 v27, vcc, s24, v22
	v_addc_co_u32_e32 v28, vcc, v23, v6, vcc
	s_and_saveexec_b64 s[22:23], s[4:5]
	s_cbranch_execz .LBB73_209
; %bb.208:                              ;   in Loop: Header=BB73_145 Depth=1
	v_mov_b32_e32 v6, s18
	v_mov_b32_e32 v7, s19
	global_store_dwordx4 v[27:28], v[6:9], off offset:8
.LBB73_209:                             ;   in Loop: Header=BB73_145 Depth=1
	s_or_b64 exec, exec, s[22:23]
	s_lshl_b64 s[18:19], s[20:21], 12
	v_mov_b32_e32 v6, s19
	v_add_co_u32_e32 v24, vcc, s18, v24
	v_addc_co_u32_e32 v32, vcc, v25, v6, vcc
	v_cmp_lt_u64_e64 vcc, s[10:11], 57
	s_lshl_b32 s18, s14, 2
	v_cndmask_b32_e32 v6, 0, v31, vcc
	s_add_i32 s18, s18, 28
	v_and_b32_e32 v2, 0xffffff1f, v2
	s_and_b32 s18, s18, 0x1e0
	v_or_b32_e32 v2, v2, v6
	v_or_b32_e32 v2, s18, v2
	v_readfirstlane_b32 s18, v24
	v_readfirstlane_b32 s19, v32
	s_nop 4
	global_store_dwordx4 v29, v[2:5], s[18:19]
	global_store_dwordx4 v29, v[10:13], s[18:19] offset:16
	global_store_dwordx4 v29, v[14:17], s[18:19] offset:32
	;; [unrolled: 1-line block ×3, first 2 shown]
	s_and_saveexec_b64 s[18:19], s[4:5]
	s_cbranch_execz .LBB73_217
; %bb.210:                              ;   in Loop: Header=BB73_145 Depth=1
	global_load_dwordx2 v[12:13], v26, s[6:7] offset:32 glc
	global_load_dwordx2 v[2:3], v26, s[6:7] offset:40
	v_mov_b32_e32 v10, s16
	v_mov_b32_e32 v11, s17
	s_waitcnt vmcnt(0)
	v_readfirstlane_b32 s20, v2
	v_readfirstlane_b32 s21, v3
	s_and_b64 s[20:21], s[20:21], s[16:17]
	s_mul_i32 s21, s21, 24
	s_mul_hi_u32 s22, s20, 24
	s_mul_i32 s20, s20, 24
	s_add_i32 s21, s22, s21
	v_mov_b32_e32 v2, s21
	v_add_co_u32_e32 v6, vcc, s20, v22
	v_addc_co_u32_e32 v7, vcc, v23, v2, vcc
	global_store_dwordx2 v[6:7], v[12:13], off
	s_waitcnt vmcnt(0)
	global_atomic_cmpswap_x2 v[4:5], v26, v[10:13], s[6:7] offset:32 glc
	s_waitcnt vmcnt(0)
	v_cmp_ne_u64_e32 vcc, v[4:5], v[12:13]
	s_and_saveexec_b64 s[20:21], vcc
	s_cbranch_execz .LBB73_213
; %bb.211:                              ;   in Loop: Header=BB73_145 Depth=1
	s_mov_b64 s[22:23], 0
.LBB73_212:                             ;   Parent Loop BB73_145 Depth=1
                                        ; =>  This Inner Loop Header: Depth=2
	s_sleep 1
	global_store_dwordx2 v[6:7], v[4:5], off
	v_mov_b32_e32 v2, s16
	v_mov_b32_e32 v3, s17
	s_waitcnt vmcnt(0)
	global_atomic_cmpswap_x2 v[2:3], v26, v[2:5], s[6:7] offset:32 glc
	s_waitcnt vmcnt(0)
	v_cmp_eq_u64_e32 vcc, v[2:3], v[4:5]
	v_mov_b32_e32 v5, v3
	s_or_b64 s[22:23], vcc, s[22:23]
	v_mov_b32_e32 v4, v2
	s_andn2_b64 exec, exec, s[22:23]
	s_cbranch_execnz .LBB73_212
.LBB73_213:                             ;   in Loop: Header=BB73_145 Depth=1
	s_or_b64 exec, exec, s[20:21]
	global_load_dwordx2 v[2:3], v26, s[6:7] offset:16
	s_mov_b64 s[22:23], exec
	v_mbcnt_lo_u32_b32 v4, s22, 0
	v_mbcnt_hi_u32_b32 v4, s23, v4
	v_cmp_eq_u32_e32 vcc, 0, v4
	s_and_saveexec_b64 s[20:21], vcc
	s_cbranch_execz .LBB73_215
; %bb.214:                              ;   in Loop: Header=BB73_145 Depth=1
	s_bcnt1_i32_b64 s22, s[22:23]
	v_mov_b32_e32 v25, s22
	s_waitcnt vmcnt(0)
	global_atomic_add_x2 v[2:3], v[25:26], off offset:8
.LBB73_215:                             ;   in Loop: Header=BB73_145 Depth=1
	s_or_b64 exec, exec, s[20:21]
	s_waitcnt vmcnt(0)
	global_load_dwordx2 v[4:5], v[2:3], off offset:16
	s_waitcnt vmcnt(0)
	v_cmp_eq_u64_e32 vcc, 0, v[4:5]
	s_cbranch_vccnz .LBB73_217
; %bb.216:                              ;   in Loop: Header=BB73_145 Depth=1
	global_load_dword v25, v[2:3], off offset:24
	s_waitcnt vmcnt(0)
	v_readfirstlane_b32 s20, v25
	s_and_b32 m0, s20, 0xffffff
	global_store_dwordx2 v[4:5], v[25:26], off
	s_sendmsg sendmsg(MSG_INTERRUPT)
.LBB73_217:                             ;   in Loop: Header=BB73_145 Depth=1
	s_or_b64 exec, exec, s[18:19]
	v_add_co_u32_e32 v2, vcc, v24, v29
	v_addc_co_u32_e32 v3, vcc, 0, v32, vcc
	s_branch .LBB73_221
.LBB73_218:                             ;   in Loop: Header=BB73_221 Depth=2
	s_or_b64 exec, exec, s[18:19]
	v_readfirstlane_b32 s18, v4
	s_cmp_eq_u32 s18, 0
	s_cbranch_scc1 .LBB73_220
; %bb.219:                              ;   in Loop: Header=BB73_221 Depth=2
	s_sleep 1
	s_cbranch_execnz .LBB73_221
	s_branch .LBB73_223
.LBB73_220:                             ;   in Loop: Header=BB73_145 Depth=1
	s_branch .LBB73_223
.LBB73_221:                             ;   Parent Loop BB73_145 Depth=1
                                        ; =>  This Inner Loop Header: Depth=2
	v_mov_b32_e32 v4, 1
	s_and_saveexec_b64 s[18:19], s[4:5]
	s_cbranch_execz .LBB73_218
; %bb.222:                              ;   in Loop: Header=BB73_221 Depth=2
	global_load_dword v4, v[27:28], off offset:20 glc
	s_waitcnt vmcnt(0)
	buffer_wbinvl1_vol
	v_and_b32_e32 v4, 1, v4
	s_branch .LBB73_218
.LBB73_223:                             ;   in Loop: Header=BB73_145 Depth=1
	global_load_dwordx2 v[2:3], v[2:3], off
	s_and_saveexec_b64 s[18:19], s[4:5]
	s_cbranch_execz .LBB73_144
; %bb.224:                              ;   in Loop: Header=BB73_145 Depth=1
	global_load_dwordx2 v[4:5], v26, s[6:7] offset:40
	global_load_dwordx2 v[14:15], v26, s[6:7] offset:24 glc
	global_load_dwordx2 v[6:7], v26, s[6:7]
	s_waitcnt vmcnt(2)
	v_readfirstlane_b32 s20, v4
	v_readfirstlane_b32 s21, v5
	s_add_u32 s22, s20, 1
	s_addc_u32 s23, s21, 0
	s_add_u32 s4, s22, s16
	s_addc_u32 s5, s23, s17
	s_cmp_eq_u64 s[4:5], 0
	s_cselect_b32 s5, s23, s5
	s_cselect_b32 s4, s22, s4
	s_and_b64 s[16:17], s[4:5], s[20:21]
	s_mul_i32 s17, s17, 24
	s_mul_hi_u32 s20, s16, 24
	s_mul_i32 s16, s16, 24
	s_add_i32 s17, s20, s17
	v_mov_b32_e32 v4, s17
	s_waitcnt vmcnt(0)
	v_add_co_u32_e32 v10, vcc, s16, v6
	v_addc_co_u32_e32 v11, vcc, v7, v4, vcc
	v_mov_b32_e32 v12, s4
	global_store_dwordx2 v[10:11], v[14:15], off
	v_mov_b32_e32 v13, s5
	s_waitcnt vmcnt(0)
	global_atomic_cmpswap_x2 v[6:7], v26, v[12:15], s[6:7] offset:24 glc
	s_waitcnt vmcnt(0)
	v_cmp_ne_u64_e32 vcc, v[6:7], v[14:15]
	s_and_b64 exec, exec, vcc
	s_cbranch_execz .LBB73_144
; %bb.225:                              ;   in Loop: Header=BB73_145 Depth=1
	s_mov_b64 s[16:17], 0
.LBB73_226:                             ;   Parent Loop BB73_145 Depth=1
                                        ; =>  This Inner Loop Header: Depth=2
	s_sleep 1
	global_store_dwordx2 v[10:11], v[6:7], off
	v_mov_b32_e32 v4, s4
	v_mov_b32_e32 v5, s5
	s_waitcnt vmcnt(0)
	global_atomic_cmpswap_x2 v[4:5], v26, v[4:7], s[6:7] offset:24 glc
	s_waitcnt vmcnt(0)
	v_cmp_eq_u64_e32 vcc, v[4:5], v[6:7]
	v_mov_b32_e32 v7, v5
	s_or_b64 s[16:17], vcc, s[16:17]
	v_mov_b32_e32 v6, v4
	s_andn2_b64 exec, exec, s[16:17]
	s_cbranch_execnz .LBB73_226
	s_branch .LBB73_144
.LBB73_227:
                                        ; implicit-def: $vgpr2_vgpr3
	s_cbranch_execnz .LBB73_229
	s_branch .LBB73_255
.LBB73_228:
	s_branch .LBB73_255
.LBB73_229:
	v_readfirstlane_b32 s4, v30
	v_mov_b32_e32 v8, 0
	v_mov_b32_e32 v9, 0
	v_cmp_eq_u32_e64 s[4:5], s4, v30
	s_and_saveexec_b64 s[10:11], s[4:5]
	s_cbranch_execz .LBB73_235
; %bb.230:
	s_waitcnt vmcnt(0)
	v_mov_b32_e32 v2, 0
	global_load_dwordx2 v[5:6], v2, s[6:7] offset:24 glc
	s_waitcnt vmcnt(0)
	buffer_wbinvl1_vol
	global_load_dwordx2 v[3:4], v2, s[6:7] offset:40
	global_load_dwordx2 v[7:8], v2, s[6:7]
	s_waitcnt vmcnt(1)
	v_and_b32_e32 v3, v3, v5
	v_and_b32_e32 v4, v4, v6
	v_mul_lo_u32 v4, v4, 24
	v_mul_hi_u32 v9, v3, 24
	v_mul_lo_u32 v3, v3, 24
	v_add_u32_e32 v4, v9, v4
	s_waitcnt vmcnt(0)
	v_add_co_u32_e32 v3, vcc, v7, v3
	v_addc_co_u32_e32 v4, vcc, v8, v4, vcc
	global_load_dwordx2 v[3:4], v[3:4], off glc
	s_waitcnt vmcnt(0)
	global_atomic_cmpswap_x2 v[8:9], v2, v[3:6], s[6:7] offset:24 glc
	s_waitcnt vmcnt(0)
	buffer_wbinvl1_vol
	v_cmp_ne_u64_e32 vcc, v[8:9], v[5:6]
	s_and_saveexec_b64 s[12:13], vcc
	s_cbranch_execz .LBB73_234
; %bb.231:
	s_mov_b64 s[14:15], 0
.LBB73_232:                             ; =>This Inner Loop Header: Depth=1
	s_sleep 1
	global_load_dwordx2 v[3:4], v2, s[6:7] offset:40
	global_load_dwordx2 v[10:11], v2, s[6:7]
	v_mov_b32_e32 v5, v8
	v_mov_b32_e32 v6, v9
	s_waitcnt vmcnt(1)
	v_and_b32_e32 v3, v3, v5
	s_waitcnt vmcnt(0)
	v_mad_u64_u32 v[7:8], s[16:17], v3, 24, v[10:11]
	v_and_b32_e32 v4, v4, v6
	v_mov_b32_e32 v3, v8
	v_mad_u64_u32 v[3:4], s[16:17], v4, 24, v[3:4]
	v_mov_b32_e32 v8, v3
	global_load_dwordx2 v[3:4], v[7:8], off glc
	s_waitcnt vmcnt(0)
	global_atomic_cmpswap_x2 v[8:9], v2, v[3:6], s[6:7] offset:24 glc
	s_waitcnt vmcnt(0)
	buffer_wbinvl1_vol
	v_cmp_eq_u64_e32 vcc, v[8:9], v[5:6]
	s_or_b64 s[14:15], vcc, s[14:15]
	s_andn2_b64 exec, exec, s[14:15]
	s_cbranch_execnz .LBB73_232
; %bb.233:
	s_or_b64 exec, exec, s[14:15]
.LBB73_234:
	s_or_b64 exec, exec, s[12:13]
.LBB73_235:
	s_or_b64 exec, exec, s[10:11]
	s_waitcnt vmcnt(0)
	v_mov_b32_e32 v2, 0
	global_load_dwordx2 v[10:11], v2, s[6:7] offset:40
	global_load_dwordx4 v[4:7], v2, s[6:7]
	v_readfirstlane_b32 s11, v9
	v_readfirstlane_b32 s10, v8
	s_mov_b64 s[12:13], exec
	s_waitcnt vmcnt(1)
	v_readfirstlane_b32 s14, v10
	v_readfirstlane_b32 s15, v11
	s_and_b64 s[14:15], s[14:15], s[10:11]
	s_mul_i32 s16, s15, 24
	s_mul_hi_u32 s17, s14, 24
	s_mul_i32 s18, s14, 24
	s_add_i32 s16, s17, s16
	v_mov_b32_e32 v3, s16
	s_waitcnt vmcnt(0)
	v_add_co_u32_e32 v8, vcc, s18, v4
	v_addc_co_u32_e32 v9, vcc, v5, v3, vcc
	s_and_saveexec_b64 s[16:17], s[4:5]
	s_cbranch_execz .LBB73_237
; %bb.236:
	v_mov_b32_e32 v10, s12
	v_mov_b32_e32 v11, s13
	;; [unrolled: 1-line block ×4, first 2 shown]
	global_store_dwordx4 v[8:9], v[10:13], off offset:8
.LBB73_237:
	s_or_b64 exec, exec, s[16:17]
	s_lshl_b64 s[12:13], s[14:15], 12
	v_mov_b32_e32 v3, s13
	v_add_co_u32_e32 v10, vcc, s12, v6
	v_addc_co_u32_e32 v11, vcc, v7, v3, vcc
	s_movk_i32 s12, 0xff1f
	v_and_or_b32 v0, v0, s12, 32
	s_mov_b32 s12, 0
	v_mov_b32_e32 v3, v2
	v_readfirstlane_b32 s16, v10
	v_readfirstlane_b32 s17, v11
	v_add_co_u32_e32 v6, vcc, v10, v29
	s_mov_b32 s13, s12
	s_mov_b32 s14, s12
	;; [unrolled: 1-line block ×3, first 2 shown]
	s_nop 0
	global_store_dwordx4 v29, v[0:3], s[16:17]
	v_addc_co_u32_e32 v7, vcc, 0, v11, vcc
	v_mov_b32_e32 v0, s12
	v_mov_b32_e32 v1, s13
	;; [unrolled: 1-line block ×4, first 2 shown]
	global_store_dwordx4 v29, v[0:3], s[16:17] offset:16
	global_store_dwordx4 v29, v[0:3], s[16:17] offset:32
	global_store_dwordx4 v29, v[0:3], s[16:17] offset:48
	s_and_saveexec_b64 s[12:13], s[4:5]
	s_cbranch_execz .LBB73_245
; %bb.238:
	v_mov_b32_e32 v10, 0
	global_load_dwordx2 v[13:14], v10, s[6:7] offset:32 glc
	global_load_dwordx2 v[0:1], v10, s[6:7] offset:40
	v_mov_b32_e32 v11, s10
	v_mov_b32_e32 v12, s11
	s_waitcnt vmcnt(0)
	v_readfirstlane_b32 s14, v0
	v_readfirstlane_b32 s15, v1
	s_and_b64 s[14:15], s[14:15], s[10:11]
	s_mul_i32 s15, s15, 24
	s_mul_hi_u32 s16, s14, 24
	s_mul_i32 s14, s14, 24
	s_add_i32 s15, s16, s15
	v_mov_b32_e32 v0, s15
	v_add_co_u32_e32 v4, vcc, s14, v4
	v_addc_co_u32_e32 v5, vcc, v5, v0, vcc
	global_store_dwordx2 v[4:5], v[13:14], off
	s_waitcnt vmcnt(0)
	global_atomic_cmpswap_x2 v[2:3], v10, v[11:14], s[6:7] offset:32 glc
	s_waitcnt vmcnt(0)
	v_cmp_ne_u64_e32 vcc, v[2:3], v[13:14]
	s_and_saveexec_b64 s[14:15], vcc
	s_cbranch_execz .LBB73_241
; %bb.239:
	s_mov_b64 s[16:17], 0
.LBB73_240:                             ; =>This Inner Loop Header: Depth=1
	s_sleep 1
	global_store_dwordx2 v[4:5], v[2:3], off
	v_mov_b32_e32 v0, s10
	v_mov_b32_e32 v1, s11
	s_waitcnt vmcnt(0)
	global_atomic_cmpswap_x2 v[0:1], v10, v[0:3], s[6:7] offset:32 glc
	s_waitcnt vmcnt(0)
	v_cmp_eq_u64_e32 vcc, v[0:1], v[2:3]
	v_mov_b32_e32 v3, v1
	s_or_b64 s[16:17], vcc, s[16:17]
	v_mov_b32_e32 v2, v0
	s_andn2_b64 exec, exec, s[16:17]
	s_cbranch_execnz .LBB73_240
.LBB73_241:
	s_or_b64 exec, exec, s[14:15]
	v_mov_b32_e32 v3, 0
	global_load_dwordx2 v[0:1], v3, s[6:7] offset:16
	s_mov_b64 s[14:15], exec
	v_mbcnt_lo_u32_b32 v2, s14, 0
	v_mbcnt_hi_u32_b32 v2, s15, v2
	v_cmp_eq_u32_e32 vcc, 0, v2
	s_and_saveexec_b64 s[16:17], vcc
	s_cbranch_execz .LBB73_243
; %bb.242:
	s_bcnt1_i32_b64 s14, s[14:15]
	v_mov_b32_e32 v2, s14
	s_waitcnt vmcnt(0)
	global_atomic_add_x2 v[0:1], v[2:3], off offset:8
.LBB73_243:
	s_or_b64 exec, exec, s[16:17]
	s_waitcnt vmcnt(0)
	global_load_dwordx2 v[2:3], v[0:1], off offset:16
	s_waitcnt vmcnt(0)
	v_cmp_eq_u64_e32 vcc, 0, v[2:3]
	s_cbranch_vccnz .LBB73_245
; %bb.244:
	global_load_dword v0, v[0:1], off offset:24
	v_mov_b32_e32 v1, 0
	s_waitcnt vmcnt(0)
	v_readfirstlane_b32 s14, v0
	s_and_b32 m0, s14, 0xffffff
	global_store_dwordx2 v[2:3], v[0:1], off
	s_sendmsg sendmsg(MSG_INTERRUPT)
.LBB73_245:
	s_or_b64 exec, exec, s[12:13]
	s_branch .LBB73_249
.LBB73_246:                             ;   in Loop: Header=BB73_249 Depth=1
	s_or_b64 exec, exec, s[12:13]
	v_readfirstlane_b32 s12, v0
	s_cmp_eq_u32 s12, 0
	s_cbranch_scc1 .LBB73_248
; %bb.247:                              ;   in Loop: Header=BB73_249 Depth=1
	s_sleep 1
	s_cbranch_execnz .LBB73_249
	s_branch .LBB73_251
.LBB73_248:
	s_branch .LBB73_251
.LBB73_249:                             ; =>This Inner Loop Header: Depth=1
	v_mov_b32_e32 v0, 1
	s_and_saveexec_b64 s[12:13], s[4:5]
	s_cbranch_execz .LBB73_246
; %bb.250:                              ;   in Loop: Header=BB73_249 Depth=1
	global_load_dword v0, v[8:9], off offset:20 glc
	s_waitcnt vmcnt(0)
	buffer_wbinvl1_vol
	v_and_b32_e32 v0, 1, v0
	s_branch .LBB73_246
.LBB73_251:
	global_load_dwordx2 v[2:3], v[6:7], off
	s_and_saveexec_b64 s[12:13], s[4:5]
	s_cbranch_execz .LBB73_254
; %bb.252:
	v_mov_b32_e32 v8, 0
	global_load_dwordx2 v[0:1], v8, s[6:7] offset:40
	global_load_dwordx2 v[11:12], v8, s[6:7] offset:24 glc
	global_load_dwordx2 v[4:5], v8, s[6:7]
	s_waitcnt vmcnt(2)
	v_readfirstlane_b32 s14, v0
	v_readfirstlane_b32 s15, v1
	s_add_u32 s16, s14, 1
	s_addc_u32 s17, s15, 0
	s_add_u32 s4, s16, s10
	s_addc_u32 s5, s17, s11
	s_cmp_eq_u64 s[4:5], 0
	s_cselect_b32 s5, s17, s5
	s_cselect_b32 s4, s16, s4
	s_and_b64 s[10:11], s[4:5], s[14:15]
	s_mul_i32 s11, s11, 24
	s_mul_hi_u32 s14, s10, 24
	s_mul_i32 s10, s10, 24
	s_add_i32 s11, s14, s11
	v_mov_b32_e32 v1, s11
	s_waitcnt vmcnt(0)
	v_add_co_u32_e32 v0, vcc, s10, v4
	v_addc_co_u32_e32 v1, vcc, v5, v1, vcc
	v_mov_b32_e32 v9, s4
	global_store_dwordx2 v[0:1], v[11:12], off
	v_mov_b32_e32 v10, s5
	s_waitcnt vmcnt(0)
	global_atomic_cmpswap_x2 v[6:7], v8, v[9:12], s[6:7] offset:24 glc
	s_mov_b64 s[10:11], 0
	s_waitcnt vmcnt(0)
	v_cmp_ne_u64_e32 vcc, v[6:7], v[11:12]
	s_and_b64 exec, exec, vcc
	s_cbranch_execz .LBB73_254
.LBB73_253:                             ; =>This Inner Loop Header: Depth=1
	s_sleep 1
	global_store_dwordx2 v[0:1], v[6:7], off
	v_mov_b32_e32 v4, s4
	v_mov_b32_e32 v5, s5
	s_waitcnt vmcnt(0)
	global_atomic_cmpswap_x2 v[4:5], v8, v[4:7], s[6:7] offset:24 glc
	s_waitcnt vmcnt(0)
	v_cmp_eq_u64_e32 vcc, v[4:5], v[6:7]
	v_mov_b32_e32 v7, v5
	s_or_b64 s[10:11], vcc, s[10:11]
	v_mov_b32_e32 v6, v4
	s_andn2_b64 exec, exec, s[10:11]
	s_cbranch_execnz .LBB73_253
.LBB73_254:
	s_or_b64 exec, exec, s[12:13]
.LBB73_255:
	v_readfirstlane_b32 s4, v30
	s_waitcnt vmcnt(0)
	v_mov_b32_e32 v0, 0
	v_mov_b32_e32 v1, 0
	v_cmp_eq_u32_e64 s[4:5], s4, v30
	s_and_saveexec_b64 s[10:11], s[4:5]
	s_cbranch_execz .LBB73_261
; %bb.256:
	v_mov_b32_e32 v4, 0
	global_load_dwordx2 v[7:8], v4, s[6:7] offset:24 glc
	s_waitcnt vmcnt(0)
	buffer_wbinvl1_vol
	global_load_dwordx2 v[0:1], v4, s[6:7] offset:40
	global_load_dwordx2 v[5:6], v4, s[6:7]
	s_waitcnt vmcnt(1)
	v_and_b32_e32 v0, v0, v7
	v_and_b32_e32 v1, v1, v8
	v_mul_lo_u32 v1, v1, 24
	v_mul_hi_u32 v9, v0, 24
	v_mul_lo_u32 v0, v0, 24
	v_add_u32_e32 v1, v9, v1
	s_waitcnt vmcnt(0)
	v_add_co_u32_e32 v0, vcc, v5, v0
	v_addc_co_u32_e32 v1, vcc, v6, v1, vcc
	global_load_dwordx2 v[5:6], v[0:1], off glc
	s_waitcnt vmcnt(0)
	global_atomic_cmpswap_x2 v[0:1], v4, v[5:8], s[6:7] offset:24 glc
	s_waitcnt vmcnt(0)
	buffer_wbinvl1_vol
	v_cmp_ne_u64_e32 vcc, v[0:1], v[7:8]
	s_and_saveexec_b64 s[12:13], vcc
	s_cbranch_execz .LBB73_260
; %bb.257:
	s_mov_b64 s[14:15], 0
.LBB73_258:                             ; =>This Inner Loop Header: Depth=1
	s_sleep 1
	global_load_dwordx2 v[5:6], v4, s[6:7] offset:40
	global_load_dwordx2 v[9:10], v4, s[6:7]
	v_mov_b32_e32 v8, v1
	v_mov_b32_e32 v7, v0
	s_waitcnt vmcnt(1)
	v_and_b32_e32 v0, v5, v7
	s_waitcnt vmcnt(0)
	v_mad_u64_u32 v[0:1], s[16:17], v0, 24, v[9:10]
	v_and_b32_e32 v5, v6, v8
	v_mad_u64_u32 v[5:6], s[16:17], v5, 24, v[1:2]
	v_mov_b32_e32 v1, v5
	global_load_dwordx2 v[5:6], v[0:1], off glc
	s_waitcnt vmcnt(0)
	global_atomic_cmpswap_x2 v[0:1], v4, v[5:8], s[6:7] offset:24 glc
	s_waitcnt vmcnt(0)
	buffer_wbinvl1_vol
	v_cmp_eq_u64_e32 vcc, v[0:1], v[7:8]
	s_or_b64 s[14:15], vcc, s[14:15]
	s_andn2_b64 exec, exec, s[14:15]
	s_cbranch_execnz .LBB73_258
; %bb.259:
	s_or_b64 exec, exec, s[14:15]
.LBB73_260:
	s_or_b64 exec, exec, s[12:13]
.LBB73_261:
	s_or_b64 exec, exec, s[10:11]
	v_mov_b32_e32 v5, 0
	global_load_dwordx2 v[10:11], v5, s[6:7] offset:40
	global_load_dwordx4 v[6:9], v5, s[6:7]
	v_readfirstlane_b32 s11, v1
	v_readfirstlane_b32 s10, v0
	s_mov_b64 s[12:13], exec
	s_waitcnt vmcnt(1)
	v_readfirstlane_b32 s14, v10
	v_readfirstlane_b32 s15, v11
	s_and_b64 s[14:15], s[14:15], s[10:11]
	s_mul_i32 s16, s15, 24
	s_mul_hi_u32 s17, s14, 24
	s_mul_i32 s18, s14, 24
	s_add_i32 s16, s17, s16
	v_mov_b32_e32 v0, s16
	s_waitcnt vmcnt(0)
	v_add_co_u32_e32 v10, vcc, s18, v6
	v_addc_co_u32_e32 v11, vcc, v7, v0, vcc
	s_and_saveexec_b64 s[16:17], s[4:5]
	s_cbranch_execz .LBB73_263
; %bb.262:
	v_mov_b32_e32 v12, s12
	v_mov_b32_e32 v13, s13
	;; [unrolled: 1-line block ×4, first 2 shown]
	global_store_dwordx4 v[10:11], v[12:15], off offset:8
.LBB73_263:
	s_or_b64 exec, exec, s[16:17]
	s_lshl_b64 s[12:13], s[14:15], 12
	v_mov_b32_e32 v0, s13
	v_add_co_u32_e32 v1, vcc, s12, v8
	v_addc_co_u32_e32 v0, vcc, v9, v0, vcc
	s_movk_i32 s12, 0xff1f
	v_and_or_b32 v2, v2, s12, 32
	v_add_co_u32_e32 v8, vcc, v1, v29
	s_mov_b32 s12, 0
	v_mov_b32_e32 v4, 0x347
	v_readfirstlane_b32 s16, v1
	v_readfirstlane_b32 s17, v0
	v_addc_co_u32_e32 v9, vcc, 0, v0, vcc
	s_mov_b32 s13, s12
	s_mov_b32 s14, s12
	;; [unrolled: 1-line block ×3, first 2 shown]
	s_nop 0
	global_store_dwordx4 v29, v[2:5], s[16:17]
	v_mov_b32_e32 v0, s12
	v_mov_b32_e32 v1, s13
	;; [unrolled: 1-line block ×4, first 2 shown]
	global_store_dwordx4 v29, v[0:3], s[16:17] offset:16
	global_store_dwordx4 v29, v[0:3], s[16:17] offset:32
	global_store_dwordx4 v29, v[0:3], s[16:17] offset:48
	s_and_saveexec_b64 s[12:13], s[4:5]
	s_cbranch_execz .LBB73_271
; %bb.264:
	v_mov_b32_e32 v12, 0
	global_load_dwordx2 v[15:16], v12, s[6:7] offset:32 glc
	global_load_dwordx2 v[0:1], v12, s[6:7] offset:40
	v_mov_b32_e32 v13, s10
	v_mov_b32_e32 v14, s11
	s_waitcnt vmcnt(0)
	v_readfirstlane_b32 s14, v0
	v_readfirstlane_b32 s15, v1
	s_and_b64 s[14:15], s[14:15], s[10:11]
	s_mul_i32 s15, s15, 24
	s_mul_hi_u32 s16, s14, 24
	s_mul_i32 s14, s14, 24
	s_add_i32 s15, s16, s15
	v_mov_b32_e32 v0, s15
	v_add_co_u32_e32 v4, vcc, s14, v6
	v_addc_co_u32_e32 v5, vcc, v7, v0, vcc
	global_store_dwordx2 v[4:5], v[15:16], off
	s_waitcnt vmcnt(0)
	global_atomic_cmpswap_x2 v[2:3], v12, v[13:16], s[6:7] offset:32 glc
	s_waitcnt vmcnt(0)
	v_cmp_ne_u64_e32 vcc, v[2:3], v[15:16]
	s_and_saveexec_b64 s[14:15], vcc
	s_cbranch_execz .LBB73_267
; %bb.265:
	s_mov_b64 s[16:17], 0
.LBB73_266:                             ; =>This Inner Loop Header: Depth=1
	s_sleep 1
	global_store_dwordx2 v[4:5], v[2:3], off
	v_mov_b32_e32 v0, s10
	v_mov_b32_e32 v1, s11
	s_waitcnt vmcnt(0)
	global_atomic_cmpswap_x2 v[0:1], v12, v[0:3], s[6:7] offset:32 glc
	s_waitcnt vmcnt(0)
	v_cmp_eq_u64_e32 vcc, v[0:1], v[2:3]
	v_mov_b32_e32 v3, v1
	s_or_b64 s[16:17], vcc, s[16:17]
	v_mov_b32_e32 v2, v0
	s_andn2_b64 exec, exec, s[16:17]
	s_cbranch_execnz .LBB73_266
.LBB73_267:
	s_or_b64 exec, exec, s[14:15]
	v_mov_b32_e32 v3, 0
	global_load_dwordx2 v[0:1], v3, s[6:7] offset:16
	s_mov_b64 s[14:15], exec
	v_mbcnt_lo_u32_b32 v2, s14, 0
	v_mbcnt_hi_u32_b32 v2, s15, v2
	v_cmp_eq_u32_e32 vcc, 0, v2
	s_and_saveexec_b64 s[16:17], vcc
	s_cbranch_execz .LBB73_269
; %bb.268:
	s_bcnt1_i32_b64 s14, s[14:15]
	v_mov_b32_e32 v2, s14
	s_waitcnt vmcnt(0)
	global_atomic_add_x2 v[0:1], v[2:3], off offset:8
.LBB73_269:
	s_or_b64 exec, exec, s[16:17]
	s_waitcnt vmcnt(0)
	global_load_dwordx2 v[2:3], v[0:1], off offset:16
	s_waitcnt vmcnt(0)
	v_cmp_eq_u64_e32 vcc, 0, v[2:3]
	s_cbranch_vccnz .LBB73_271
; %bb.270:
	global_load_dword v0, v[0:1], off offset:24
	v_mov_b32_e32 v1, 0
	s_waitcnt vmcnt(0)
	v_readfirstlane_b32 s14, v0
	s_and_b32 m0, s14, 0xffffff
	global_store_dwordx2 v[2:3], v[0:1], off
	s_sendmsg sendmsg(MSG_INTERRUPT)
.LBB73_271:
	s_or_b64 exec, exec, s[12:13]
	s_branch .LBB73_275
.LBB73_272:                             ;   in Loop: Header=BB73_275 Depth=1
	s_or_b64 exec, exec, s[12:13]
	v_readfirstlane_b32 s12, v0
	s_cmp_eq_u32 s12, 0
	s_cbranch_scc1 .LBB73_274
; %bb.273:                              ;   in Loop: Header=BB73_275 Depth=1
	s_sleep 1
	s_cbranch_execnz .LBB73_275
	s_branch .LBB73_277
.LBB73_274:
	s_branch .LBB73_277
.LBB73_275:                             ; =>This Inner Loop Header: Depth=1
	v_mov_b32_e32 v0, 1
	s_and_saveexec_b64 s[12:13], s[4:5]
	s_cbranch_execz .LBB73_272
; %bb.276:                              ;   in Loop: Header=BB73_275 Depth=1
	global_load_dword v0, v[10:11], off offset:20 glc
	s_waitcnt vmcnt(0)
	buffer_wbinvl1_vol
	v_and_b32_e32 v0, 1, v0
	s_branch .LBB73_272
.LBB73_277:
	global_load_dwordx2 v[0:1], v[8:9], off
	s_and_saveexec_b64 s[12:13], s[4:5]
	s_cbranch_execz .LBB73_280
; %bb.278:
	v_mov_b32_e32 v8, 0
	global_load_dwordx2 v[2:3], v8, s[6:7] offset:40
	global_load_dwordx2 v[11:12], v8, s[6:7] offset:24 glc
	global_load_dwordx2 v[4:5], v8, s[6:7]
	s_waitcnt vmcnt(2)
	v_readfirstlane_b32 s14, v2
	v_readfirstlane_b32 s15, v3
	s_add_u32 s16, s14, 1
	s_addc_u32 s17, s15, 0
	s_add_u32 s4, s16, s10
	s_addc_u32 s5, s17, s11
	s_cmp_eq_u64 s[4:5], 0
	s_cselect_b32 s5, s17, s5
	s_cselect_b32 s4, s16, s4
	s_and_b64 s[10:11], s[4:5], s[14:15]
	s_mul_i32 s11, s11, 24
	s_mul_hi_u32 s14, s10, 24
	s_mul_i32 s10, s10, 24
	s_add_i32 s11, s14, s11
	v_mov_b32_e32 v2, s11
	s_waitcnt vmcnt(0)
	v_add_co_u32_e32 v6, vcc, s10, v4
	v_addc_co_u32_e32 v7, vcc, v5, v2, vcc
	v_mov_b32_e32 v9, s4
	global_store_dwordx2 v[6:7], v[11:12], off
	v_mov_b32_e32 v10, s5
	s_waitcnt vmcnt(0)
	global_atomic_cmpswap_x2 v[4:5], v8, v[9:12], s[6:7] offset:24 glc
	s_mov_b64 s[10:11], 0
	s_waitcnt vmcnt(0)
	v_cmp_ne_u64_e32 vcc, v[4:5], v[11:12]
	s_and_b64 exec, exec, vcc
	s_cbranch_execz .LBB73_280
.LBB73_279:                             ; =>This Inner Loop Header: Depth=1
	s_sleep 1
	global_store_dwordx2 v[6:7], v[4:5], off
	v_mov_b32_e32 v2, s4
	v_mov_b32_e32 v3, s5
	s_waitcnt vmcnt(0)
	global_atomic_cmpswap_x2 v[2:3], v8, v[2:5], s[6:7] offset:24 glc
	s_waitcnt vmcnt(0)
	v_cmp_eq_u64_e32 vcc, v[2:3], v[4:5]
	v_mov_b32_e32 v5, v3
	s_or_b64 s[10:11], vcc, s[10:11]
	v_mov_b32_e32 v4, v2
	s_andn2_b64 exec, exec, s[10:11]
	s_cbranch_execnz .LBB73_279
.LBB73_280:
	s_or_b64 exec, exec, s[12:13]
	s_getpc_b64 s[4:5]
	s_add_u32 s4, s4, __FUNCTION__._ZL15flash_attn_tileILi112ELi112ELi8ELi8ELb1EEvPKcS1_S1_S1_S1_PKiPfP15HIP_vector_typeIfLj2EEffffjfiS5_IjLj3EEiiiiiiiiiiiliiliiiiil@rel32@lo+4
	s_addc_u32 s5, s5, __FUNCTION__._ZL15flash_attn_tileILi112ELi112ELi8ELi8ELb1EEvPKcS1_S1_S1_S1_PKiPfP15HIP_vector_typeIfLj2EEffffjfiS5_IjLj3EEiiiiiiiiiiiliiliiiiil@rel32@hi+12
	s_cmp_lg_u64 s[4:5], 0
	s_cselect_b32 s10, 16, 0
	s_getpc_b64 s[6:7]
	s_add_u32 s6, s6, __ockl_printf_append_string_n@rel32@lo+4
	s_addc_u32 s7, s7, __ockl_printf_append_string_n@rel32@hi+12
	v_mov_b32_e32 v2, s4
	v_mov_b32_e32 v3, s5
	;; [unrolled: 1-line block ×4, first 2 shown]
	s_mov_b64 s[24:25], s[8:9]
	s_swappc_b64 s[30:31], s[6:7]
	s_getpc_b64 s[4:5]
	s_add_u32 s4, s4, __ockl_printf_append_args@rel32@lo+4
	s_addc_u32 s5, s5, __ockl_printf_append_args@rel32@hi+12
	s_mov_b64 s[8:9], s[24:25]
	v_mov_b32_e32 v2, 0x514
	v_mov_b32_e32 v3, 0
	;; [unrolled: 1-line block ×3, first 2 shown]
	s_swappc_b64 s[30:31], s[4:5]
	s_trap 2
.Lfunc_end73:
	.size	_ZL14no_device_codePKciS0_iS0_, .Lfunc_end73-_ZL14no_device_codePKciS0_iS0_
                                        ; -- End function
	.set .L_ZL14no_device_codePKciS0_iS0_.num_vgpr, max(41, .L__ockl_printf_append_string_n.num_vgpr, .L__ockl_printf_append_args.num_vgpr)
	.set .L_ZL14no_device_codePKciS0_iS0_.num_agpr, max(0, .L__ockl_printf_append_string_n.num_agpr, .L__ockl_printf_append_args.num_agpr)
	.set .L_ZL14no_device_codePKciS0_iS0_.numbered_sgpr, max(34, .L__ockl_printf_append_string_n.numbered_sgpr, .L__ockl_printf_append_args.numbered_sgpr)
	.set .L_ZL14no_device_codePKciS0_iS0_.num_named_barrier, max(0, .L__ockl_printf_append_string_n.num_named_barrier, .L__ockl_printf_append_args.num_named_barrier)
	.set .L_ZL14no_device_codePKciS0_iS0_.private_seg_size, 16+max(.L__ockl_printf_append_string_n.private_seg_size, .L__ockl_printf_append_args.private_seg_size)
	.set .L_ZL14no_device_codePKciS0_iS0_.uses_vcc, or(1, .L__ockl_printf_append_string_n.uses_vcc, .L__ockl_printf_append_args.uses_vcc)
	.set .L_ZL14no_device_codePKciS0_iS0_.uses_flat_scratch, or(0, .L__ockl_printf_append_string_n.uses_flat_scratch, .L__ockl_printf_append_args.uses_flat_scratch)
	.set .L_ZL14no_device_codePKciS0_iS0_.has_dyn_sized_stack, or(0, .L__ockl_printf_append_string_n.has_dyn_sized_stack, .L__ockl_printf_append_args.has_dyn_sized_stack)
	.set .L_ZL14no_device_codePKciS0_iS0_.has_recursion, or(0, .L__ockl_printf_append_string_n.has_recursion, .L__ockl_printf_append_args.has_recursion)
	.set .L_ZL14no_device_codePKciS0_iS0_.has_indirect_call, or(0, .L__ockl_printf_append_string_n.has_indirect_call, .L__ockl_printf_append_args.has_indirect_call)
	.section	.AMDGPU.csdata,"",@progbits
; Function info:
; codeLenInByte = 9536
; TotalNumSgprs: 38
; NumVgprs: 41
; ScratchSize: 16
; MemoryBound: 0
	.section	.text._ZL15flash_attn_tileILi112ELi112ELi8ELi8ELb1EEvPKcS1_S1_S1_S1_PKiPfP15HIP_vector_typeIfLj2EEffffjfiS5_IjLj3EEiiiiiiiiiiiliiliiiiil,"axG",@progbits,_ZL15flash_attn_tileILi112ELi112ELi8ELi8ELb1EEvPKcS1_S1_S1_S1_PKiPfP15HIP_vector_typeIfLj2EEffffjfiS5_IjLj3EEiiiiiiiiiiiliiliiiiil,comdat
	.globl	_ZL15flash_attn_tileILi112ELi112ELi8ELi8ELb1EEvPKcS1_S1_S1_S1_PKiPfP15HIP_vector_typeIfLj2EEffffjfiS5_IjLj3EEiiiiiiiiiiiliiliiiiil ; -- Begin function _ZL15flash_attn_tileILi112ELi112ELi8ELi8ELb1EEvPKcS1_S1_S1_S1_PKiPfP15HIP_vector_typeIfLj2EEffffjfiS5_IjLj3EEiiiiiiiiiiiliiliiiiil
	.p2align	8
	.type	_ZL15flash_attn_tileILi112ELi112ELi8ELi8ELb1EEvPKcS1_S1_S1_S1_PKiPfP15HIP_vector_typeIfLj2EEffffjfiS5_IjLj3EEiiiiiiiiiiiliiliiiiil,@function
_ZL15flash_attn_tileILi112ELi112ELi8ELi8ELb1EEvPKcS1_S1_S1_S1_PKiPfP15HIP_vector_typeIfLj2EEffffjfiS5_IjLj3EEiiiiiiiiiiiliiliiiiil: ; @_ZL15flash_attn_tileILi112ELi112ELi8ELi8ELb1EEvPKcS1_S1_S1_S1_PKiPfP15HIP_vector_typeIfLj2EEffffjfiS5_IjLj3EEiiiiiiiiiiiliiliiiiil
; %bb.0:
	s_add_u32 s0, s0, s7
	s_addc_u32 s1, s1, 0
	s_add_u32 s8, s4, 0xd0
	s_addc_u32 s9, s5, 0
	s_getpc_b64 s[4:5]
	s_add_u32 s4, s4, _ZL14no_device_codePKciS0_iS0_@rel32@lo+4
	s_addc_u32 s5, s5, _ZL14no_device_codePKciS0_iS0_@rel32@hi+12
	s_mov_b32 s32, 0
	s_swappc_b64 s[30:31], s[4:5]
	.section	.rodata,"a",@progbits
	.p2align	6, 0x0
	.amdhsa_kernel _ZL15flash_attn_tileILi112ELi112ELi8ELi8ELb1EEvPKcS1_S1_S1_S1_PKiPfP15HIP_vector_typeIfLj2EEffffjfiS5_IjLj3EEiiiiiiiiiiiliiliiiiil
		.amdhsa_group_segment_fixed_size 0
		.amdhsa_private_segment_fixed_size 16
		.amdhsa_kernarg_size 464
		.amdhsa_user_sgpr_count 6
		.amdhsa_user_sgpr_private_segment_buffer 1
		.amdhsa_user_sgpr_dispatch_ptr 0
		.amdhsa_user_sgpr_queue_ptr 0
		.amdhsa_user_sgpr_kernarg_segment_ptr 1
		.amdhsa_user_sgpr_dispatch_id 0
		.amdhsa_user_sgpr_flat_scratch_init 0
		.amdhsa_user_sgpr_private_segment_size 0
		.amdhsa_uses_dynamic_stack 0
		.amdhsa_system_sgpr_private_segment_wavefront_offset 1
		.amdhsa_system_sgpr_workgroup_id_x 1
		.amdhsa_system_sgpr_workgroup_id_y 0
		.amdhsa_system_sgpr_workgroup_id_z 0
		.amdhsa_system_sgpr_workgroup_info 0
		.amdhsa_system_vgpr_workitem_id 0
		.amdhsa_next_free_vgpr 41
		.amdhsa_next_free_sgpr 34
		.amdhsa_reserve_vcc 1
		.amdhsa_reserve_flat_scratch 0
		.amdhsa_float_round_mode_32 0
		.amdhsa_float_round_mode_16_64 0
		.amdhsa_float_denorm_mode_32 3
		.amdhsa_float_denorm_mode_16_64 3
		.amdhsa_dx10_clamp 1
		.amdhsa_ieee_mode 1
		.amdhsa_fp16_overflow 0
		.amdhsa_exception_fp_ieee_invalid_op 0
		.amdhsa_exception_fp_denorm_src 0
		.amdhsa_exception_fp_ieee_div_zero 0
		.amdhsa_exception_fp_ieee_overflow 0
		.amdhsa_exception_fp_ieee_underflow 0
		.amdhsa_exception_fp_ieee_inexact 0
		.amdhsa_exception_int_div_zero 0
	.end_amdhsa_kernel
	.section	.text._ZL15flash_attn_tileILi112ELi112ELi8ELi8ELb1EEvPKcS1_S1_S1_S1_PKiPfP15HIP_vector_typeIfLj2EEffffjfiS5_IjLj3EEiiiiiiiiiiiliiliiiiil,"axG",@progbits,_ZL15flash_attn_tileILi112ELi112ELi8ELi8ELb1EEvPKcS1_S1_S1_S1_PKiPfP15HIP_vector_typeIfLj2EEffffjfiS5_IjLj3EEiiiiiiiiiiiliiliiiiil,comdat
.Lfunc_end74:
	.size	_ZL15flash_attn_tileILi112ELi112ELi8ELi8ELb1EEvPKcS1_S1_S1_S1_PKiPfP15HIP_vector_typeIfLj2EEffffjfiS5_IjLj3EEiiiiiiiiiiiliiliiiiil, .Lfunc_end74-_ZL15flash_attn_tileILi112ELi112ELi8ELi8ELb1EEvPKcS1_S1_S1_S1_PKiPfP15HIP_vector_typeIfLj2EEffffjfiS5_IjLj3EEiiiiiiiiiiiliiliiiiil
                                        ; -- End function
	.set _ZL15flash_attn_tileILi112ELi112ELi8ELi8ELb1EEvPKcS1_S1_S1_S1_PKiPfP15HIP_vector_typeIfLj2EEffffjfiS5_IjLj3EEiiiiiiiiiiiliiliiiiil.num_vgpr, max(0, .L_ZL14no_device_codePKciS0_iS0_.num_vgpr)
	.set _ZL15flash_attn_tileILi112ELi112ELi8ELi8ELb1EEvPKcS1_S1_S1_S1_PKiPfP15HIP_vector_typeIfLj2EEffffjfiS5_IjLj3EEiiiiiiiiiiiliiliiiiil.num_agpr, max(0, .L_ZL14no_device_codePKciS0_iS0_.num_agpr)
	.set _ZL15flash_attn_tileILi112ELi112ELi8ELi8ELb1EEvPKcS1_S1_S1_S1_PKiPfP15HIP_vector_typeIfLj2EEffffjfiS5_IjLj3EEiiiiiiiiiiiliiliiiiil.numbered_sgpr, max(33, .L_ZL14no_device_codePKciS0_iS0_.numbered_sgpr)
	.set _ZL15flash_attn_tileILi112ELi112ELi8ELi8ELb1EEvPKcS1_S1_S1_S1_PKiPfP15HIP_vector_typeIfLj2EEffffjfiS5_IjLj3EEiiiiiiiiiiiliiliiiiil.num_named_barrier, max(0, .L_ZL14no_device_codePKciS0_iS0_.num_named_barrier)
	.set _ZL15flash_attn_tileILi112ELi112ELi8ELi8ELb1EEvPKcS1_S1_S1_S1_PKiPfP15HIP_vector_typeIfLj2EEffffjfiS5_IjLj3EEiiiiiiiiiiiliiliiiiil.private_seg_size, 0+max(.L_ZL14no_device_codePKciS0_iS0_.private_seg_size)
	.set _ZL15flash_attn_tileILi112ELi112ELi8ELi8ELb1EEvPKcS1_S1_S1_S1_PKiPfP15HIP_vector_typeIfLj2EEffffjfiS5_IjLj3EEiiiiiiiiiiiliiliiiiil.uses_vcc, or(1, .L_ZL14no_device_codePKciS0_iS0_.uses_vcc)
	.set _ZL15flash_attn_tileILi112ELi112ELi8ELi8ELb1EEvPKcS1_S1_S1_S1_PKiPfP15HIP_vector_typeIfLj2EEffffjfiS5_IjLj3EEiiiiiiiiiiiliiliiiiil.uses_flat_scratch, or(0, .L_ZL14no_device_codePKciS0_iS0_.uses_flat_scratch)
	.set _ZL15flash_attn_tileILi112ELi112ELi8ELi8ELb1EEvPKcS1_S1_S1_S1_PKiPfP15HIP_vector_typeIfLj2EEffffjfiS5_IjLj3EEiiiiiiiiiiiliiliiiiil.has_dyn_sized_stack, or(0, .L_ZL14no_device_codePKciS0_iS0_.has_dyn_sized_stack)
	.set _ZL15flash_attn_tileILi112ELi112ELi8ELi8ELb1EEvPKcS1_S1_S1_S1_PKiPfP15HIP_vector_typeIfLj2EEffffjfiS5_IjLj3EEiiiiiiiiiiiliiliiiiil.has_recursion, or(0, .L_ZL14no_device_codePKciS0_iS0_.has_recursion)
	.set _ZL15flash_attn_tileILi112ELi112ELi8ELi8ELb1EEvPKcS1_S1_S1_S1_PKiPfP15HIP_vector_typeIfLj2EEffffjfiS5_IjLj3EEiiiiiiiiiiiliiliiiiil.has_indirect_call, or(0, .L_ZL14no_device_codePKciS0_iS0_.has_indirect_call)
	.section	.AMDGPU.csdata,"",@progbits
; Kernel info:
; codeLenInByte = 48
; TotalNumSgprs: 38
; NumVgprs: 41
; ScratchSize: 16
; MemoryBound: 0
; FloatMode: 240
; IeeeMode: 1
; LDSByteSize: 0 bytes/workgroup (compile time only)
; SGPRBlocks: 4
; VGPRBlocks: 10
; NumSGPRsForWavesPerEU: 38
; NumVGPRsForWavesPerEU: 41
; Occupancy: 5
; WaveLimiterHint : 1
; COMPUTE_PGM_RSRC2:SCRATCH_EN: 1
; COMPUTE_PGM_RSRC2:USER_SGPR: 6
; COMPUTE_PGM_RSRC2:TRAP_HANDLER: 0
; COMPUTE_PGM_RSRC2:TGID_X_EN: 1
; COMPUTE_PGM_RSRC2:TGID_Y_EN: 0
; COMPUTE_PGM_RSRC2:TGID_Z_EN: 0
; COMPUTE_PGM_RSRC2:TIDIG_COMP_CNT: 0
	.section	.text._ZL15flash_attn_tileILi112ELi112ELi4ELi8ELb1EEvPKcS1_S1_S1_S1_PKiPfP15HIP_vector_typeIfLj2EEffffjfiS5_IjLj3EEiiiiiiiiiiiliiliiiiil,"axG",@progbits,_ZL15flash_attn_tileILi112ELi112ELi4ELi8ELb1EEvPKcS1_S1_S1_S1_PKiPfP15HIP_vector_typeIfLj2EEffffjfiS5_IjLj3EEiiiiiiiiiiiliiliiiiil,comdat
	.globl	_ZL15flash_attn_tileILi112ELi112ELi4ELi8ELb1EEvPKcS1_S1_S1_S1_PKiPfP15HIP_vector_typeIfLj2EEffffjfiS5_IjLj3EEiiiiiiiiiiiliiliiiiil ; -- Begin function _ZL15flash_attn_tileILi112ELi112ELi4ELi8ELb1EEvPKcS1_S1_S1_S1_PKiPfP15HIP_vector_typeIfLj2EEffffjfiS5_IjLj3EEiiiiiiiiiiiliiliiiiil
	.p2align	8
	.type	_ZL15flash_attn_tileILi112ELi112ELi4ELi8ELb1EEvPKcS1_S1_S1_S1_PKiPfP15HIP_vector_typeIfLj2EEffffjfiS5_IjLj3EEiiiiiiiiiiiliiliiiiil,@function
_ZL15flash_attn_tileILi112ELi112ELi4ELi8ELb1EEvPKcS1_S1_S1_S1_PKiPfP15HIP_vector_typeIfLj2EEffffjfiS5_IjLj3EEiiiiiiiiiiiliiliiiiil: ; @_ZL15flash_attn_tileILi112ELi112ELi4ELi8ELb1EEvPKcS1_S1_S1_S1_PKiPfP15HIP_vector_typeIfLj2EEffffjfiS5_IjLj3EEiiiiiiiiiiiliiliiiiil
; %bb.0:
	s_add_u32 s0, s0, s7
	s_addc_u32 s1, s1, 0
	s_add_u32 s8, s4, 0xd0
	s_addc_u32 s9, s5, 0
	s_getpc_b64 s[4:5]
	s_add_u32 s4, s4, _ZL14no_device_codePKciS0_iS0_@rel32@lo+4
	s_addc_u32 s5, s5, _ZL14no_device_codePKciS0_iS0_@rel32@hi+12
	s_mov_b32 s32, 0
	s_swappc_b64 s[30:31], s[4:5]
	.section	.rodata,"a",@progbits
	.p2align	6, 0x0
	.amdhsa_kernel _ZL15flash_attn_tileILi112ELi112ELi4ELi8ELb1EEvPKcS1_S1_S1_S1_PKiPfP15HIP_vector_typeIfLj2EEffffjfiS5_IjLj3EEiiiiiiiiiiiliiliiiiil
		.amdhsa_group_segment_fixed_size 0
		.amdhsa_private_segment_fixed_size 16
		.amdhsa_kernarg_size 464
		.amdhsa_user_sgpr_count 6
		.amdhsa_user_sgpr_private_segment_buffer 1
		.amdhsa_user_sgpr_dispatch_ptr 0
		.amdhsa_user_sgpr_queue_ptr 0
		.amdhsa_user_sgpr_kernarg_segment_ptr 1
		.amdhsa_user_sgpr_dispatch_id 0
		.amdhsa_user_sgpr_flat_scratch_init 0
		.amdhsa_user_sgpr_private_segment_size 0
		.amdhsa_uses_dynamic_stack 0
		.amdhsa_system_sgpr_private_segment_wavefront_offset 1
		.amdhsa_system_sgpr_workgroup_id_x 1
		.amdhsa_system_sgpr_workgroup_id_y 0
		.amdhsa_system_sgpr_workgroup_id_z 0
		.amdhsa_system_sgpr_workgroup_info 0
		.amdhsa_system_vgpr_workitem_id 0
		.amdhsa_next_free_vgpr 41
		.amdhsa_next_free_sgpr 34
		.amdhsa_reserve_vcc 1
		.amdhsa_reserve_flat_scratch 0
		.amdhsa_float_round_mode_32 0
		.amdhsa_float_round_mode_16_64 0
		.amdhsa_float_denorm_mode_32 3
		.amdhsa_float_denorm_mode_16_64 3
		.amdhsa_dx10_clamp 1
		.amdhsa_ieee_mode 1
		.amdhsa_fp16_overflow 0
		.amdhsa_exception_fp_ieee_invalid_op 0
		.amdhsa_exception_fp_denorm_src 0
		.amdhsa_exception_fp_ieee_div_zero 0
		.amdhsa_exception_fp_ieee_overflow 0
		.amdhsa_exception_fp_ieee_underflow 0
		.amdhsa_exception_fp_ieee_inexact 0
		.amdhsa_exception_int_div_zero 0
	.end_amdhsa_kernel
	.section	.text._ZL15flash_attn_tileILi112ELi112ELi4ELi8ELb1EEvPKcS1_S1_S1_S1_PKiPfP15HIP_vector_typeIfLj2EEffffjfiS5_IjLj3EEiiiiiiiiiiiliiliiiiil,"axG",@progbits,_ZL15flash_attn_tileILi112ELi112ELi4ELi8ELb1EEvPKcS1_S1_S1_S1_PKiPfP15HIP_vector_typeIfLj2EEffffjfiS5_IjLj3EEiiiiiiiiiiiliiliiiiil,comdat
.Lfunc_end75:
	.size	_ZL15flash_attn_tileILi112ELi112ELi4ELi8ELb1EEvPKcS1_S1_S1_S1_PKiPfP15HIP_vector_typeIfLj2EEffffjfiS5_IjLj3EEiiiiiiiiiiiliiliiiiil, .Lfunc_end75-_ZL15flash_attn_tileILi112ELi112ELi4ELi8ELb1EEvPKcS1_S1_S1_S1_PKiPfP15HIP_vector_typeIfLj2EEffffjfiS5_IjLj3EEiiiiiiiiiiiliiliiiiil
                                        ; -- End function
	.set _ZL15flash_attn_tileILi112ELi112ELi4ELi8ELb1EEvPKcS1_S1_S1_S1_PKiPfP15HIP_vector_typeIfLj2EEffffjfiS5_IjLj3EEiiiiiiiiiiiliiliiiiil.num_vgpr, max(0, .L_ZL14no_device_codePKciS0_iS0_.num_vgpr)
	.set _ZL15flash_attn_tileILi112ELi112ELi4ELi8ELb1EEvPKcS1_S1_S1_S1_PKiPfP15HIP_vector_typeIfLj2EEffffjfiS5_IjLj3EEiiiiiiiiiiiliiliiiiil.num_agpr, max(0, .L_ZL14no_device_codePKciS0_iS0_.num_agpr)
	.set _ZL15flash_attn_tileILi112ELi112ELi4ELi8ELb1EEvPKcS1_S1_S1_S1_PKiPfP15HIP_vector_typeIfLj2EEffffjfiS5_IjLj3EEiiiiiiiiiiiliiliiiiil.numbered_sgpr, max(33, .L_ZL14no_device_codePKciS0_iS0_.numbered_sgpr)
	.set _ZL15flash_attn_tileILi112ELi112ELi4ELi8ELb1EEvPKcS1_S1_S1_S1_PKiPfP15HIP_vector_typeIfLj2EEffffjfiS5_IjLj3EEiiiiiiiiiiiliiliiiiil.num_named_barrier, max(0, .L_ZL14no_device_codePKciS0_iS0_.num_named_barrier)
	.set _ZL15flash_attn_tileILi112ELi112ELi4ELi8ELb1EEvPKcS1_S1_S1_S1_PKiPfP15HIP_vector_typeIfLj2EEffffjfiS5_IjLj3EEiiiiiiiiiiiliiliiiiil.private_seg_size, 0+max(.L_ZL14no_device_codePKciS0_iS0_.private_seg_size)
	.set _ZL15flash_attn_tileILi112ELi112ELi4ELi8ELb1EEvPKcS1_S1_S1_S1_PKiPfP15HIP_vector_typeIfLj2EEffffjfiS5_IjLj3EEiiiiiiiiiiiliiliiiiil.uses_vcc, or(1, .L_ZL14no_device_codePKciS0_iS0_.uses_vcc)
	.set _ZL15flash_attn_tileILi112ELi112ELi4ELi8ELb1EEvPKcS1_S1_S1_S1_PKiPfP15HIP_vector_typeIfLj2EEffffjfiS5_IjLj3EEiiiiiiiiiiiliiliiiiil.uses_flat_scratch, or(0, .L_ZL14no_device_codePKciS0_iS0_.uses_flat_scratch)
	.set _ZL15flash_attn_tileILi112ELi112ELi4ELi8ELb1EEvPKcS1_S1_S1_S1_PKiPfP15HIP_vector_typeIfLj2EEffffjfiS5_IjLj3EEiiiiiiiiiiiliiliiiiil.has_dyn_sized_stack, or(0, .L_ZL14no_device_codePKciS0_iS0_.has_dyn_sized_stack)
	.set _ZL15flash_attn_tileILi112ELi112ELi4ELi8ELb1EEvPKcS1_S1_S1_S1_PKiPfP15HIP_vector_typeIfLj2EEffffjfiS5_IjLj3EEiiiiiiiiiiiliiliiiiil.has_recursion, or(0, .L_ZL14no_device_codePKciS0_iS0_.has_recursion)
	.set _ZL15flash_attn_tileILi112ELi112ELi4ELi8ELb1EEvPKcS1_S1_S1_S1_PKiPfP15HIP_vector_typeIfLj2EEffffjfiS5_IjLj3EEiiiiiiiiiiiliiliiiiil.has_indirect_call, or(0, .L_ZL14no_device_codePKciS0_iS0_.has_indirect_call)
	.section	.AMDGPU.csdata,"",@progbits
; Kernel info:
; codeLenInByte = 48
; TotalNumSgprs: 38
; NumVgprs: 41
; ScratchSize: 16
; MemoryBound: 0
; FloatMode: 240
; IeeeMode: 1
; LDSByteSize: 0 bytes/workgroup (compile time only)
; SGPRBlocks: 4
; VGPRBlocks: 10
; NumSGPRsForWavesPerEU: 38
; NumVGPRsForWavesPerEU: 41
; Occupancy: 5
; WaveLimiterHint : 1
; COMPUTE_PGM_RSRC2:SCRATCH_EN: 1
; COMPUTE_PGM_RSRC2:USER_SGPR: 6
; COMPUTE_PGM_RSRC2:TRAP_HANDLER: 0
; COMPUTE_PGM_RSRC2:TGID_X_EN: 1
; COMPUTE_PGM_RSRC2:TGID_Y_EN: 0
; COMPUTE_PGM_RSRC2:TGID_Z_EN: 0
; COMPUTE_PGM_RSRC2:TIDIG_COMP_CNT: 0
	.section	.text._ZL15flash_attn_tileILi112ELi112ELi2ELi8ELb1EEvPKcS1_S1_S1_S1_PKiPfP15HIP_vector_typeIfLj2EEffffjfiS5_IjLj3EEiiiiiiiiiiiliiliiiiil,"axG",@progbits,_ZL15flash_attn_tileILi112ELi112ELi2ELi8ELb1EEvPKcS1_S1_S1_S1_PKiPfP15HIP_vector_typeIfLj2EEffffjfiS5_IjLj3EEiiiiiiiiiiiliiliiiiil,comdat
	.globl	_ZL15flash_attn_tileILi112ELi112ELi2ELi8ELb1EEvPKcS1_S1_S1_S1_PKiPfP15HIP_vector_typeIfLj2EEffffjfiS5_IjLj3EEiiiiiiiiiiiliiliiiiil ; -- Begin function _ZL15flash_attn_tileILi112ELi112ELi2ELi8ELb1EEvPKcS1_S1_S1_S1_PKiPfP15HIP_vector_typeIfLj2EEffffjfiS5_IjLj3EEiiiiiiiiiiiliiliiiiil
	.p2align	8
	.type	_ZL15flash_attn_tileILi112ELi112ELi2ELi8ELb1EEvPKcS1_S1_S1_S1_PKiPfP15HIP_vector_typeIfLj2EEffffjfiS5_IjLj3EEiiiiiiiiiiiliiliiiiil,@function
_ZL15flash_attn_tileILi112ELi112ELi2ELi8ELb1EEvPKcS1_S1_S1_S1_PKiPfP15HIP_vector_typeIfLj2EEffffjfiS5_IjLj3EEiiiiiiiiiiiliiliiiiil: ; @_ZL15flash_attn_tileILi112ELi112ELi2ELi8ELb1EEvPKcS1_S1_S1_S1_PKiPfP15HIP_vector_typeIfLj2EEffffjfiS5_IjLj3EEiiiiiiiiiiiliiliiiiil
; %bb.0:
	s_add_u32 s0, s0, s7
	s_addc_u32 s1, s1, 0
	s_add_u32 s8, s4, 0xd0
	s_addc_u32 s9, s5, 0
	s_getpc_b64 s[4:5]
	s_add_u32 s4, s4, _ZL14no_device_codePKciS0_iS0_@rel32@lo+4
	s_addc_u32 s5, s5, _ZL14no_device_codePKciS0_iS0_@rel32@hi+12
	s_mov_b32 s32, 0
	s_swappc_b64 s[30:31], s[4:5]
	.section	.rodata,"a",@progbits
	.p2align	6, 0x0
	.amdhsa_kernel _ZL15flash_attn_tileILi112ELi112ELi2ELi8ELb1EEvPKcS1_S1_S1_S1_PKiPfP15HIP_vector_typeIfLj2EEffffjfiS5_IjLj3EEiiiiiiiiiiiliiliiiiil
		.amdhsa_group_segment_fixed_size 0
		.amdhsa_private_segment_fixed_size 16
		.amdhsa_kernarg_size 464
		.amdhsa_user_sgpr_count 6
		.amdhsa_user_sgpr_private_segment_buffer 1
		.amdhsa_user_sgpr_dispatch_ptr 0
		.amdhsa_user_sgpr_queue_ptr 0
		.amdhsa_user_sgpr_kernarg_segment_ptr 1
		.amdhsa_user_sgpr_dispatch_id 0
		.amdhsa_user_sgpr_flat_scratch_init 0
		.amdhsa_user_sgpr_private_segment_size 0
		.amdhsa_uses_dynamic_stack 0
		.amdhsa_system_sgpr_private_segment_wavefront_offset 1
		.amdhsa_system_sgpr_workgroup_id_x 1
		.amdhsa_system_sgpr_workgroup_id_y 0
		.amdhsa_system_sgpr_workgroup_id_z 0
		.amdhsa_system_sgpr_workgroup_info 0
		.amdhsa_system_vgpr_workitem_id 0
		.amdhsa_next_free_vgpr 41
		.amdhsa_next_free_sgpr 34
		.amdhsa_reserve_vcc 1
		.amdhsa_reserve_flat_scratch 0
		.amdhsa_float_round_mode_32 0
		.amdhsa_float_round_mode_16_64 0
		.amdhsa_float_denorm_mode_32 3
		.amdhsa_float_denorm_mode_16_64 3
		.amdhsa_dx10_clamp 1
		.amdhsa_ieee_mode 1
		.amdhsa_fp16_overflow 0
		.amdhsa_exception_fp_ieee_invalid_op 0
		.amdhsa_exception_fp_denorm_src 0
		.amdhsa_exception_fp_ieee_div_zero 0
		.amdhsa_exception_fp_ieee_overflow 0
		.amdhsa_exception_fp_ieee_underflow 0
		.amdhsa_exception_fp_ieee_inexact 0
		.amdhsa_exception_int_div_zero 0
	.end_amdhsa_kernel
	.section	.text._ZL15flash_attn_tileILi112ELi112ELi2ELi8ELb1EEvPKcS1_S1_S1_S1_PKiPfP15HIP_vector_typeIfLj2EEffffjfiS5_IjLj3EEiiiiiiiiiiiliiliiiiil,"axG",@progbits,_ZL15flash_attn_tileILi112ELi112ELi2ELi8ELb1EEvPKcS1_S1_S1_S1_PKiPfP15HIP_vector_typeIfLj2EEffffjfiS5_IjLj3EEiiiiiiiiiiiliiliiiiil,comdat
.Lfunc_end76:
	.size	_ZL15flash_attn_tileILi112ELi112ELi2ELi8ELb1EEvPKcS1_S1_S1_S1_PKiPfP15HIP_vector_typeIfLj2EEffffjfiS5_IjLj3EEiiiiiiiiiiiliiliiiiil, .Lfunc_end76-_ZL15flash_attn_tileILi112ELi112ELi2ELi8ELb1EEvPKcS1_S1_S1_S1_PKiPfP15HIP_vector_typeIfLj2EEffffjfiS5_IjLj3EEiiiiiiiiiiiliiliiiiil
                                        ; -- End function
	.set _ZL15flash_attn_tileILi112ELi112ELi2ELi8ELb1EEvPKcS1_S1_S1_S1_PKiPfP15HIP_vector_typeIfLj2EEffffjfiS5_IjLj3EEiiiiiiiiiiiliiliiiiil.num_vgpr, max(0, .L_ZL14no_device_codePKciS0_iS0_.num_vgpr)
	.set _ZL15flash_attn_tileILi112ELi112ELi2ELi8ELb1EEvPKcS1_S1_S1_S1_PKiPfP15HIP_vector_typeIfLj2EEffffjfiS5_IjLj3EEiiiiiiiiiiiliiliiiiil.num_agpr, max(0, .L_ZL14no_device_codePKciS0_iS0_.num_agpr)
	.set _ZL15flash_attn_tileILi112ELi112ELi2ELi8ELb1EEvPKcS1_S1_S1_S1_PKiPfP15HIP_vector_typeIfLj2EEffffjfiS5_IjLj3EEiiiiiiiiiiiliiliiiiil.numbered_sgpr, max(33, .L_ZL14no_device_codePKciS0_iS0_.numbered_sgpr)
	.set _ZL15flash_attn_tileILi112ELi112ELi2ELi8ELb1EEvPKcS1_S1_S1_S1_PKiPfP15HIP_vector_typeIfLj2EEffffjfiS5_IjLj3EEiiiiiiiiiiiliiliiiiil.num_named_barrier, max(0, .L_ZL14no_device_codePKciS0_iS0_.num_named_barrier)
	.set _ZL15flash_attn_tileILi112ELi112ELi2ELi8ELb1EEvPKcS1_S1_S1_S1_PKiPfP15HIP_vector_typeIfLj2EEffffjfiS5_IjLj3EEiiiiiiiiiiiliiliiiiil.private_seg_size, 0+max(.L_ZL14no_device_codePKciS0_iS0_.private_seg_size)
	.set _ZL15flash_attn_tileILi112ELi112ELi2ELi8ELb1EEvPKcS1_S1_S1_S1_PKiPfP15HIP_vector_typeIfLj2EEffffjfiS5_IjLj3EEiiiiiiiiiiiliiliiiiil.uses_vcc, or(1, .L_ZL14no_device_codePKciS0_iS0_.uses_vcc)
	.set _ZL15flash_attn_tileILi112ELi112ELi2ELi8ELb1EEvPKcS1_S1_S1_S1_PKiPfP15HIP_vector_typeIfLj2EEffffjfiS5_IjLj3EEiiiiiiiiiiiliiliiiiil.uses_flat_scratch, or(0, .L_ZL14no_device_codePKciS0_iS0_.uses_flat_scratch)
	.set _ZL15flash_attn_tileILi112ELi112ELi2ELi8ELb1EEvPKcS1_S1_S1_S1_PKiPfP15HIP_vector_typeIfLj2EEffffjfiS5_IjLj3EEiiiiiiiiiiiliiliiiiil.has_dyn_sized_stack, or(0, .L_ZL14no_device_codePKciS0_iS0_.has_dyn_sized_stack)
	.set _ZL15flash_attn_tileILi112ELi112ELi2ELi8ELb1EEvPKcS1_S1_S1_S1_PKiPfP15HIP_vector_typeIfLj2EEffffjfiS5_IjLj3EEiiiiiiiiiiiliiliiiiil.has_recursion, or(0, .L_ZL14no_device_codePKciS0_iS0_.has_recursion)
	.set _ZL15flash_attn_tileILi112ELi112ELi2ELi8ELb1EEvPKcS1_S1_S1_S1_PKiPfP15HIP_vector_typeIfLj2EEffffjfiS5_IjLj3EEiiiiiiiiiiiliiliiiiil.has_indirect_call, or(0, .L_ZL14no_device_codePKciS0_iS0_.has_indirect_call)
	.section	.AMDGPU.csdata,"",@progbits
; Kernel info:
; codeLenInByte = 48
; TotalNumSgprs: 38
; NumVgprs: 41
; ScratchSize: 16
; MemoryBound: 0
; FloatMode: 240
; IeeeMode: 1
; LDSByteSize: 0 bytes/workgroup (compile time only)
; SGPRBlocks: 4
; VGPRBlocks: 10
; NumSGPRsForWavesPerEU: 38
; NumVGPRsForWavesPerEU: 41
; Occupancy: 5
; WaveLimiterHint : 1
; COMPUTE_PGM_RSRC2:SCRATCH_EN: 1
; COMPUTE_PGM_RSRC2:USER_SGPR: 6
; COMPUTE_PGM_RSRC2:TRAP_HANDLER: 0
; COMPUTE_PGM_RSRC2:TGID_X_EN: 1
; COMPUTE_PGM_RSRC2:TGID_Y_EN: 0
; COMPUTE_PGM_RSRC2:TGID_Z_EN: 0
; COMPUTE_PGM_RSRC2:TIDIG_COMP_CNT: 0
	.section	.text._ZL15flash_attn_tileILi112ELi112ELi1ELi8ELb1EEvPKcS1_S1_S1_S1_PKiPfP15HIP_vector_typeIfLj2EEffffjfiS5_IjLj3EEiiiiiiiiiiiliiliiiiil,"axG",@progbits,_ZL15flash_attn_tileILi112ELi112ELi1ELi8ELb1EEvPKcS1_S1_S1_S1_PKiPfP15HIP_vector_typeIfLj2EEffffjfiS5_IjLj3EEiiiiiiiiiiiliiliiiiil,comdat
	.globl	_ZL15flash_attn_tileILi112ELi112ELi1ELi8ELb1EEvPKcS1_S1_S1_S1_PKiPfP15HIP_vector_typeIfLj2EEffffjfiS5_IjLj3EEiiiiiiiiiiiliiliiiiil ; -- Begin function _ZL15flash_attn_tileILi112ELi112ELi1ELi8ELb1EEvPKcS1_S1_S1_S1_PKiPfP15HIP_vector_typeIfLj2EEffffjfiS5_IjLj3EEiiiiiiiiiiiliiliiiiil
	.p2align	8
	.type	_ZL15flash_attn_tileILi112ELi112ELi1ELi8ELb1EEvPKcS1_S1_S1_S1_PKiPfP15HIP_vector_typeIfLj2EEffffjfiS5_IjLj3EEiiiiiiiiiiiliiliiiiil,@function
_ZL15flash_attn_tileILi112ELi112ELi1ELi8ELb1EEvPKcS1_S1_S1_S1_PKiPfP15HIP_vector_typeIfLj2EEffffjfiS5_IjLj3EEiiiiiiiiiiiliiliiiiil: ; @_ZL15flash_attn_tileILi112ELi112ELi1ELi8ELb1EEvPKcS1_S1_S1_S1_PKiPfP15HIP_vector_typeIfLj2EEffffjfiS5_IjLj3EEiiiiiiiiiiiliiliiiiil
; %bb.0:
	s_add_u32 s0, s0, s7
	s_addc_u32 s1, s1, 0
	s_add_u32 s8, s4, 0xd0
	s_addc_u32 s9, s5, 0
	s_getpc_b64 s[4:5]
	s_add_u32 s4, s4, _ZL14no_device_codePKciS0_iS0_@rel32@lo+4
	s_addc_u32 s5, s5, _ZL14no_device_codePKciS0_iS0_@rel32@hi+12
	s_mov_b32 s32, 0
	s_swappc_b64 s[30:31], s[4:5]
	.section	.rodata,"a",@progbits
	.p2align	6, 0x0
	.amdhsa_kernel _ZL15flash_attn_tileILi112ELi112ELi1ELi8ELb1EEvPKcS1_S1_S1_S1_PKiPfP15HIP_vector_typeIfLj2EEffffjfiS5_IjLj3EEiiiiiiiiiiiliiliiiiil
		.amdhsa_group_segment_fixed_size 0
		.amdhsa_private_segment_fixed_size 16
		.amdhsa_kernarg_size 464
		.amdhsa_user_sgpr_count 6
		.amdhsa_user_sgpr_private_segment_buffer 1
		.amdhsa_user_sgpr_dispatch_ptr 0
		.amdhsa_user_sgpr_queue_ptr 0
		.amdhsa_user_sgpr_kernarg_segment_ptr 1
		.amdhsa_user_sgpr_dispatch_id 0
		.amdhsa_user_sgpr_flat_scratch_init 0
		.amdhsa_user_sgpr_private_segment_size 0
		.amdhsa_uses_dynamic_stack 0
		.amdhsa_system_sgpr_private_segment_wavefront_offset 1
		.amdhsa_system_sgpr_workgroup_id_x 1
		.amdhsa_system_sgpr_workgroup_id_y 0
		.amdhsa_system_sgpr_workgroup_id_z 0
		.amdhsa_system_sgpr_workgroup_info 0
		.amdhsa_system_vgpr_workitem_id 0
		.amdhsa_next_free_vgpr 41
		.amdhsa_next_free_sgpr 34
		.amdhsa_reserve_vcc 1
		.amdhsa_reserve_flat_scratch 0
		.amdhsa_float_round_mode_32 0
		.amdhsa_float_round_mode_16_64 0
		.amdhsa_float_denorm_mode_32 3
		.amdhsa_float_denorm_mode_16_64 3
		.amdhsa_dx10_clamp 1
		.amdhsa_ieee_mode 1
		.amdhsa_fp16_overflow 0
		.amdhsa_exception_fp_ieee_invalid_op 0
		.amdhsa_exception_fp_denorm_src 0
		.amdhsa_exception_fp_ieee_div_zero 0
		.amdhsa_exception_fp_ieee_overflow 0
		.amdhsa_exception_fp_ieee_underflow 0
		.amdhsa_exception_fp_ieee_inexact 0
		.amdhsa_exception_int_div_zero 0
	.end_amdhsa_kernel
	.section	.text._ZL15flash_attn_tileILi112ELi112ELi1ELi8ELb1EEvPKcS1_S1_S1_S1_PKiPfP15HIP_vector_typeIfLj2EEffffjfiS5_IjLj3EEiiiiiiiiiiiliiliiiiil,"axG",@progbits,_ZL15flash_attn_tileILi112ELi112ELi1ELi8ELb1EEvPKcS1_S1_S1_S1_PKiPfP15HIP_vector_typeIfLj2EEffffjfiS5_IjLj3EEiiiiiiiiiiiliiliiiiil,comdat
.Lfunc_end77:
	.size	_ZL15flash_attn_tileILi112ELi112ELi1ELi8ELb1EEvPKcS1_S1_S1_S1_PKiPfP15HIP_vector_typeIfLj2EEffffjfiS5_IjLj3EEiiiiiiiiiiiliiliiiiil, .Lfunc_end77-_ZL15flash_attn_tileILi112ELi112ELi1ELi8ELb1EEvPKcS1_S1_S1_S1_PKiPfP15HIP_vector_typeIfLj2EEffffjfiS5_IjLj3EEiiiiiiiiiiiliiliiiiil
                                        ; -- End function
	.set _ZL15flash_attn_tileILi112ELi112ELi1ELi8ELb1EEvPKcS1_S1_S1_S1_PKiPfP15HIP_vector_typeIfLj2EEffffjfiS5_IjLj3EEiiiiiiiiiiiliiliiiiil.num_vgpr, max(0, .L_ZL14no_device_codePKciS0_iS0_.num_vgpr)
	.set _ZL15flash_attn_tileILi112ELi112ELi1ELi8ELb1EEvPKcS1_S1_S1_S1_PKiPfP15HIP_vector_typeIfLj2EEffffjfiS5_IjLj3EEiiiiiiiiiiiliiliiiiil.num_agpr, max(0, .L_ZL14no_device_codePKciS0_iS0_.num_agpr)
	.set _ZL15flash_attn_tileILi112ELi112ELi1ELi8ELb1EEvPKcS1_S1_S1_S1_PKiPfP15HIP_vector_typeIfLj2EEffffjfiS5_IjLj3EEiiiiiiiiiiiliiliiiiil.numbered_sgpr, max(33, .L_ZL14no_device_codePKciS0_iS0_.numbered_sgpr)
	.set _ZL15flash_attn_tileILi112ELi112ELi1ELi8ELb1EEvPKcS1_S1_S1_S1_PKiPfP15HIP_vector_typeIfLj2EEffffjfiS5_IjLj3EEiiiiiiiiiiiliiliiiiil.num_named_barrier, max(0, .L_ZL14no_device_codePKciS0_iS0_.num_named_barrier)
	.set _ZL15flash_attn_tileILi112ELi112ELi1ELi8ELb1EEvPKcS1_S1_S1_S1_PKiPfP15HIP_vector_typeIfLj2EEffffjfiS5_IjLj3EEiiiiiiiiiiiliiliiiiil.private_seg_size, 0+max(.L_ZL14no_device_codePKciS0_iS0_.private_seg_size)
	.set _ZL15flash_attn_tileILi112ELi112ELi1ELi8ELb1EEvPKcS1_S1_S1_S1_PKiPfP15HIP_vector_typeIfLj2EEffffjfiS5_IjLj3EEiiiiiiiiiiiliiliiiiil.uses_vcc, or(1, .L_ZL14no_device_codePKciS0_iS0_.uses_vcc)
	.set _ZL15flash_attn_tileILi112ELi112ELi1ELi8ELb1EEvPKcS1_S1_S1_S1_PKiPfP15HIP_vector_typeIfLj2EEffffjfiS5_IjLj3EEiiiiiiiiiiiliiliiiiil.uses_flat_scratch, or(0, .L_ZL14no_device_codePKciS0_iS0_.uses_flat_scratch)
	.set _ZL15flash_attn_tileILi112ELi112ELi1ELi8ELb1EEvPKcS1_S1_S1_S1_PKiPfP15HIP_vector_typeIfLj2EEffffjfiS5_IjLj3EEiiiiiiiiiiiliiliiiiil.has_dyn_sized_stack, or(0, .L_ZL14no_device_codePKciS0_iS0_.has_dyn_sized_stack)
	.set _ZL15flash_attn_tileILi112ELi112ELi1ELi8ELb1EEvPKcS1_S1_S1_S1_PKiPfP15HIP_vector_typeIfLj2EEffffjfiS5_IjLj3EEiiiiiiiiiiiliiliiiiil.has_recursion, or(0, .L_ZL14no_device_codePKciS0_iS0_.has_recursion)
	.set _ZL15flash_attn_tileILi112ELi112ELi1ELi8ELb1EEvPKcS1_S1_S1_S1_PKiPfP15HIP_vector_typeIfLj2EEffffjfiS5_IjLj3EEiiiiiiiiiiiliiliiiiil.has_indirect_call, or(0, .L_ZL14no_device_codePKciS0_iS0_.has_indirect_call)
	.section	.AMDGPU.csdata,"",@progbits
; Kernel info:
; codeLenInByte = 48
; TotalNumSgprs: 38
; NumVgprs: 41
; ScratchSize: 16
; MemoryBound: 0
; FloatMode: 240
; IeeeMode: 1
; LDSByteSize: 0 bytes/workgroup (compile time only)
; SGPRBlocks: 4
; VGPRBlocks: 10
; NumSGPRsForWavesPerEU: 38
; NumVGPRsForWavesPerEU: 41
; Occupancy: 5
; WaveLimiterHint : 1
; COMPUTE_PGM_RSRC2:SCRATCH_EN: 1
; COMPUTE_PGM_RSRC2:USER_SGPR: 6
; COMPUTE_PGM_RSRC2:TRAP_HANDLER: 0
; COMPUTE_PGM_RSRC2:TGID_X_EN: 1
; COMPUTE_PGM_RSRC2:TGID_Y_EN: 0
; COMPUTE_PGM_RSRC2:TGID_Z_EN: 0
; COMPUTE_PGM_RSRC2:TIDIG_COMP_CNT: 0
	.section	.text._ZL15flash_attn_tileILi112ELi112ELi16ELi4ELb1EEvPKcS1_S1_S1_S1_PKiPfP15HIP_vector_typeIfLj2EEffffjfiS5_IjLj3EEiiiiiiiiiiiliiliiiiil,"axG",@progbits,_ZL15flash_attn_tileILi112ELi112ELi16ELi4ELb1EEvPKcS1_S1_S1_S1_PKiPfP15HIP_vector_typeIfLj2EEffffjfiS5_IjLj3EEiiiiiiiiiiiliiliiiiil,comdat
	.globl	_ZL15flash_attn_tileILi112ELi112ELi16ELi4ELb1EEvPKcS1_S1_S1_S1_PKiPfP15HIP_vector_typeIfLj2EEffffjfiS5_IjLj3EEiiiiiiiiiiiliiliiiiil ; -- Begin function _ZL15flash_attn_tileILi112ELi112ELi16ELi4ELb1EEvPKcS1_S1_S1_S1_PKiPfP15HIP_vector_typeIfLj2EEffffjfiS5_IjLj3EEiiiiiiiiiiiliiliiiiil
	.p2align	8
	.type	_ZL15flash_attn_tileILi112ELi112ELi16ELi4ELb1EEvPKcS1_S1_S1_S1_PKiPfP15HIP_vector_typeIfLj2EEffffjfiS5_IjLj3EEiiiiiiiiiiiliiliiiiil,@function
_ZL15flash_attn_tileILi112ELi112ELi16ELi4ELb1EEvPKcS1_S1_S1_S1_PKiPfP15HIP_vector_typeIfLj2EEffffjfiS5_IjLj3EEiiiiiiiiiiiliiliiiiil: ; @_ZL15flash_attn_tileILi112ELi112ELi16ELi4ELb1EEvPKcS1_S1_S1_S1_PKiPfP15HIP_vector_typeIfLj2EEffffjfiS5_IjLj3EEiiiiiiiiiiiliiliiiiil
; %bb.0:
	s_add_u32 s0, s0, s7
	s_addc_u32 s1, s1, 0
	s_add_u32 s8, s4, 0xd0
	s_addc_u32 s9, s5, 0
	s_getpc_b64 s[4:5]
	s_add_u32 s4, s4, _ZL14no_device_codePKciS0_iS0_@rel32@lo+4
	s_addc_u32 s5, s5, _ZL14no_device_codePKciS0_iS0_@rel32@hi+12
	s_mov_b32 s32, 0
	s_swappc_b64 s[30:31], s[4:5]
	.section	.rodata,"a",@progbits
	.p2align	6, 0x0
	.amdhsa_kernel _ZL15flash_attn_tileILi112ELi112ELi16ELi4ELb1EEvPKcS1_S1_S1_S1_PKiPfP15HIP_vector_typeIfLj2EEffffjfiS5_IjLj3EEiiiiiiiiiiiliiliiiiil
		.amdhsa_group_segment_fixed_size 0
		.amdhsa_private_segment_fixed_size 16
		.amdhsa_kernarg_size 464
		.amdhsa_user_sgpr_count 6
		.amdhsa_user_sgpr_private_segment_buffer 1
		.amdhsa_user_sgpr_dispatch_ptr 0
		.amdhsa_user_sgpr_queue_ptr 0
		.amdhsa_user_sgpr_kernarg_segment_ptr 1
		.amdhsa_user_sgpr_dispatch_id 0
		.amdhsa_user_sgpr_flat_scratch_init 0
		.amdhsa_user_sgpr_private_segment_size 0
		.amdhsa_uses_dynamic_stack 0
		.amdhsa_system_sgpr_private_segment_wavefront_offset 1
		.amdhsa_system_sgpr_workgroup_id_x 1
		.amdhsa_system_sgpr_workgroup_id_y 0
		.amdhsa_system_sgpr_workgroup_id_z 0
		.amdhsa_system_sgpr_workgroup_info 0
		.amdhsa_system_vgpr_workitem_id 0
		.amdhsa_next_free_vgpr 41
		.amdhsa_next_free_sgpr 34
		.amdhsa_reserve_vcc 1
		.amdhsa_reserve_flat_scratch 0
		.amdhsa_float_round_mode_32 0
		.amdhsa_float_round_mode_16_64 0
		.amdhsa_float_denorm_mode_32 3
		.amdhsa_float_denorm_mode_16_64 3
		.amdhsa_dx10_clamp 1
		.amdhsa_ieee_mode 1
		.amdhsa_fp16_overflow 0
		.amdhsa_exception_fp_ieee_invalid_op 0
		.amdhsa_exception_fp_denorm_src 0
		.amdhsa_exception_fp_ieee_div_zero 0
		.amdhsa_exception_fp_ieee_overflow 0
		.amdhsa_exception_fp_ieee_underflow 0
		.amdhsa_exception_fp_ieee_inexact 0
		.amdhsa_exception_int_div_zero 0
	.end_amdhsa_kernel
	.section	.text._ZL15flash_attn_tileILi112ELi112ELi16ELi4ELb1EEvPKcS1_S1_S1_S1_PKiPfP15HIP_vector_typeIfLj2EEffffjfiS5_IjLj3EEiiiiiiiiiiiliiliiiiil,"axG",@progbits,_ZL15flash_attn_tileILi112ELi112ELi16ELi4ELb1EEvPKcS1_S1_S1_S1_PKiPfP15HIP_vector_typeIfLj2EEffffjfiS5_IjLj3EEiiiiiiiiiiiliiliiiiil,comdat
.Lfunc_end78:
	.size	_ZL15flash_attn_tileILi112ELi112ELi16ELi4ELb1EEvPKcS1_S1_S1_S1_PKiPfP15HIP_vector_typeIfLj2EEffffjfiS5_IjLj3EEiiiiiiiiiiiliiliiiiil, .Lfunc_end78-_ZL15flash_attn_tileILi112ELi112ELi16ELi4ELb1EEvPKcS1_S1_S1_S1_PKiPfP15HIP_vector_typeIfLj2EEffffjfiS5_IjLj3EEiiiiiiiiiiiliiliiiiil
                                        ; -- End function
	.set _ZL15flash_attn_tileILi112ELi112ELi16ELi4ELb1EEvPKcS1_S1_S1_S1_PKiPfP15HIP_vector_typeIfLj2EEffffjfiS5_IjLj3EEiiiiiiiiiiiliiliiiiil.num_vgpr, max(0, .L_ZL14no_device_codePKciS0_iS0_.num_vgpr)
	.set _ZL15flash_attn_tileILi112ELi112ELi16ELi4ELb1EEvPKcS1_S1_S1_S1_PKiPfP15HIP_vector_typeIfLj2EEffffjfiS5_IjLj3EEiiiiiiiiiiiliiliiiiil.num_agpr, max(0, .L_ZL14no_device_codePKciS0_iS0_.num_agpr)
	.set _ZL15flash_attn_tileILi112ELi112ELi16ELi4ELb1EEvPKcS1_S1_S1_S1_PKiPfP15HIP_vector_typeIfLj2EEffffjfiS5_IjLj3EEiiiiiiiiiiiliiliiiiil.numbered_sgpr, max(33, .L_ZL14no_device_codePKciS0_iS0_.numbered_sgpr)
	.set _ZL15flash_attn_tileILi112ELi112ELi16ELi4ELb1EEvPKcS1_S1_S1_S1_PKiPfP15HIP_vector_typeIfLj2EEffffjfiS5_IjLj3EEiiiiiiiiiiiliiliiiiil.num_named_barrier, max(0, .L_ZL14no_device_codePKciS0_iS0_.num_named_barrier)
	.set _ZL15flash_attn_tileILi112ELi112ELi16ELi4ELb1EEvPKcS1_S1_S1_S1_PKiPfP15HIP_vector_typeIfLj2EEffffjfiS5_IjLj3EEiiiiiiiiiiiliiliiiiil.private_seg_size, 0+max(.L_ZL14no_device_codePKciS0_iS0_.private_seg_size)
	.set _ZL15flash_attn_tileILi112ELi112ELi16ELi4ELb1EEvPKcS1_S1_S1_S1_PKiPfP15HIP_vector_typeIfLj2EEffffjfiS5_IjLj3EEiiiiiiiiiiiliiliiiiil.uses_vcc, or(1, .L_ZL14no_device_codePKciS0_iS0_.uses_vcc)
	.set _ZL15flash_attn_tileILi112ELi112ELi16ELi4ELb1EEvPKcS1_S1_S1_S1_PKiPfP15HIP_vector_typeIfLj2EEffffjfiS5_IjLj3EEiiiiiiiiiiiliiliiiiil.uses_flat_scratch, or(0, .L_ZL14no_device_codePKciS0_iS0_.uses_flat_scratch)
	.set _ZL15flash_attn_tileILi112ELi112ELi16ELi4ELb1EEvPKcS1_S1_S1_S1_PKiPfP15HIP_vector_typeIfLj2EEffffjfiS5_IjLj3EEiiiiiiiiiiiliiliiiiil.has_dyn_sized_stack, or(0, .L_ZL14no_device_codePKciS0_iS0_.has_dyn_sized_stack)
	.set _ZL15flash_attn_tileILi112ELi112ELi16ELi4ELb1EEvPKcS1_S1_S1_S1_PKiPfP15HIP_vector_typeIfLj2EEffffjfiS5_IjLj3EEiiiiiiiiiiiliiliiiiil.has_recursion, or(0, .L_ZL14no_device_codePKciS0_iS0_.has_recursion)
	.set _ZL15flash_attn_tileILi112ELi112ELi16ELi4ELb1EEvPKcS1_S1_S1_S1_PKiPfP15HIP_vector_typeIfLj2EEffffjfiS5_IjLj3EEiiiiiiiiiiiliiliiiiil.has_indirect_call, or(0, .L_ZL14no_device_codePKciS0_iS0_.has_indirect_call)
	.section	.AMDGPU.csdata,"",@progbits
; Kernel info:
; codeLenInByte = 48
; TotalNumSgprs: 38
; NumVgprs: 41
; ScratchSize: 16
; MemoryBound: 0
; FloatMode: 240
; IeeeMode: 1
; LDSByteSize: 0 bytes/workgroup (compile time only)
; SGPRBlocks: 4
; VGPRBlocks: 10
; NumSGPRsForWavesPerEU: 38
; NumVGPRsForWavesPerEU: 41
; Occupancy: 5
; WaveLimiterHint : 1
; COMPUTE_PGM_RSRC2:SCRATCH_EN: 1
; COMPUTE_PGM_RSRC2:USER_SGPR: 6
; COMPUTE_PGM_RSRC2:TRAP_HANDLER: 0
; COMPUTE_PGM_RSRC2:TGID_X_EN: 1
; COMPUTE_PGM_RSRC2:TGID_Y_EN: 0
; COMPUTE_PGM_RSRC2:TGID_Z_EN: 0
; COMPUTE_PGM_RSRC2:TIDIG_COMP_CNT: 0
	.section	.text._ZL15flash_attn_tileILi112ELi112ELi8ELi4ELb1EEvPKcS1_S1_S1_S1_PKiPfP15HIP_vector_typeIfLj2EEffffjfiS5_IjLj3EEiiiiiiiiiiiliiliiiiil,"axG",@progbits,_ZL15flash_attn_tileILi112ELi112ELi8ELi4ELb1EEvPKcS1_S1_S1_S1_PKiPfP15HIP_vector_typeIfLj2EEffffjfiS5_IjLj3EEiiiiiiiiiiiliiliiiiil,comdat
	.globl	_ZL15flash_attn_tileILi112ELi112ELi8ELi4ELb1EEvPKcS1_S1_S1_S1_PKiPfP15HIP_vector_typeIfLj2EEffffjfiS5_IjLj3EEiiiiiiiiiiiliiliiiiil ; -- Begin function _ZL15flash_attn_tileILi112ELi112ELi8ELi4ELb1EEvPKcS1_S1_S1_S1_PKiPfP15HIP_vector_typeIfLj2EEffffjfiS5_IjLj3EEiiiiiiiiiiiliiliiiiil
	.p2align	8
	.type	_ZL15flash_attn_tileILi112ELi112ELi8ELi4ELb1EEvPKcS1_S1_S1_S1_PKiPfP15HIP_vector_typeIfLj2EEffffjfiS5_IjLj3EEiiiiiiiiiiiliiliiiiil,@function
_ZL15flash_attn_tileILi112ELi112ELi8ELi4ELb1EEvPKcS1_S1_S1_S1_PKiPfP15HIP_vector_typeIfLj2EEffffjfiS5_IjLj3EEiiiiiiiiiiiliiliiiiil: ; @_ZL15flash_attn_tileILi112ELi112ELi8ELi4ELb1EEvPKcS1_S1_S1_S1_PKiPfP15HIP_vector_typeIfLj2EEffffjfiS5_IjLj3EEiiiiiiiiiiiliiliiiiil
; %bb.0:
	s_add_u32 s0, s0, s7
	s_addc_u32 s1, s1, 0
	s_add_u32 s8, s4, 0xd0
	s_addc_u32 s9, s5, 0
	s_getpc_b64 s[4:5]
	s_add_u32 s4, s4, _ZL14no_device_codePKciS0_iS0_@rel32@lo+4
	s_addc_u32 s5, s5, _ZL14no_device_codePKciS0_iS0_@rel32@hi+12
	s_mov_b32 s32, 0
	s_swappc_b64 s[30:31], s[4:5]
	.section	.rodata,"a",@progbits
	.p2align	6, 0x0
	.amdhsa_kernel _ZL15flash_attn_tileILi112ELi112ELi8ELi4ELb1EEvPKcS1_S1_S1_S1_PKiPfP15HIP_vector_typeIfLj2EEffffjfiS5_IjLj3EEiiiiiiiiiiiliiliiiiil
		.amdhsa_group_segment_fixed_size 0
		.amdhsa_private_segment_fixed_size 16
		.amdhsa_kernarg_size 464
		.amdhsa_user_sgpr_count 6
		.amdhsa_user_sgpr_private_segment_buffer 1
		.amdhsa_user_sgpr_dispatch_ptr 0
		.amdhsa_user_sgpr_queue_ptr 0
		.amdhsa_user_sgpr_kernarg_segment_ptr 1
		.amdhsa_user_sgpr_dispatch_id 0
		.amdhsa_user_sgpr_flat_scratch_init 0
		.amdhsa_user_sgpr_private_segment_size 0
		.amdhsa_uses_dynamic_stack 0
		.amdhsa_system_sgpr_private_segment_wavefront_offset 1
		.amdhsa_system_sgpr_workgroup_id_x 1
		.amdhsa_system_sgpr_workgroup_id_y 0
		.amdhsa_system_sgpr_workgroup_id_z 0
		.amdhsa_system_sgpr_workgroup_info 0
		.amdhsa_system_vgpr_workitem_id 0
		.amdhsa_next_free_vgpr 41
		.amdhsa_next_free_sgpr 34
		.amdhsa_reserve_vcc 1
		.amdhsa_reserve_flat_scratch 0
		.amdhsa_float_round_mode_32 0
		.amdhsa_float_round_mode_16_64 0
		.amdhsa_float_denorm_mode_32 3
		.amdhsa_float_denorm_mode_16_64 3
		.amdhsa_dx10_clamp 1
		.amdhsa_ieee_mode 1
		.amdhsa_fp16_overflow 0
		.amdhsa_exception_fp_ieee_invalid_op 0
		.amdhsa_exception_fp_denorm_src 0
		.amdhsa_exception_fp_ieee_div_zero 0
		.amdhsa_exception_fp_ieee_overflow 0
		.amdhsa_exception_fp_ieee_underflow 0
		.amdhsa_exception_fp_ieee_inexact 0
		.amdhsa_exception_int_div_zero 0
	.end_amdhsa_kernel
	.section	.text._ZL15flash_attn_tileILi112ELi112ELi8ELi4ELb1EEvPKcS1_S1_S1_S1_PKiPfP15HIP_vector_typeIfLj2EEffffjfiS5_IjLj3EEiiiiiiiiiiiliiliiiiil,"axG",@progbits,_ZL15flash_attn_tileILi112ELi112ELi8ELi4ELb1EEvPKcS1_S1_S1_S1_PKiPfP15HIP_vector_typeIfLj2EEffffjfiS5_IjLj3EEiiiiiiiiiiiliiliiiiil,comdat
.Lfunc_end79:
	.size	_ZL15flash_attn_tileILi112ELi112ELi8ELi4ELb1EEvPKcS1_S1_S1_S1_PKiPfP15HIP_vector_typeIfLj2EEffffjfiS5_IjLj3EEiiiiiiiiiiiliiliiiiil, .Lfunc_end79-_ZL15flash_attn_tileILi112ELi112ELi8ELi4ELb1EEvPKcS1_S1_S1_S1_PKiPfP15HIP_vector_typeIfLj2EEffffjfiS5_IjLj3EEiiiiiiiiiiiliiliiiiil
                                        ; -- End function
	.set _ZL15flash_attn_tileILi112ELi112ELi8ELi4ELb1EEvPKcS1_S1_S1_S1_PKiPfP15HIP_vector_typeIfLj2EEffffjfiS5_IjLj3EEiiiiiiiiiiiliiliiiiil.num_vgpr, max(0, .L_ZL14no_device_codePKciS0_iS0_.num_vgpr)
	.set _ZL15flash_attn_tileILi112ELi112ELi8ELi4ELb1EEvPKcS1_S1_S1_S1_PKiPfP15HIP_vector_typeIfLj2EEffffjfiS5_IjLj3EEiiiiiiiiiiiliiliiiiil.num_agpr, max(0, .L_ZL14no_device_codePKciS0_iS0_.num_agpr)
	.set _ZL15flash_attn_tileILi112ELi112ELi8ELi4ELb1EEvPKcS1_S1_S1_S1_PKiPfP15HIP_vector_typeIfLj2EEffffjfiS5_IjLj3EEiiiiiiiiiiiliiliiiiil.numbered_sgpr, max(33, .L_ZL14no_device_codePKciS0_iS0_.numbered_sgpr)
	.set _ZL15flash_attn_tileILi112ELi112ELi8ELi4ELb1EEvPKcS1_S1_S1_S1_PKiPfP15HIP_vector_typeIfLj2EEffffjfiS5_IjLj3EEiiiiiiiiiiiliiliiiiil.num_named_barrier, max(0, .L_ZL14no_device_codePKciS0_iS0_.num_named_barrier)
	.set _ZL15flash_attn_tileILi112ELi112ELi8ELi4ELb1EEvPKcS1_S1_S1_S1_PKiPfP15HIP_vector_typeIfLj2EEffffjfiS5_IjLj3EEiiiiiiiiiiiliiliiiiil.private_seg_size, 0+max(.L_ZL14no_device_codePKciS0_iS0_.private_seg_size)
	.set _ZL15flash_attn_tileILi112ELi112ELi8ELi4ELb1EEvPKcS1_S1_S1_S1_PKiPfP15HIP_vector_typeIfLj2EEffffjfiS5_IjLj3EEiiiiiiiiiiiliiliiiiil.uses_vcc, or(1, .L_ZL14no_device_codePKciS0_iS0_.uses_vcc)
	.set _ZL15flash_attn_tileILi112ELi112ELi8ELi4ELb1EEvPKcS1_S1_S1_S1_PKiPfP15HIP_vector_typeIfLj2EEffffjfiS5_IjLj3EEiiiiiiiiiiiliiliiiiil.uses_flat_scratch, or(0, .L_ZL14no_device_codePKciS0_iS0_.uses_flat_scratch)
	.set _ZL15flash_attn_tileILi112ELi112ELi8ELi4ELb1EEvPKcS1_S1_S1_S1_PKiPfP15HIP_vector_typeIfLj2EEffffjfiS5_IjLj3EEiiiiiiiiiiiliiliiiiil.has_dyn_sized_stack, or(0, .L_ZL14no_device_codePKciS0_iS0_.has_dyn_sized_stack)
	.set _ZL15flash_attn_tileILi112ELi112ELi8ELi4ELb1EEvPKcS1_S1_S1_S1_PKiPfP15HIP_vector_typeIfLj2EEffffjfiS5_IjLj3EEiiiiiiiiiiiliiliiiiil.has_recursion, or(0, .L_ZL14no_device_codePKciS0_iS0_.has_recursion)
	.set _ZL15flash_attn_tileILi112ELi112ELi8ELi4ELb1EEvPKcS1_S1_S1_S1_PKiPfP15HIP_vector_typeIfLj2EEffffjfiS5_IjLj3EEiiiiiiiiiiiliiliiiiil.has_indirect_call, or(0, .L_ZL14no_device_codePKciS0_iS0_.has_indirect_call)
	.section	.AMDGPU.csdata,"",@progbits
; Kernel info:
; codeLenInByte = 48
; TotalNumSgprs: 38
; NumVgprs: 41
; ScratchSize: 16
; MemoryBound: 0
; FloatMode: 240
; IeeeMode: 1
; LDSByteSize: 0 bytes/workgroup (compile time only)
; SGPRBlocks: 4
; VGPRBlocks: 10
; NumSGPRsForWavesPerEU: 38
; NumVGPRsForWavesPerEU: 41
; Occupancy: 5
; WaveLimiterHint : 1
; COMPUTE_PGM_RSRC2:SCRATCH_EN: 1
; COMPUTE_PGM_RSRC2:USER_SGPR: 6
; COMPUTE_PGM_RSRC2:TRAP_HANDLER: 0
; COMPUTE_PGM_RSRC2:TGID_X_EN: 1
; COMPUTE_PGM_RSRC2:TGID_Y_EN: 0
; COMPUTE_PGM_RSRC2:TGID_Z_EN: 0
; COMPUTE_PGM_RSRC2:TIDIG_COMP_CNT: 0
	.section	.text._ZL15flash_attn_tileILi112ELi112ELi4ELi4ELb1EEvPKcS1_S1_S1_S1_PKiPfP15HIP_vector_typeIfLj2EEffffjfiS5_IjLj3EEiiiiiiiiiiiliiliiiiil,"axG",@progbits,_ZL15flash_attn_tileILi112ELi112ELi4ELi4ELb1EEvPKcS1_S1_S1_S1_PKiPfP15HIP_vector_typeIfLj2EEffffjfiS5_IjLj3EEiiiiiiiiiiiliiliiiiil,comdat
	.globl	_ZL15flash_attn_tileILi112ELi112ELi4ELi4ELb1EEvPKcS1_S1_S1_S1_PKiPfP15HIP_vector_typeIfLj2EEffffjfiS5_IjLj3EEiiiiiiiiiiiliiliiiiil ; -- Begin function _ZL15flash_attn_tileILi112ELi112ELi4ELi4ELb1EEvPKcS1_S1_S1_S1_PKiPfP15HIP_vector_typeIfLj2EEffffjfiS5_IjLj3EEiiiiiiiiiiiliiliiiiil
	.p2align	8
	.type	_ZL15flash_attn_tileILi112ELi112ELi4ELi4ELb1EEvPKcS1_S1_S1_S1_PKiPfP15HIP_vector_typeIfLj2EEffffjfiS5_IjLj3EEiiiiiiiiiiiliiliiiiil,@function
_ZL15flash_attn_tileILi112ELi112ELi4ELi4ELb1EEvPKcS1_S1_S1_S1_PKiPfP15HIP_vector_typeIfLj2EEffffjfiS5_IjLj3EEiiiiiiiiiiiliiliiiiil: ; @_ZL15flash_attn_tileILi112ELi112ELi4ELi4ELb1EEvPKcS1_S1_S1_S1_PKiPfP15HIP_vector_typeIfLj2EEffffjfiS5_IjLj3EEiiiiiiiiiiiliiliiiiil
; %bb.0:
	s_add_u32 s0, s0, s7
	s_addc_u32 s1, s1, 0
	s_add_u32 s8, s4, 0xd0
	s_addc_u32 s9, s5, 0
	s_getpc_b64 s[4:5]
	s_add_u32 s4, s4, _ZL14no_device_codePKciS0_iS0_@rel32@lo+4
	s_addc_u32 s5, s5, _ZL14no_device_codePKciS0_iS0_@rel32@hi+12
	s_mov_b32 s32, 0
	s_swappc_b64 s[30:31], s[4:5]
	.section	.rodata,"a",@progbits
	.p2align	6, 0x0
	.amdhsa_kernel _ZL15flash_attn_tileILi112ELi112ELi4ELi4ELb1EEvPKcS1_S1_S1_S1_PKiPfP15HIP_vector_typeIfLj2EEffffjfiS5_IjLj3EEiiiiiiiiiiiliiliiiiil
		.amdhsa_group_segment_fixed_size 0
		.amdhsa_private_segment_fixed_size 16
		.amdhsa_kernarg_size 464
		.amdhsa_user_sgpr_count 6
		.amdhsa_user_sgpr_private_segment_buffer 1
		.amdhsa_user_sgpr_dispatch_ptr 0
		.amdhsa_user_sgpr_queue_ptr 0
		.amdhsa_user_sgpr_kernarg_segment_ptr 1
		.amdhsa_user_sgpr_dispatch_id 0
		.amdhsa_user_sgpr_flat_scratch_init 0
		.amdhsa_user_sgpr_private_segment_size 0
		.amdhsa_uses_dynamic_stack 0
		.amdhsa_system_sgpr_private_segment_wavefront_offset 1
		.amdhsa_system_sgpr_workgroup_id_x 1
		.amdhsa_system_sgpr_workgroup_id_y 0
		.amdhsa_system_sgpr_workgroup_id_z 0
		.amdhsa_system_sgpr_workgroup_info 0
		.amdhsa_system_vgpr_workitem_id 0
		.amdhsa_next_free_vgpr 41
		.amdhsa_next_free_sgpr 34
		.amdhsa_reserve_vcc 1
		.amdhsa_reserve_flat_scratch 0
		.amdhsa_float_round_mode_32 0
		.amdhsa_float_round_mode_16_64 0
		.amdhsa_float_denorm_mode_32 3
		.amdhsa_float_denorm_mode_16_64 3
		.amdhsa_dx10_clamp 1
		.amdhsa_ieee_mode 1
		.amdhsa_fp16_overflow 0
		.amdhsa_exception_fp_ieee_invalid_op 0
		.amdhsa_exception_fp_denorm_src 0
		.amdhsa_exception_fp_ieee_div_zero 0
		.amdhsa_exception_fp_ieee_overflow 0
		.amdhsa_exception_fp_ieee_underflow 0
		.amdhsa_exception_fp_ieee_inexact 0
		.amdhsa_exception_int_div_zero 0
	.end_amdhsa_kernel
	.section	.text._ZL15flash_attn_tileILi112ELi112ELi4ELi4ELb1EEvPKcS1_S1_S1_S1_PKiPfP15HIP_vector_typeIfLj2EEffffjfiS5_IjLj3EEiiiiiiiiiiiliiliiiiil,"axG",@progbits,_ZL15flash_attn_tileILi112ELi112ELi4ELi4ELb1EEvPKcS1_S1_S1_S1_PKiPfP15HIP_vector_typeIfLj2EEffffjfiS5_IjLj3EEiiiiiiiiiiiliiliiiiil,comdat
.Lfunc_end80:
	.size	_ZL15flash_attn_tileILi112ELi112ELi4ELi4ELb1EEvPKcS1_S1_S1_S1_PKiPfP15HIP_vector_typeIfLj2EEffffjfiS5_IjLj3EEiiiiiiiiiiiliiliiiiil, .Lfunc_end80-_ZL15flash_attn_tileILi112ELi112ELi4ELi4ELb1EEvPKcS1_S1_S1_S1_PKiPfP15HIP_vector_typeIfLj2EEffffjfiS5_IjLj3EEiiiiiiiiiiiliiliiiiil
                                        ; -- End function
	.set _ZL15flash_attn_tileILi112ELi112ELi4ELi4ELb1EEvPKcS1_S1_S1_S1_PKiPfP15HIP_vector_typeIfLj2EEffffjfiS5_IjLj3EEiiiiiiiiiiiliiliiiiil.num_vgpr, max(0, .L_ZL14no_device_codePKciS0_iS0_.num_vgpr)
	.set _ZL15flash_attn_tileILi112ELi112ELi4ELi4ELb1EEvPKcS1_S1_S1_S1_PKiPfP15HIP_vector_typeIfLj2EEffffjfiS5_IjLj3EEiiiiiiiiiiiliiliiiiil.num_agpr, max(0, .L_ZL14no_device_codePKciS0_iS0_.num_agpr)
	.set _ZL15flash_attn_tileILi112ELi112ELi4ELi4ELb1EEvPKcS1_S1_S1_S1_PKiPfP15HIP_vector_typeIfLj2EEffffjfiS5_IjLj3EEiiiiiiiiiiiliiliiiiil.numbered_sgpr, max(33, .L_ZL14no_device_codePKciS0_iS0_.numbered_sgpr)
	.set _ZL15flash_attn_tileILi112ELi112ELi4ELi4ELb1EEvPKcS1_S1_S1_S1_PKiPfP15HIP_vector_typeIfLj2EEffffjfiS5_IjLj3EEiiiiiiiiiiiliiliiiiil.num_named_barrier, max(0, .L_ZL14no_device_codePKciS0_iS0_.num_named_barrier)
	.set _ZL15flash_attn_tileILi112ELi112ELi4ELi4ELb1EEvPKcS1_S1_S1_S1_PKiPfP15HIP_vector_typeIfLj2EEffffjfiS5_IjLj3EEiiiiiiiiiiiliiliiiiil.private_seg_size, 0+max(.L_ZL14no_device_codePKciS0_iS0_.private_seg_size)
	.set _ZL15flash_attn_tileILi112ELi112ELi4ELi4ELb1EEvPKcS1_S1_S1_S1_PKiPfP15HIP_vector_typeIfLj2EEffffjfiS5_IjLj3EEiiiiiiiiiiiliiliiiiil.uses_vcc, or(1, .L_ZL14no_device_codePKciS0_iS0_.uses_vcc)
	.set _ZL15flash_attn_tileILi112ELi112ELi4ELi4ELb1EEvPKcS1_S1_S1_S1_PKiPfP15HIP_vector_typeIfLj2EEffffjfiS5_IjLj3EEiiiiiiiiiiiliiliiiiil.uses_flat_scratch, or(0, .L_ZL14no_device_codePKciS0_iS0_.uses_flat_scratch)
	.set _ZL15flash_attn_tileILi112ELi112ELi4ELi4ELb1EEvPKcS1_S1_S1_S1_PKiPfP15HIP_vector_typeIfLj2EEffffjfiS5_IjLj3EEiiiiiiiiiiiliiliiiiil.has_dyn_sized_stack, or(0, .L_ZL14no_device_codePKciS0_iS0_.has_dyn_sized_stack)
	.set _ZL15flash_attn_tileILi112ELi112ELi4ELi4ELb1EEvPKcS1_S1_S1_S1_PKiPfP15HIP_vector_typeIfLj2EEffffjfiS5_IjLj3EEiiiiiiiiiiiliiliiiiil.has_recursion, or(0, .L_ZL14no_device_codePKciS0_iS0_.has_recursion)
	.set _ZL15flash_attn_tileILi112ELi112ELi4ELi4ELb1EEvPKcS1_S1_S1_S1_PKiPfP15HIP_vector_typeIfLj2EEffffjfiS5_IjLj3EEiiiiiiiiiiiliiliiiiil.has_indirect_call, or(0, .L_ZL14no_device_codePKciS0_iS0_.has_indirect_call)
	.section	.AMDGPU.csdata,"",@progbits
; Kernel info:
; codeLenInByte = 48
; TotalNumSgprs: 38
; NumVgprs: 41
; ScratchSize: 16
; MemoryBound: 0
; FloatMode: 240
; IeeeMode: 1
; LDSByteSize: 0 bytes/workgroup (compile time only)
; SGPRBlocks: 4
; VGPRBlocks: 10
; NumSGPRsForWavesPerEU: 38
; NumVGPRsForWavesPerEU: 41
; Occupancy: 5
; WaveLimiterHint : 1
; COMPUTE_PGM_RSRC2:SCRATCH_EN: 1
; COMPUTE_PGM_RSRC2:USER_SGPR: 6
; COMPUTE_PGM_RSRC2:TRAP_HANDLER: 0
; COMPUTE_PGM_RSRC2:TGID_X_EN: 1
; COMPUTE_PGM_RSRC2:TGID_Y_EN: 0
; COMPUTE_PGM_RSRC2:TGID_Z_EN: 0
; COMPUTE_PGM_RSRC2:TIDIG_COMP_CNT: 0
	.section	.text._ZL15flash_attn_tileILi112ELi112ELi2ELi4ELb1EEvPKcS1_S1_S1_S1_PKiPfP15HIP_vector_typeIfLj2EEffffjfiS5_IjLj3EEiiiiiiiiiiiliiliiiiil,"axG",@progbits,_ZL15flash_attn_tileILi112ELi112ELi2ELi4ELb1EEvPKcS1_S1_S1_S1_PKiPfP15HIP_vector_typeIfLj2EEffffjfiS5_IjLj3EEiiiiiiiiiiiliiliiiiil,comdat
	.globl	_ZL15flash_attn_tileILi112ELi112ELi2ELi4ELb1EEvPKcS1_S1_S1_S1_PKiPfP15HIP_vector_typeIfLj2EEffffjfiS5_IjLj3EEiiiiiiiiiiiliiliiiiil ; -- Begin function _ZL15flash_attn_tileILi112ELi112ELi2ELi4ELb1EEvPKcS1_S1_S1_S1_PKiPfP15HIP_vector_typeIfLj2EEffffjfiS5_IjLj3EEiiiiiiiiiiiliiliiiiil
	.p2align	8
	.type	_ZL15flash_attn_tileILi112ELi112ELi2ELi4ELb1EEvPKcS1_S1_S1_S1_PKiPfP15HIP_vector_typeIfLj2EEffffjfiS5_IjLj3EEiiiiiiiiiiiliiliiiiil,@function
_ZL15flash_attn_tileILi112ELi112ELi2ELi4ELb1EEvPKcS1_S1_S1_S1_PKiPfP15HIP_vector_typeIfLj2EEffffjfiS5_IjLj3EEiiiiiiiiiiiliiliiiiil: ; @_ZL15flash_attn_tileILi112ELi112ELi2ELi4ELb1EEvPKcS1_S1_S1_S1_PKiPfP15HIP_vector_typeIfLj2EEffffjfiS5_IjLj3EEiiiiiiiiiiiliiliiiiil
; %bb.0:
	s_add_u32 s0, s0, s7
	s_addc_u32 s1, s1, 0
	s_add_u32 s8, s4, 0xd0
	s_addc_u32 s9, s5, 0
	s_getpc_b64 s[4:5]
	s_add_u32 s4, s4, _ZL14no_device_codePKciS0_iS0_@rel32@lo+4
	s_addc_u32 s5, s5, _ZL14no_device_codePKciS0_iS0_@rel32@hi+12
	s_mov_b32 s32, 0
	s_swappc_b64 s[30:31], s[4:5]
	.section	.rodata,"a",@progbits
	.p2align	6, 0x0
	.amdhsa_kernel _ZL15flash_attn_tileILi112ELi112ELi2ELi4ELb1EEvPKcS1_S1_S1_S1_PKiPfP15HIP_vector_typeIfLj2EEffffjfiS5_IjLj3EEiiiiiiiiiiiliiliiiiil
		.amdhsa_group_segment_fixed_size 0
		.amdhsa_private_segment_fixed_size 16
		.amdhsa_kernarg_size 464
		.amdhsa_user_sgpr_count 6
		.amdhsa_user_sgpr_private_segment_buffer 1
		.amdhsa_user_sgpr_dispatch_ptr 0
		.amdhsa_user_sgpr_queue_ptr 0
		.amdhsa_user_sgpr_kernarg_segment_ptr 1
		.amdhsa_user_sgpr_dispatch_id 0
		.amdhsa_user_sgpr_flat_scratch_init 0
		.amdhsa_user_sgpr_private_segment_size 0
		.amdhsa_uses_dynamic_stack 0
		.amdhsa_system_sgpr_private_segment_wavefront_offset 1
		.amdhsa_system_sgpr_workgroup_id_x 1
		.amdhsa_system_sgpr_workgroup_id_y 0
		.amdhsa_system_sgpr_workgroup_id_z 0
		.amdhsa_system_sgpr_workgroup_info 0
		.amdhsa_system_vgpr_workitem_id 0
		.amdhsa_next_free_vgpr 41
		.amdhsa_next_free_sgpr 34
		.amdhsa_reserve_vcc 1
		.amdhsa_reserve_flat_scratch 0
		.amdhsa_float_round_mode_32 0
		.amdhsa_float_round_mode_16_64 0
		.amdhsa_float_denorm_mode_32 3
		.amdhsa_float_denorm_mode_16_64 3
		.amdhsa_dx10_clamp 1
		.amdhsa_ieee_mode 1
		.amdhsa_fp16_overflow 0
		.amdhsa_exception_fp_ieee_invalid_op 0
		.amdhsa_exception_fp_denorm_src 0
		.amdhsa_exception_fp_ieee_div_zero 0
		.amdhsa_exception_fp_ieee_overflow 0
		.amdhsa_exception_fp_ieee_underflow 0
		.amdhsa_exception_fp_ieee_inexact 0
		.amdhsa_exception_int_div_zero 0
	.end_amdhsa_kernel
	.section	.text._ZL15flash_attn_tileILi112ELi112ELi2ELi4ELb1EEvPKcS1_S1_S1_S1_PKiPfP15HIP_vector_typeIfLj2EEffffjfiS5_IjLj3EEiiiiiiiiiiiliiliiiiil,"axG",@progbits,_ZL15flash_attn_tileILi112ELi112ELi2ELi4ELb1EEvPKcS1_S1_S1_S1_PKiPfP15HIP_vector_typeIfLj2EEffffjfiS5_IjLj3EEiiiiiiiiiiiliiliiiiil,comdat
.Lfunc_end81:
	.size	_ZL15flash_attn_tileILi112ELi112ELi2ELi4ELb1EEvPKcS1_S1_S1_S1_PKiPfP15HIP_vector_typeIfLj2EEffffjfiS5_IjLj3EEiiiiiiiiiiiliiliiiiil, .Lfunc_end81-_ZL15flash_attn_tileILi112ELi112ELi2ELi4ELb1EEvPKcS1_S1_S1_S1_PKiPfP15HIP_vector_typeIfLj2EEffffjfiS5_IjLj3EEiiiiiiiiiiiliiliiiiil
                                        ; -- End function
	.set _ZL15flash_attn_tileILi112ELi112ELi2ELi4ELb1EEvPKcS1_S1_S1_S1_PKiPfP15HIP_vector_typeIfLj2EEffffjfiS5_IjLj3EEiiiiiiiiiiiliiliiiiil.num_vgpr, max(0, .L_ZL14no_device_codePKciS0_iS0_.num_vgpr)
	.set _ZL15flash_attn_tileILi112ELi112ELi2ELi4ELb1EEvPKcS1_S1_S1_S1_PKiPfP15HIP_vector_typeIfLj2EEffffjfiS5_IjLj3EEiiiiiiiiiiiliiliiiiil.num_agpr, max(0, .L_ZL14no_device_codePKciS0_iS0_.num_agpr)
	.set _ZL15flash_attn_tileILi112ELi112ELi2ELi4ELb1EEvPKcS1_S1_S1_S1_PKiPfP15HIP_vector_typeIfLj2EEffffjfiS5_IjLj3EEiiiiiiiiiiiliiliiiiil.numbered_sgpr, max(33, .L_ZL14no_device_codePKciS0_iS0_.numbered_sgpr)
	.set _ZL15flash_attn_tileILi112ELi112ELi2ELi4ELb1EEvPKcS1_S1_S1_S1_PKiPfP15HIP_vector_typeIfLj2EEffffjfiS5_IjLj3EEiiiiiiiiiiiliiliiiiil.num_named_barrier, max(0, .L_ZL14no_device_codePKciS0_iS0_.num_named_barrier)
	.set _ZL15flash_attn_tileILi112ELi112ELi2ELi4ELb1EEvPKcS1_S1_S1_S1_PKiPfP15HIP_vector_typeIfLj2EEffffjfiS5_IjLj3EEiiiiiiiiiiiliiliiiiil.private_seg_size, 0+max(.L_ZL14no_device_codePKciS0_iS0_.private_seg_size)
	.set _ZL15flash_attn_tileILi112ELi112ELi2ELi4ELb1EEvPKcS1_S1_S1_S1_PKiPfP15HIP_vector_typeIfLj2EEffffjfiS5_IjLj3EEiiiiiiiiiiiliiliiiiil.uses_vcc, or(1, .L_ZL14no_device_codePKciS0_iS0_.uses_vcc)
	.set _ZL15flash_attn_tileILi112ELi112ELi2ELi4ELb1EEvPKcS1_S1_S1_S1_PKiPfP15HIP_vector_typeIfLj2EEffffjfiS5_IjLj3EEiiiiiiiiiiiliiliiiiil.uses_flat_scratch, or(0, .L_ZL14no_device_codePKciS0_iS0_.uses_flat_scratch)
	.set _ZL15flash_attn_tileILi112ELi112ELi2ELi4ELb1EEvPKcS1_S1_S1_S1_PKiPfP15HIP_vector_typeIfLj2EEffffjfiS5_IjLj3EEiiiiiiiiiiiliiliiiiil.has_dyn_sized_stack, or(0, .L_ZL14no_device_codePKciS0_iS0_.has_dyn_sized_stack)
	.set _ZL15flash_attn_tileILi112ELi112ELi2ELi4ELb1EEvPKcS1_S1_S1_S1_PKiPfP15HIP_vector_typeIfLj2EEffffjfiS5_IjLj3EEiiiiiiiiiiiliiliiiiil.has_recursion, or(0, .L_ZL14no_device_codePKciS0_iS0_.has_recursion)
	.set _ZL15flash_attn_tileILi112ELi112ELi2ELi4ELb1EEvPKcS1_S1_S1_S1_PKiPfP15HIP_vector_typeIfLj2EEffffjfiS5_IjLj3EEiiiiiiiiiiiliiliiiiil.has_indirect_call, or(0, .L_ZL14no_device_codePKciS0_iS0_.has_indirect_call)
	.section	.AMDGPU.csdata,"",@progbits
; Kernel info:
; codeLenInByte = 48
; TotalNumSgprs: 38
; NumVgprs: 41
; ScratchSize: 16
; MemoryBound: 0
; FloatMode: 240
; IeeeMode: 1
; LDSByteSize: 0 bytes/workgroup (compile time only)
; SGPRBlocks: 4
; VGPRBlocks: 10
; NumSGPRsForWavesPerEU: 38
; NumVGPRsForWavesPerEU: 41
; Occupancy: 5
; WaveLimiterHint : 1
; COMPUTE_PGM_RSRC2:SCRATCH_EN: 1
; COMPUTE_PGM_RSRC2:USER_SGPR: 6
; COMPUTE_PGM_RSRC2:TRAP_HANDLER: 0
; COMPUTE_PGM_RSRC2:TGID_X_EN: 1
; COMPUTE_PGM_RSRC2:TGID_Y_EN: 0
; COMPUTE_PGM_RSRC2:TGID_Z_EN: 0
; COMPUTE_PGM_RSRC2:TIDIG_COMP_CNT: 0
	.section	.text._ZL15flash_attn_tileILi112ELi112ELi1ELi4ELb1EEvPKcS1_S1_S1_S1_PKiPfP15HIP_vector_typeIfLj2EEffffjfiS5_IjLj3EEiiiiiiiiiiiliiliiiiil,"axG",@progbits,_ZL15flash_attn_tileILi112ELi112ELi1ELi4ELb1EEvPKcS1_S1_S1_S1_PKiPfP15HIP_vector_typeIfLj2EEffffjfiS5_IjLj3EEiiiiiiiiiiiliiliiiiil,comdat
	.globl	_ZL15flash_attn_tileILi112ELi112ELi1ELi4ELb1EEvPKcS1_S1_S1_S1_PKiPfP15HIP_vector_typeIfLj2EEffffjfiS5_IjLj3EEiiiiiiiiiiiliiliiiiil ; -- Begin function _ZL15flash_attn_tileILi112ELi112ELi1ELi4ELb1EEvPKcS1_S1_S1_S1_PKiPfP15HIP_vector_typeIfLj2EEffffjfiS5_IjLj3EEiiiiiiiiiiiliiliiiiil
	.p2align	8
	.type	_ZL15flash_attn_tileILi112ELi112ELi1ELi4ELb1EEvPKcS1_S1_S1_S1_PKiPfP15HIP_vector_typeIfLj2EEffffjfiS5_IjLj3EEiiiiiiiiiiiliiliiiiil,@function
_ZL15flash_attn_tileILi112ELi112ELi1ELi4ELb1EEvPKcS1_S1_S1_S1_PKiPfP15HIP_vector_typeIfLj2EEffffjfiS5_IjLj3EEiiiiiiiiiiiliiliiiiil: ; @_ZL15flash_attn_tileILi112ELi112ELi1ELi4ELb1EEvPKcS1_S1_S1_S1_PKiPfP15HIP_vector_typeIfLj2EEffffjfiS5_IjLj3EEiiiiiiiiiiiliiliiiiil
; %bb.0:
	s_add_u32 s0, s0, s7
	s_addc_u32 s1, s1, 0
	s_add_u32 s8, s4, 0xd0
	s_addc_u32 s9, s5, 0
	s_getpc_b64 s[4:5]
	s_add_u32 s4, s4, _ZL14no_device_codePKciS0_iS0_@rel32@lo+4
	s_addc_u32 s5, s5, _ZL14no_device_codePKciS0_iS0_@rel32@hi+12
	s_mov_b32 s32, 0
	s_swappc_b64 s[30:31], s[4:5]
	.section	.rodata,"a",@progbits
	.p2align	6, 0x0
	.amdhsa_kernel _ZL15flash_attn_tileILi112ELi112ELi1ELi4ELb1EEvPKcS1_S1_S1_S1_PKiPfP15HIP_vector_typeIfLj2EEffffjfiS5_IjLj3EEiiiiiiiiiiiliiliiiiil
		.amdhsa_group_segment_fixed_size 0
		.amdhsa_private_segment_fixed_size 16
		.amdhsa_kernarg_size 464
		.amdhsa_user_sgpr_count 6
		.amdhsa_user_sgpr_private_segment_buffer 1
		.amdhsa_user_sgpr_dispatch_ptr 0
		.amdhsa_user_sgpr_queue_ptr 0
		.amdhsa_user_sgpr_kernarg_segment_ptr 1
		.amdhsa_user_sgpr_dispatch_id 0
		.amdhsa_user_sgpr_flat_scratch_init 0
		.amdhsa_user_sgpr_private_segment_size 0
		.amdhsa_uses_dynamic_stack 0
		.amdhsa_system_sgpr_private_segment_wavefront_offset 1
		.amdhsa_system_sgpr_workgroup_id_x 1
		.amdhsa_system_sgpr_workgroup_id_y 0
		.amdhsa_system_sgpr_workgroup_id_z 0
		.amdhsa_system_sgpr_workgroup_info 0
		.amdhsa_system_vgpr_workitem_id 0
		.amdhsa_next_free_vgpr 41
		.amdhsa_next_free_sgpr 34
		.amdhsa_reserve_vcc 1
		.amdhsa_reserve_flat_scratch 0
		.amdhsa_float_round_mode_32 0
		.amdhsa_float_round_mode_16_64 0
		.amdhsa_float_denorm_mode_32 3
		.amdhsa_float_denorm_mode_16_64 3
		.amdhsa_dx10_clamp 1
		.amdhsa_ieee_mode 1
		.amdhsa_fp16_overflow 0
		.amdhsa_exception_fp_ieee_invalid_op 0
		.amdhsa_exception_fp_denorm_src 0
		.amdhsa_exception_fp_ieee_div_zero 0
		.amdhsa_exception_fp_ieee_overflow 0
		.amdhsa_exception_fp_ieee_underflow 0
		.amdhsa_exception_fp_ieee_inexact 0
		.amdhsa_exception_int_div_zero 0
	.end_amdhsa_kernel
	.section	.text._ZL15flash_attn_tileILi112ELi112ELi1ELi4ELb1EEvPKcS1_S1_S1_S1_PKiPfP15HIP_vector_typeIfLj2EEffffjfiS5_IjLj3EEiiiiiiiiiiiliiliiiiil,"axG",@progbits,_ZL15flash_attn_tileILi112ELi112ELi1ELi4ELb1EEvPKcS1_S1_S1_S1_PKiPfP15HIP_vector_typeIfLj2EEffffjfiS5_IjLj3EEiiiiiiiiiiiliiliiiiil,comdat
.Lfunc_end82:
	.size	_ZL15flash_attn_tileILi112ELi112ELi1ELi4ELb1EEvPKcS1_S1_S1_S1_PKiPfP15HIP_vector_typeIfLj2EEffffjfiS5_IjLj3EEiiiiiiiiiiiliiliiiiil, .Lfunc_end82-_ZL15flash_attn_tileILi112ELi112ELi1ELi4ELb1EEvPKcS1_S1_S1_S1_PKiPfP15HIP_vector_typeIfLj2EEffffjfiS5_IjLj3EEiiiiiiiiiiiliiliiiiil
                                        ; -- End function
	.set _ZL15flash_attn_tileILi112ELi112ELi1ELi4ELb1EEvPKcS1_S1_S1_S1_PKiPfP15HIP_vector_typeIfLj2EEffffjfiS5_IjLj3EEiiiiiiiiiiiliiliiiiil.num_vgpr, max(0, .L_ZL14no_device_codePKciS0_iS0_.num_vgpr)
	.set _ZL15flash_attn_tileILi112ELi112ELi1ELi4ELb1EEvPKcS1_S1_S1_S1_PKiPfP15HIP_vector_typeIfLj2EEffffjfiS5_IjLj3EEiiiiiiiiiiiliiliiiiil.num_agpr, max(0, .L_ZL14no_device_codePKciS0_iS0_.num_agpr)
	.set _ZL15flash_attn_tileILi112ELi112ELi1ELi4ELb1EEvPKcS1_S1_S1_S1_PKiPfP15HIP_vector_typeIfLj2EEffffjfiS5_IjLj3EEiiiiiiiiiiiliiliiiiil.numbered_sgpr, max(33, .L_ZL14no_device_codePKciS0_iS0_.numbered_sgpr)
	.set _ZL15flash_attn_tileILi112ELi112ELi1ELi4ELb1EEvPKcS1_S1_S1_S1_PKiPfP15HIP_vector_typeIfLj2EEffffjfiS5_IjLj3EEiiiiiiiiiiiliiliiiiil.num_named_barrier, max(0, .L_ZL14no_device_codePKciS0_iS0_.num_named_barrier)
	.set _ZL15flash_attn_tileILi112ELi112ELi1ELi4ELb1EEvPKcS1_S1_S1_S1_PKiPfP15HIP_vector_typeIfLj2EEffffjfiS5_IjLj3EEiiiiiiiiiiiliiliiiiil.private_seg_size, 0+max(.L_ZL14no_device_codePKciS0_iS0_.private_seg_size)
	.set _ZL15flash_attn_tileILi112ELi112ELi1ELi4ELb1EEvPKcS1_S1_S1_S1_PKiPfP15HIP_vector_typeIfLj2EEffffjfiS5_IjLj3EEiiiiiiiiiiiliiliiiiil.uses_vcc, or(1, .L_ZL14no_device_codePKciS0_iS0_.uses_vcc)
	.set _ZL15flash_attn_tileILi112ELi112ELi1ELi4ELb1EEvPKcS1_S1_S1_S1_PKiPfP15HIP_vector_typeIfLj2EEffffjfiS5_IjLj3EEiiiiiiiiiiiliiliiiiil.uses_flat_scratch, or(0, .L_ZL14no_device_codePKciS0_iS0_.uses_flat_scratch)
	.set _ZL15flash_attn_tileILi112ELi112ELi1ELi4ELb1EEvPKcS1_S1_S1_S1_PKiPfP15HIP_vector_typeIfLj2EEffffjfiS5_IjLj3EEiiiiiiiiiiiliiliiiiil.has_dyn_sized_stack, or(0, .L_ZL14no_device_codePKciS0_iS0_.has_dyn_sized_stack)
	.set _ZL15flash_attn_tileILi112ELi112ELi1ELi4ELb1EEvPKcS1_S1_S1_S1_PKiPfP15HIP_vector_typeIfLj2EEffffjfiS5_IjLj3EEiiiiiiiiiiiliiliiiiil.has_recursion, or(0, .L_ZL14no_device_codePKciS0_iS0_.has_recursion)
	.set _ZL15flash_attn_tileILi112ELi112ELi1ELi4ELb1EEvPKcS1_S1_S1_S1_PKiPfP15HIP_vector_typeIfLj2EEffffjfiS5_IjLj3EEiiiiiiiiiiiliiliiiiil.has_indirect_call, or(0, .L_ZL14no_device_codePKciS0_iS0_.has_indirect_call)
	.section	.AMDGPU.csdata,"",@progbits
; Kernel info:
; codeLenInByte = 48
; TotalNumSgprs: 38
; NumVgprs: 41
; ScratchSize: 16
; MemoryBound: 0
; FloatMode: 240
; IeeeMode: 1
; LDSByteSize: 0 bytes/workgroup (compile time only)
; SGPRBlocks: 4
; VGPRBlocks: 10
; NumSGPRsForWavesPerEU: 38
; NumVGPRsForWavesPerEU: 41
; Occupancy: 5
; WaveLimiterHint : 1
; COMPUTE_PGM_RSRC2:SCRATCH_EN: 1
; COMPUTE_PGM_RSRC2:USER_SGPR: 6
; COMPUTE_PGM_RSRC2:TRAP_HANDLER: 0
; COMPUTE_PGM_RSRC2:TGID_X_EN: 1
; COMPUTE_PGM_RSRC2:TGID_Y_EN: 0
; COMPUTE_PGM_RSRC2:TGID_Z_EN: 0
; COMPUTE_PGM_RSRC2:TIDIG_COMP_CNT: 0
	.section	.text._ZL15flash_attn_tileILi112ELi112ELi32ELi2ELb1EEvPKcS1_S1_S1_S1_PKiPfP15HIP_vector_typeIfLj2EEffffjfiS5_IjLj3EEiiiiiiiiiiiliiliiiiil,"axG",@progbits,_ZL15flash_attn_tileILi112ELi112ELi32ELi2ELb1EEvPKcS1_S1_S1_S1_PKiPfP15HIP_vector_typeIfLj2EEffffjfiS5_IjLj3EEiiiiiiiiiiiliiliiiiil,comdat
	.globl	_ZL15flash_attn_tileILi112ELi112ELi32ELi2ELb1EEvPKcS1_S1_S1_S1_PKiPfP15HIP_vector_typeIfLj2EEffffjfiS5_IjLj3EEiiiiiiiiiiiliiliiiiil ; -- Begin function _ZL15flash_attn_tileILi112ELi112ELi32ELi2ELb1EEvPKcS1_S1_S1_S1_PKiPfP15HIP_vector_typeIfLj2EEffffjfiS5_IjLj3EEiiiiiiiiiiiliiliiiiil
	.p2align	8
	.type	_ZL15flash_attn_tileILi112ELi112ELi32ELi2ELb1EEvPKcS1_S1_S1_S1_PKiPfP15HIP_vector_typeIfLj2EEffffjfiS5_IjLj3EEiiiiiiiiiiiliiliiiiil,@function
_ZL15flash_attn_tileILi112ELi112ELi32ELi2ELb1EEvPKcS1_S1_S1_S1_PKiPfP15HIP_vector_typeIfLj2EEffffjfiS5_IjLj3EEiiiiiiiiiiiliiliiiiil: ; @_ZL15flash_attn_tileILi112ELi112ELi32ELi2ELb1EEvPKcS1_S1_S1_S1_PKiPfP15HIP_vector_typeIfLj2EEffffjfiS5_IjLj3EEiiiiiiiiiiiliiliiiiil
; %bb.0:
	s_add_u32 s0, s0, s7
	s_addc_u32 s1, s1, 0
	s_add_u32 s8, s4, 0xd0
	s_addc_u32 s9, s5, 0
	s_getpc_b64 s[4:5]
	s_add_u32 s4, s4, _ZL14no_device_codePKciS0_iS0_@rel32@lo+4
	s_addc_u32 s5, s5, _ZL14no_device_codePKciS0_iS0_@rel32@hi+12
	s_mov_b32 s32, 0
	s_swappc_b64 s[30:31], s[4:5]
	.section	.rodata,"a",@progbits
	.p2align	6, 0x0
	.amdhsa_kernel _ZL15flash_attn_tileILi112ELi112ELi32ELi2ELb1EEvPKcS1_S1_S1_S1_PKiPfP15HIP_vector_typeIfLj2EEffffjfiS5_IjLj3EEiiiiiiiiiiiliiliiiiil
		.amdhsa_group_segment_fixed_size 0
		.amdhsa_private_segment_fixed_size 16
		.amdhsa_kernarg_size 464
		.amdhsa_user_sgpr_count 6
		.amdhsa_user_sgpr_private_segment_buffer 1
		.amdhsa_user_sgpr_dispatch_ptr 0
		.amdhsa_user_sgpr_queue_ptr 0
		.amdhsa_user_sgpr_kernarg_segment_ptr 1
		.amdhsa_user_sgpr_dispatch_id 0
		.amdhsa_user_sgpr_flat_scratch_init 0
		.amdhsa_user_sgpr_private_segment_size 0
		.amdhsa_uses_dynamic_stack 0
		.amdhsa_system_sgpr_private_segment_wavefront_offset 1
		.amdhsa_system_sgpr_workgroup_id_x 1
		.amdhsa_system_sgpr_workgroup_id_y 0
		.amdhsa_system_sgpr_workgroup_id_z 0
		.amdhsa_system_sgpr_workgroup_info 0
		.amdhsa_system_vgpr_workitem_id 0
		.amdhsa_next_free_vgpr 41
		.amdhsa_next_free_sgpr 34
		.amdhsa_reserve_vcc 1
		.amdhsa_reserve_flat_scratch 0
		.amdhsa_float_round_mode_32 0
		.amdhsa_float_round_mode_16_64 0
		.amdhsa_float_denorm_mode_32 3
		.amdhsa_float_denorm_mode_16_64 3
		.amdhsa_dx10_clamp 1
		.amdhsa_ieee_mode 1
		.amdhsa_fp16_overflow 0
		.amdhsa_exception_fp_ieee_invalid_op 0
		.amdhsa_exception_fp_denorm_src 0
		.amdhsa_exception_fp_ieee_div_zero 0
		.amdhsa_exception_fp_ieee_overflow 0
		.amdhsa_exception_fp_ieee_underflow 0
		.amdhsa_exception_fp_ieee_inexact 0
		.amdhsa_exception_int_div_zero 0
	.end_amdhsa_kernel
	.section	.text._ZL15flash_attn_tileILi112ELi112ELi32ELi2ELb1EEvPKcS1_S1_S1_S1_PKiPfP15HIP_vector_typeIfLj2EEffffjfiS5_IjLj3EEiiiiiiiiiiiliiliiiiil,"axG",@progbits,_ZL15flash_attn_tileILi112ELi112ELi32ELi2ELb1EEvPKcS1_S1_S1_S1_PKiPfP15HIP_vector_typeIfLj2EEffffjfiS5_IjLj3EEiiiiiiiiiiiliiliiiiil,comdat
.Lfunc_end83:
	.size	_ZL15flash_attn_tileILi112ELi112ELi32ELi2ELb1EEvPKcS1_S1_S1_S1_PKiPfP15HIP_vector_typeIfLj2EEffffjfiS5_IjLj3EEiiiiiiiiiiiliiliiiiil, .Lfunc_end83-_ZL15flash_attn_tileILi112ELi112ELi32ELi2ELb1EEvPKcS1_S1_S1_S1_PKiPfP15HIP_vector_typeIfLj2EEffffjfiS5_IjLj3EEiiiiiiiiiiiliiliiiiil
                                        ; -- End function
	.set _ZL15flash_attn_tileILi112ELi112ELi32ELi2ELb1EEvPKcS1_S1_S1_S1_PKiPfP15HIP_vector_typeIfLj2EEffffjfiS5_IjLj3EEiiiiiiiiiiiliiliiiiil.num_vgpr, max(0, .L_ZL14no_device_codePKciS0_iS0_.num_vgpr)
	.set _ZL15flash_attn_tileILi112ELi112ELi32ELi2ELb1EEvPKcS1_S1_S1_S1_PKiPfP15HIP_vector_typeIfLj2EEffffjfiS5_IjLj3EEiiiiiiiiiiiliiliiiiil.num_agpr, max(0, .L_ZL14no_device_codePKciS0_iS0_.num_agpr)
	.set _ZL15flash_attn_tileILi112ELi112ELi32ELi2ELb1EEvPKcS1_S1_S1_S1_PKiPfP15HIP_vector_typeIfLj2EEffffjfiS5_IjLj3EEiiiiiiiiiiiliiliiiiil.numbered_sgpr, max(33, .L_ZL14no_device_codePKciS0_iS0_.numbered_sgpr)
	.set _ZL15flash_attn_tileILi112ELi112ELi32ELi2ELb1EEvPKcS1_S1_S1_S1_PKiPfP15HIP_vector_typeIfLj2EEffffjfiS5_IjLj3EEiiiiiiiiiiiliiliiiiil.num_named_barrier, max(0, .L_ZL14no_device_codePKciS0_iS0_.num_named_barrier)
	.set _ZL15flash_attn_tileILi112ELi112ELi32ELi2ELb1EEvPKcS1_S1_S1_S1_PKiPfP15HIP_vector_typeIfLj2EEffffjfiS5_IjLj3EEiiiiiiiiiiiliiliiiiil.private_seg_size, 0+max(.L_ZL14no_device_codePKciS0_iS0_.private_seg_size)
	.set _ZL15flash_attn_tileILi112ELi112ELi32ELi2ELb1EEvPKcS1_S1_S1_S1_PKiPfP15HIP_vector_typeIfLj2EEffffjfiS5_IjLj3EEiiiiiiiiiiiliiliiiiil.uses_vcc, or(1, .L_ZL14no_device_codePKciS0_iS0_.uses_vcc)
	.set _ZL15flash_attn_tileILi112ELi112ELi32ELi2ELb1EEvPKcS1_S1_S1_S1_PKiPfP15HIP_vector_typeIfLj2EEffffjfiS5_IjLj3EEiiiiiiiiiiiliiliiiiil.uses_flat_scratch, or(0, .L_ZL14no_device_codePKciS0_iS0_.uses_flat_scratch)
	.set _ZL15flash_attn_tileILi112ELi112ELi32ELi2ELb1EEvPKcS1_S1_S1_S1_PKiPfP15HIP_vector_typeIfLj2EEffffjfiS5_IjLj3EEiiiiiiiiiiiliiliiiiil.has_dyn_sized_stack, or(0, .L_ZL14no_device_codePKciS0_iS0_.has_dyn_sized_stack)
	.set _ZL15flash_attn_tileILi112ELi112ELi32ELi2ELb1EEvPKcS1_S1_S1_S1_PKiPfP15HIP_vector_typeIfLj2EEffffjfiS5_IjLj3EEiiiiiiiiiiiliiliiiiil.has_recursion, or(0, .L_ZL14no_device_codePKciS0_iS0_.has_recursion)
	.set _ZL15flash_attn_tileILi112ELi112ELi32ELi2ELb1EEvPKcS1_S1_S1_S1_PKiPfP15HIP_vector_typeIfLj2EEffffjfiS5_IjLj3EEiiiiiiiiiiiliiliiiiil.has_indirect_call, or(0, .L_ZL14no_device_codePKciS0_iS0_.has_indirect_call)
	.section	.AMDGPU.csdata,"",@progbits
; Kernel info:
; codeLenInByte = 48
; TotalNumSgprs: 38
; NumVgprs: 41
; ScratchSize: 16
; MemoryBound: 0
; FloatMode: 240
; IeeeMode: 1
; LDSByteSize: 0 bytes/workgroup (compile time only)
; SGPRBlocks: 4
; VGPRBlocks: 10
; NumSGPRsForWavesPerEU: 38
; NumVGPRsForWavesPerEU: 41
; Occupancy: 5
; WaveLimiterHint : 1
; COMPUTE_PGM_RSRC2:SCRATCH_EN: 1
; COMPUTE_PGM_RSRC2:USER_SGPR: 6
; COMPUTE_PGM_RSRC2:TRAP_HANDLER: 0
; COMPUTE_PGM_RSRC2:TGID_X_EN: 1
; COMPUTE_PGM_RSRC2:TGID_Y_EN: 0
; COMPUTE_PGM_RSRC2:TGID_Z_EN: 0
; COMPUTE_PGM_RSRC2:TIDIG_COMP_CNT: 0
	.section	.text._ZL15flash_attn_tileILi112ELi112ELi16ELi2ELb1EEvPKcS1_S1_S1_S1_PKiPfP15HIP_vector_typeIfLj2EEffffjfiS5_IjLj3EEiiiiiiiiiiiliiliiiiil,"axG",@progbits,_ZL15flash_attn_tileILi112ELi112ELi16ELi2ELb1EEvPKcS1_S1_S1_S1_PKiPfP15HIP_vector_typeIfLj2EEffffjfiS5_IjLj3EEiiiiiiiiiiiliiliiiiil,comdat
	.globl	_ZL15flash_attn_tileILi112ELi112ELi16ELi2ELb1EEvPKcS1_S1_S1_S1_PKiPfP15HIP_vector_typeIfLj2EEffffjfiS5_IjLj3EEiiiiiiiiiiiliiliiiiil ; -- Begin function _ZL15flash_attn_tileILi112ELi112ELi16ELi2ELb1EEvPKcS1_S1_S1_S1_PKiPfP15HIP_vector_typeIfLj2EEffffjfiS5_IjLj3EEiiiiiiiiiiiliiliiiiil
	.p2align	8
	.type	_ZL15flash_attn_tileILi112ELi112ELi16ELi2ELb1EEvPKcS1_S1_S1_S1_PKiPfP15HIP_vector_typeIfLj2EEffffjfiS5_IjLj3EEiiiiiiiiiiiliiliiiiil,@function
_ZL15flash_attn_tileILi112ELi112ELi16ELi2ELb1EEvPKcS1_S1_S1_S1_PKiPfP15HIP_vector_typeIfLj2EEffffjfiS5_IjLj3EEiiiiiiiiiiiliiliiiiil: ; @_ZL15flash_attn_tileILi112ELi112ELi16ELi2ELb1EEvPKcS1_S1_S1_S1_PKiPfP15HIP_vector_typeIfLj2EEffffjfiS5_IjLj3EEiiiiiiiiiiiliiliiiiil
; %bb.0:
	s_add_u32 s0, s0, s7
	s_addc_u32 s1, s1, 0
	s_add_u32 s8, s4, 0xd0
	s_addc_u32 s9, s5, 0
	s_getpc_b64 s[4:5]
	s_add_u32 s4, s4, _ZL14no_device_codePKciS0_iS0_@rel32@lo+4
	s_addc_u32 s5, s5, _ZL14no_device_codePKciS0_iS0_@rel32@hi+12
	s_mov_b32 s32, 0
	s_swappc_b64 s[30:31], s[4:5]
	.section	.rodata,"a",@progbits
	.p2align	6, 0x0
	.amdhsa_kernel _ZL15flash_attn_tileILi112ELi112ELi16ELi2ELb1EEvPKcS1_S1_S1_S1_PKiPfP15HIP_vector_typeIfLj2EEffffjfiS5_IjLj3EEiiiiiiiiiiiliiliiiiil
		.amdhsa_group_segment_fixed_size 0
		.amdhsa_private_segment_fixed_size 16
		.amdhsa_kernarg_size 464
		.amdhsa_user_sgpr_count 6
		.amdhsa_user_sgpr_private_segment_buffer 1
		.amdhsa_user_sgpr_dispatch_ptr 0
		.amdhsa_user_sgpr_queue_ptr 0
		.amdhsa_user_sgpr_kernarg_segment_ptr 1
		.amdhsa_user_sgpr_dispatch_id 0
		.amdhsa_user_sgpr_flat_scratch_init 0
		.amdhsa_user_sgpr_private_segment_size 0
		.amdhsa_uses_dynamic_stack 0
		.amdhsa_system_sgpr_private_segment_wavefront_offset 1
		.amdhsa_system_sgpr_workgroup_id_x 1
		.amdhsa_system_sgpr_workgroup_id_y 0
		.amdhsa_system_sgpr_workgroup_id_z 0
		.amdhsa_system_sgpr_workgroup_info 0
		.amdhsa_system_vgpr_workitem_id 0
		.amdhsa_next_free_vgpr 41
		.amdhsa_next_free_sgpr 34
		.amdhsa_reserve_vcc 1
		.amdhsa_reserve_flat_scratch 0
		.amdhsa_float_round_mode_32 0
		.amdhsa_float_round_mode_16_64 0
		.amdhsa_float_denorm_mode_32 3
		.amdhsa_float_denorm_mode_16_64 3
		.amdhsa_dx10_clamp 1
		.amdhsa_ieee_mode 1
		.amdhsa_fp16_overflow 0
		.amdhsa_exception_fp_ieee_invalid_op 0
		.amdhsa_exception_fp_denorm_src 0
		.amdhsa_exception_fp_ieee_div_zero 0
		.amdhsa_exception_fp_ieee_overflow 0
		.amdhsa_exception_fp_ieee_underflow 0
		.amdhsa_exception_fp_ieee_inexact 0
		.amdhsa_exception_int_div_zero 0
	.end_amdhsa_kernel
	.section	.text._ZL15flash_attn_tileILi112ELi112ELi16ELi2ELb1EEvPKcS1_S1_S1_S1_PKiPfP15HIP_vector_typeIfLj2EEffffjfiS5_IjLj3EEiiiiiiiiiiiliiliiiiil,"axG",@progbits,_ZL15flash_attn_tileILi112ELi112ELi16ELi2ELb1EEvPKcS1_S1_S1_S1_PKiPfP15HIP_vector_typeIfLj2EEffffjfiS5_IjLj3EEiiiiiiiiiiiliiliiiiil,comdat
.Lfunc_end84:
	.size	_ZL15flash_attn_tileILi112ELi112ELi16ELi2ELb1EEvPKcS1_S1_S1_S1_PKiPfP15HIP_vector_typeIfLj2EEffffjfiS5_IjLj3EEiiiiiiiiiiiliiliiiiil, .Lfunc_end84-_ZL15flash_attn_tileILi112ELi112ELi16ELi2ELb1EEvPKcS1_S1_S1_S1_PKiPfP15HIP_vector_typeIfLj2EEffffjfiS5_IjLj3EEiiiiiiiiiiiliiliiiiil
                                        ; -- End function
	.set _ZL15flash_attn_tileILi112ELi112ELi16ELi2ELb1EEvPKcS1_S1_S1_S1_PKiPfP15HIP_vector_typeIfLj2EEffffjfiS5_IjLj3EEiiiiiiiiiiiliiliiiiil.num_vgpr, max(0, .L_ZL14no_device_codePKciS0_iS0_.num_vgpr)
	.set _ZL15flash_attn_tileILi112ELi112ELi16ELi2ELb1EEvPKcS1_S1_S1_S1_PKiPfP15HIP_vector_typeIfLj2EEffffjfiS5_IjLj3EEiiiiiiiiiiiliiliiiiil.num_agpr, max(0, .L_ZL14no_device_codePKciS0_iS0_.num_agpr)
	.set _ZL15flash_attn_tileILi112ELi112ELi16ELi2ELb1EEvPKcS1_S1_S1_S1_PKiPfP15HIP_vector_typeIfLj2EEffffjfiS5_IjLj3EEiiiiiiiiiiiliiliiiiil.numbered_sgpr, max(33, .L_ZL14no_device_codePKciS0_iS0_.numbered_sgpr)
	.set _ZL15flash_attn_tileILi112ELi112ELi16ELi2ELb1EEvPKcS1_S1_S1_S1_PKiPfP15HIP_vector_typeIfLj2EEffffjfiS5_IjLj3EEiiiiiiiiiiiliiliiiiil.num_named_barrier, max(0, .L_ZL14no_device_codePKciS0_iS0_.num_named_barrier)
	.set _ZL15flash_attn_tileILi112ELi112ELi16ELi2ELb1EEvPKcS1_S1_S1_S1_PKiPfP15HIP_vector_typeIfLj2EEffffjfiS5_IjLj3EEiiiiiiiiiiiliiliiiiil.private_seg_size, 0+max(.L_ZL14no_device_codePKciS0_iS0_.private_seg_size)
	.set _ZL15flash_attn_tileILi112ELi112ELi16ELi2ELb1EEvPKcS1_S1_S1_S1_PKiPfP15HIP_vector_typeIfLj2EEffffjfiS5_IjLj3EEiiiiiiiiiiiliiliiiiil.uses_vcc, or(1, .L_ZL14no_device_codePKciS0_iS0_.uses_vcc)
	.set _ZL15flash_attn_tileILi112ELi112ELi16ELi2ELb1EEvPKcS1_S1_S1_S1_PKiPfP15HIP_vector_typeIfLj2EEffffjfiS5_IjLj3EEiiiiiiiiiiiliiliiiiil.uses_flat_scratch, or(0, .L_ZL14no_device_codePKciS0_iS0_.uses_flat_scratch)
	.set _ZL15flash_attn_tileILi112ELi112ELi16ELi2ELb1EEvPKcS1_S1_S1_S1_PKiPfP15HIP_vector_typeIfLj2EEffffjfiS5_IjLj3EEiiiiiiiiiiiliiliiiiil.has_dyn_sized_stack, or(0, .L_ZL14no_device_codePKciS0_iS0_.has_dyn_sized_stack)
	.set _ZL15flash_attn_tileILi112ELi112ELi16ELi2ELb1EEvPKcS1_S1_S1_S1_PKiPfP15HIP_vector_typeIfLj2EEffffjfiS5_IjLj3EEiiiiiiiiiiiliiliiiiil.has_recursion, or(0, .L_ZL14no_device_codePKciS0_iS0_.has_recursion)
	.set _ZL15flash_attn_tileILi112ELi112ELi16ELi2ELb1EEvPKcS1_S1_S1_S1_PKiPfP15HIP_vector_typeIfLj2EEffffjfiS5_IjLj3EEiiiiiiiiiiiliiliiiiil.has_indirect_call, or(0, .L_ZL14no_device_codePKciS0_iS0_.has_indirect_call)
	.section	.AMDGPU.csdata,"",@progbits
; Kernel info:
; codeLenInByte = 48
; TotalNumSgprs: 38
; NumVgprs: 41
; ScratchSize: 16
; MemoryBound: 0
; FloatMode: 240
; IeeeMode: 1
; LDSByteSize: 0 bytes/workgroup (compile time only)
; SGPRBlocks: 4
; VGPRBlocks: 10
; NumSGPRsForWavesPerEU: 38
; NumVGPRsForWavesPerEU: 41
; Occupancy: 5
; WaveLimiterHint : 1
; COMPUTE_PGM_RSRC2:SCRATCH_EN: 1
; COMPUTE_PGM_RSRC2:USER_SGPR: 6
; COMPUTE_PGM_RSRC2:TRAP_HANDLER: 0
; COMPUTE_PGM_RSRC2:TGID_X_EN: 1
; COMPUTE_PGM_RSRC2:TGID_Y_EN: 0
; COMPUTE_PGM_RSRC2:TGID_Z_EN: 0
; COMPUTE_PGM_RSRC2:TIDIG_COMP_CNT: 0
	.section	.text._ZL15flash_attn_tileILi112ELi112ELi8ELi2ELb1EEvPKcS1_S1_S1_S1_PKiPfP15HIP_vector_typeIfLj2EEffffjfiS5_IjLj3EEiiiiiiiiiiiliiliiiiil,"axG",@progbits,_ZL15flash_attn_tileILi112ELi112ELi8ELi2ELb1EEvPKcS1_S1_S1_S1_PKiPfP15HIP_vector_typeIfLj2EEffffjfiS5_IjLj3EEiiiiiiiiiiiliiliiiiil,comdat
	.globl	_ZL15flash_attn_tileILi112ELi112ELi8ELi2ELb1EEvPKcS1_S1_S1_S1_PKiPfP15HIP_vector_typeIfLj2EEffffjfiS5_IjLj3EEiiiiiiiiiiiliiliiiiil ; -- Begin function _ZL15flash_attn_tileILi112ELi112ELi8ELi2ELb1EEvPKcS1_S1_S1_S1_PKiPfP15HIP_vector_typeIfLj2EEffffjfiS5_IjLj3EEiiiiiiiiiiiliiliiiiil
	.p2align	8
	.type	_ZL15flash_attn_tileILi112ELi112ELi8ELi2ELb1EEvPKcS1_S1_S1_S1_PKiPfP15HIP_vector_typeIfLj2EEffffjfiS5_IjLj3EEiiiiiiiiiiiliiliiiiil,@function
_ZL15flash_attn_tileILi112ELi112ELi8ELi2ELb1EEvPKcS1_S1_S1_S1_PKiPfP15HIP_vector_typeIfLj2EEffffjfiS5_IjLj3EEiiiiiiiiiiiliiliiiiil: ; @_ZL15flash_attn_tileILi112ELi112ELi8ELi2ELb1EEvPKcS1_S1_S1_S1_PKiPfP15HIP_vector_typeIfLj2EEffffjfiS5_IjLj3EEiiiiiiiiiiiliiliiiiil
; %bb.0:
	s_add_u32 s0, s0, s7
	s_addc_u32 s1, s1, 0
	s_add_u32 s8, s4, 0xd0
	s_addc_u32 s9, s5, 0
	s_getpc_b64 s[4:5]
	s_add_u32 s4, s4, _ZL14no_device_codePKciS0_iS0_@rel32@lo+4
	s_addc_u32 s5, s5, _ZL14no_device_codePKciS0_iS0_@rel32@hi+12
	s_mov_b32 s32, 0
	s_swappc_b64 s[30:31], s[4:5]
	.section	.rodata,"a",@progbits
	.p2align	6, 0x0
	.amdhsa_kernel _ZL15flash_attn_tileILi112ELi112ELi8ELi2ELb1EEvPKcS1_S1_S1_S1_PKiPfP15HIP_vector_typeIfLj2EEffffjfiS5_IjLj3EEiiiiiiiiiiiliiliiiiil
		.amdhsa_group_segment_fixed_size 0
		.amdhsa_private_segment_fixed_size 16
		.amdhsa_kernarg_size 464
		.amdhsa_user_sgpr_count 6
		.amdhsa_user_sgpr_private_segment_buffer 1
		.amdhsa_user_sgpr_dispatch_ptr 0
		.amdhsa_user_sgpr_queue_ptr 0
		.amdhsa_user_sgpr_kernarg_segment_ptr 1
		.amdhsa_user_sgpr_dispatch_id 0
		.amdhsa_user_sgpr_flat_scratch_init 0
		.amdhsa_user_sgpr_private_segment_size 0
		.amdhsa_uses_dynamic_stack 0
		.amdhsa_system_sgpr_private_segment_wavefront_offset 1
		.amdhsa_system_sgpr_workgroup_id_x 1
		.amdhsa_system_sgpr_workgroup_id_y 0
		.amdhsa_system_sgpr_workgroup_id_z 0
		.amdhsa_system_sgpr_workgroup_info 0
		.amdhsa_system_vgpr_workitem_id 0
		.amdhsa_next_free_vgpr 41
		.amdhsa_next_free_sgpr 34
		.amdhsa_reserve_vcc 1
		.amdhsa_reserve_flat_scratch 0
		.amdhsa_float_round_mode_32 0
		.amdhsa_float_round_mode_16_64 0
		.amdhsa_float_denorm_mode_32 3
		.amdhsa_float_denorm_mode_16_64 3
		.amdhsa_dx10_clamp 1
		.amdhsa_ieee_mode 1
		.amdhsa_fp16_overflow 0
		.amdhsa_exception_fp_ieee_invalid_op 0
		.amdhsa_exception_fp_denorm_src 0
		.amdhsa_exception_fp_ieee_div_zero 0
		.amdhsa_exception_fp_ieee_overflow 0
		.amdhsa_exception_fp_ieee_underflow 0
		.amdhsa_exception_fp_ieee_inexact 0
		.amdhsa_exception_int_div_zero 0
	.end_amdhsa_kernel
	.section	.text._ZL15flash_attn_tileILi112ELi112ELi8ELi2ELb1EEvPKcS1_S1_S1_S1_PKiPfP15HIP_vector_typeIfLj2EEffffjfiS5_IjLj3EEiiiiiiiiiiiliiliiiiil,"axG",@progbits,_ZL15flash_attn_tileILi112ELi112ELi8ELi2ELb1EEvPKcS1_S1_S1_S1_PKiPfP15HIP_vector_typeIfLj2EEffffjfiS5_IjLj3EEiiiiiiiiiiiliiliiiiil,comdat
.Lfunc_end85:
	.size	_ZL15flash_attn_tileILi112ELi112ELi8ELi2ELb1EEvPKcS1_S1_S1_S1_PKiPfP15HIP_vector_typeIfLj2EEffffjfiS5_IjLj3EEiiiiiiiiiiiliiliiiiil, .Lfunc_end85-_ZL15flash_attn_tileILi112ELi112ELi8ELi2ELb1EEvPKcS1_S1_S1_S1_PKiPfP15HIP_vector_typeIfLj2EEffffjfiS5_IjLj3EEiiiiiiiiiiiliiliiiiil
                                        ; -- End function
	.set _ZL15flash_attn_tileILi112ELi112ELi8ELi2ELb1EEvPKcS1_S1_S1_S1_PKiPfP15HIP_vector_typeIfLj2EEffffjfiS5_IjLj3EEiiiiiiiiiiiliiliiiiil.num_vgpr, max(0, .L_ZL14no_device_codePKciS0_iS0_.num_vgpr)
	.set _ZL15flash_attn_tileILi112ELi112ELi8ELi2ELb1EEvPKcS1_S1_S1_S1_PKiPfP15HIP_vector_typeIfLj2EEffffjfiS5_IjLj3EEiiiiiiiiiiiliiliiiiil.num_agpr, max(0, .L_ZL14no_device_codePKciS0_iS0_.num_agpr)
	.set _ZL15flash_attn_tileILi112ELi112ELi8ELi2ELb1EEvPKcS1_S1_S1_S1_PKiPfP15HIP_vector_typeIfLj2EEffffjfiS5_IjLj3EEiiiiiiiiiiiliiliiiiil.numbered_sgpr, max(33, .L_ZL14no_device_codePKciS0_iS0_.numbered_sgpr)
	.set _ZL15flash_attn_tileILi112ELi112ELi8ELi2ELb1EEvPKcS1_S1_S1_S1_PKiPfP15HIP_vector_typeIfLj2EEffffjfiS5_IjLj3EEiiiiiiiiiiiliiliiiiil.num_named_barrier, max(0, .L_ZL14no_device_codePKciS0_iS0_.num_named_barrier)
	.set _ZL15flash_attn_tileILi112ELi112ELi8ELi2ELb1EEvPKcS1_S1_S1_S1_PKiPfP15HIP_vector_typeIfLj2EEffffjfiS5_IjLj3EEiiiiiiiiiiiliiliiiiil.private_seg_size, 0+max(.L_ZL14no_device_codePKciS0_iS0_.private_seg_size)
	.set _ZL15flash_attn_tileILi112ELi112ELi8ELi2ELb1EEvPKcS1_S1_S1_S1_PKiPfP15HIP_vector_typeIfLj2EEffffjfiS5_IjLj3EEiiiiiiiiiiiliiliiiiil.uses_vcc, or(1, .L_ZL14no_device_codePKciS0_iS0_.uses_vcc)
	.set _ZL15flash_attn_tileILi112ELi112ELi8ELi2ELb1EEvPKcS1_S1_S1_S1_PKiPfP15HIP_vector_typeIfLj2EEffffjfiS5_IjLj3EEiiiiiiiiiiiliiliiiiil.uses_flat_scratch, or(0, .L_ZL14no_device_codePKciS0_iS0_.uses_flat_scratch)
	.set _ZL15flash_attn_tileILi112ELi112ELi8ELi2ELb1EEvPKcS1_S1_S1_S1_PKiPfP15HIP_vector_typeIfLj2EEffffjfiS5_IjLj3EEiiiiiiiiiiiliiliiiiil.has_dyn_sized_stack, or(0, .L_ZL14no_device_codePKciS0_iS0_.has_dyn_sized_stack)
	.set _ZL15flash_attn_tileILi112ELi112ELi8ELi2ELb1EEvPKcS1_S1_S1_S1_PKiPfP15HIP_vector_typeIfLj2EEffffjfiS5_IjLj3EEiiiiiiiiiiiliiliiiiil.has_recursion, or(0, .L_ZL14no_device_codePKciS0_iS0_.has_recursion)
	.set _ZL15flash_attn_tileILi112ELi112ELi8ELi2ELb1EEvPKcS1_S1_S1_S1_PKiPfP15HIP_vector_typeIfLj2EEffffjfiS5_IjLj3EEiiiiiiiiiiiliiliiiiil.has_indirect_call, or(0, .L_ZL14no_device_codePKciS0_iS0_.has_indirect_call)
	.section	.AMDGPU.csdata,"",@progbits
; Kernel info:
; codeLenInByte = 48
; TotalNumSgprs: 38
; NumVgprs: 41
; ScratchSize: 16
; MemoryBound: 0
; FloatMode: 240
; IeeeMode: 1
; LDSByteSize: 0 bytes/workgroup (compile time only)
; SGPRBlocks: 4
; VGPRBlocks: 10
; NumSGPRsForWavesPerEU: 38
; NumVGPRsForWavesPerEU: 41
; Occupancy: 5
; WaveLimiterHint : 1
; COMPUTE_PGM_RSRC2:SCRATCH_EN: 1
; COMPUTE_PGM_RSRC2:USER_SGPR: 6
; COMPUTE_PGM_RSRC2:TRAP_HANDLER: 0
; COMPUTE_PGM_RSRC2:TGID_X_EN: 1
; COMPUTE_PGM_RSRC2:TGID_Y_EN: 0
; COMPUTE_PGM_RSRC2:TGID_Z_EN: 0
; COMPUTE_PGM_RSRC2:TIDIG_COMP_CNT: 0
	.section	.text._ZL15flash_attn_tileILi112ELi112ELi4ELi2ELb1EEvPKcS1_S1_S1_S1_PKiPfP15HIP_vector_typeIfLj2EEffffjfiS5_IjLj3EEiiiiiiiiiiiliiliiiiil,"axG",@progbits,_ZL15flash_attn_tileILi112ELi112ELi4ELi2ELb1EEvPKcS1_S1_S1_S1_PKiPfP15HIP_vector_typeIfLj2EEffffjfiS5_IjLj3EEiiiiiiiiiiiliiliiiiil,comdat
	.globl	_ZL15flash_attn_tileILi112ELi112ELi4ELi2ELb1EEvPKcS1_S1_S1_S1_PKiPfP15HIP_vector_typeIfLj2EEffffjfiS5_IjLj3EEiiiiiiiiiiiliiliiiiil ; -- Begin function _ZL15flash_attn_tileILi112ELi112ELi4ELi2ELb1EEvPKcS1_S1_S1_S1_PKiPfP15HIP_vector_typeIfLj2EEffffjfiS5_IjLj3EEiiiiiiiiiiiliiliiiiil
	.p2align	8
	.type	_ZL15flash_attn_tileILi112ELi112ELi4ELi2ELb1EEvPKcS1_S1_S1_S1_PKiPfP15HIP_vector_typeIfLj2EEffffjfiS5_IjLj3EEiiiiiiiiiiiliiliiiiil,@function
_ZL15flash_attn_tileILi112ELi112ELi4ELi2ELb1EEvPKcS1_S1_S1_S1_PKiPfP15HIP_vector_typeIfLj2EEffffjfiS5_IjLj3EEiiiiiiiiiiiliiliiiiil: ; @_ZL15flash_attn_tileILi112ELi112ELi4ELi2ELb1EEvPKcS1_S1_S1_S1_PKiPfP15HIP_vector_typeIfLj2EEffffjfiS5_IjLj3EEiiiiiiiiiiiliiliiiiil
; %bb.0:
	s_add_u32 s0, s0, s7
	s_addc_u32 s1, s1, 0
	s_add_u32 s8, s4, 0xd0
	s_addc_u32 s9, s5, 0
	s_getpc_b64 s[4:5]
	s_add_u32 s4, s4, _ZL14no_device_codePKciS0_iS0_@rel32@lo+4
	s_addc_u32 s5, s5, _ZL14no_device_codePKciS0_iS0_@rel32@hi+12
	s_mov_b32 s32, 0
	s_swappc_b64 s[30:31], s[4:5]
	.section	.rodata,"a",@progbits
	.p2align	6, 0x0
	.amdhsa_kernel _ZL15flash_attn_tileILi112ELi112ELi4ELi2ELb1EEvPKcS1_S1_S1_S1_PKiPfP15HIP_vector_typeIfLj2EEffffjfiS5_IjLj3EEiiiiiiiiiiiliiliiiiil
		.amdhsa_group_segment_fixed_size 0
		.amdhsa_private_segment_fixed_size 16
		.amdhsa_kernarg_size 464
		.amdhsa_user_sgpr_count 6
		.amdhsa_user_sgpr_private_segment_buffer 1
		.amdhsa_user_sgpr_dispatch_ptr 0
		.amdhsa_user_sgpr_queue_ptr 0
		.amdhsa_user_sgpr_kernarg_segment_ptr 1
		.amdhsa_user_sgpr_dispatch_id 0
		.amdhsa_user_sgpr_flat_scratch_init 0
		.amdhsa_user_sgpr_private_segment_size 0
		.amdhsa_uses_dynamic_stack 0
		.amdhsa_system_sgpr_private_segment_wavefront_offset 1
		.amdhsa_system_sgpr_workgroup_id_x 1
		.amdhsa_system_sgpr_workgroup_id_y 0
		.amdhsa_system_sgpr_workgroup_id_z 0
		.amdhsa_system_sgpr_workgroup_info 0
		.amdhsa_system_vgpr_workitem_id 0
		.amdhsa_next_free_vgpr 41
		.amdhsa_next_free_sgpr 34
		.amdhsa_reserve_vcc 1
		.amdhsa_reserve_flat_scratch 0
		.amdhsa_float_round_mode_32 0
		.amdhsa_float_round_mode_16_64 0
		.amdhsa_float_denorm_mode_32 3
		.amdhsa_float_denorm_mode_16_64 3
		.amdhsa_dx10_clamp 1
		.amdhsa_ieee_mode 1
		.amdhsa_fp16_overflow 0
		.amdhsa_exception_fp_ieee_invalid_op 0
		.amdhsa_exception_fp_denorm_src 0
		.amdhsa_exception_fp_ieee_div_zero 0
		.amdhsa_exception_fp_ieee_overflow 0
		.amdhsa_exception_fp_ieee_underflow 0
		.amdhsa_exception_fp_ieee_inexact 0
		.amdhsa_exception_int_div_zero 0
	.end_amdhsa_kernel
	.section	.text._ZL15flash_attn_tileILi112ELi112ELi4ELi2ELb1EEvPKcS1_S1_S1_S1_PKiPfP15HIP_vector_typeIfLj2EEffffjfiS5_IjLj3EEiiiiiiiiiiiliiliiiiil,"axG",@progbits,_ZL15flash_attn_tileILi112ELi112ELi4ELi2ELb1EEvPKcS1_S1_S1_S1_PKiPfP15HIP_vector_typeIfLj2EEffffjfiS5_IjLj3EEiiiiiiiiiiiliiliiiiil,comdat
.Lfunc_end86:
	.size	_ZL15flash_attn_tileILi112ELi112ELi4ELi2ELb1EEvPKcS1_S1_S1_S1_PKiPfP15HIP_vector_typeIfLj2EEffffjfiS5_IjLj3EEiiiiiiiiiiiliiliiiiil, .Lfunc_end86-_ZL15flash_attn_tileILi112ELi112ELi4ELi2ELb1EEvPKcS1_S1_S1_S1_PKiPfP15HIP_vector_typeIfLj2EEffffjfiS5_IjLj3EEiiiiiiiiiiiliiliiiiil
                                        ; -- End function
	.set _ZL15flash_attn_tileILi112ELi112ELi4ELi2ELb1EEvPKcS1_S1_S1_S1_PKiPfP15HIP_vector_typeIfLj2EEffffjfiS5_IjLj3EEiiiiiiiiiiiliiliiiiil.num_vgpr, max(0, .L_ZL14no_device_codePKciS0_iS0_.num_vgpr)
	.set _ZL15flash_attn_tileILi112ELi112ELi4ELi2ELb1EEvPKcS1_S1_S1_S1_PKiPfP15HIP_vector_typeIfLj2EEffffjfiS5_IjLj3EEiiiiiiiiiiiliiliiiiil.num_agpr, max(0, .L_ZL14no_device_codePKciS0_iS0_.num_agpr)
	.set _ZL15flash_attn_tileILi112ELi112ELi4ELi2ELb1EEvPKcS1_S1_S1_S1_PKiPfP15HIP_vector_typeIfLj2EEffffjfiS5_IjLj3EEiiiiiiiiiiiliiliiiiil.numbered_sgpr, max(33, .L_ZL14no_device_codePKciS0_iS0_.numbered_sgpr)
	.set _ZL15flash_attn_tileILi112ELi112ELi4ELi2ELb1EEvPKcS1_S1_S1_S1_PKiPfP15HIP_vector_typeIfLj2EEffffjfiS5_IjLj3EEiiiiiiiiiiiliiliiiiil.num_named_barrier, max(0, .L_ZL14no_device_codePKciS0_iS0_.num_named_barrier)
	.set _ZL15flash_attn_tileILi112ELi112ELi4ELi2ELb1EEvPKcS1_S1_S1_S1_PKiPfP15HIP_vector_typeIfLj2EEffffjfiS5_IjLj3EEiiiiiiiiiiiliiliiiiil.private_seg_size, 0+max(.L_ZL14no_device_codePKciS0_iS0_.private_seg_size)
	.set _ZL15flash_attn_tileILi112ELi112ELi4ELi2ELb1EEvPKcS1_S1_S1_S1_PKiPfP15HIP_vector_typeIfLj2EEffffjfiS5_IjLj3EEiiiiiiiiiiiliiliiiiil.uses_vcc, or(1, .L_ZL14no_device_codePKciS0_iS0_.uses_vcc)
	.set _ZL15flash_attn_tileILi112ELi112ELi4ELi2ELb1EEvPKcS1_S1_S1_S1_PKiPfP15HIP_vector_typeIfLj2EEffffjfiS5_IjLj3EEiiiiiiiiiiiliiliiiiil.uses_flat_scratch, or(0, .L_ZL14no_device_codePKciS0_iS0_.uses_flat_scratch)
	.set _ZL15flash_attn_tileILi112ELi112ELi4ELi2ELb1EEvPKcS1_S1_S1_S1_PKiPfP15HIP_vector_typeIfLj2EEffffjfiS5_IjLj3EEiiiiiiiiiiiliiliiiiil.has_dyn_sized_stack, or(0, .L_ZL14no_device_codePKciS0_iS0_.has_dyn_sized_stack)
	.set _ZL15flash_attn_tileILi112ELi112ELi4ELi2ELb1EEvPKcS1_S1_S1_S1_PKiPfP15HIP_vector_typeIfLj2EEffffjfiS5_IjLj3EEiiiiiiiiiiiliiliiiiil.has_recursion, or(0, .L_ZL14no_device_codePKciS0_iS0_.has_recursion)
	.set _ZL15flash_attn_tileILi112ELi112ELi4ELi2ELb1EEvPKcS1_S1_S1_S1_PKiPfP15HIP_vector_typeIfLj2EEffffjfiS5_IjLj3EEiiiiiiiiiiiliiliiiiil.has_indirect_call, or(0, .L_ZL14no_device_codePKciS0_iS0_.has_indirect_call)
	.section	.AMDGPU.csdata,"",@progbits
; Kernel info:
; codeLenInByte = 48
; TotalNumSgprs: 38
; NumVgprs: 41
; ScratchSize: 16
; MemoryBound: 0
; FloatMode: 240
; IeeeMode: 1
; LDSByteSize: 0 bytes/workgroup (compile time only)
; SGPRBlocks: 4
; VGPRBlocks: 10
; NumSGPRsForWavesPerEU: 38
; NumVGPRsForWavesPerEU: 41
; Occupancy: 5
; WaveLimiterHint : 1
; COMPUTE_PGM_RSRC2:SCRATCH_EN: 1
; COMPUTE_PGM_RSRC2:USER_SGPR: 6
; COMPUTE_PGM_RSRC2:TRAP_HANDLER: 0
; COMPUTE_PGM_RSRC2:TGID_X_EN: 1
; COMPUTE_PGM_RSRC2:TGID_Y_EN: 0
; COMPUTE_PGM_RSRC2:TGID_Z_EN: 0
; COMPUTE_PGM_RSRC2:TIDIG_COMP_CNT: 0
	.section	.text._ZL15flash_attn_tileILi112ELi112ELi2ELi2ELb1EEvPKcS1_S1_S1_S1_PKiPfP15HIP_vector_typeIfLj2EEffffjfiS5_IjLj3EEiiiiiiiiiiiliiliiiiil,"axG",@progbits,_ZL15flash_attn_tileILi112ELi112ELi2ELi2ELb1EEvPKcS1_S1_S1_S1_PKiPfP15HIP_vector_typeIfLj2EEffffjfiS5_IjLj3EEiiiiiiiiiiiliiliiiiil,comdat
	.globl	_ZL15flash_attn_tileILi112ELi112ELi2ELi2ELb1EEvPKcS1_S1_S1_S1_PKiPfP15HIP_vector_typeIfLj2EEffffjfiS5_IjLj3EEiiiiiiiiiiiliiliiiiil ; -- Begin function _ZL15flash_attn_tileILi112ELi112ELi2ELi2ELb1EEvPKcS1_S1_S1_S1_PKiPfP15HIP_vector_typeIfLj2EEffffjfiS5_IjLj3EEiiiiiiiiiiiliiliiiiil
	.p2align	8
	.type	_ZL15flash_attn_tileILi112ELi112ELi2ELi2ELb1EEvPKcS1_S1_S1_S1_PKiPfP15HIP_vector_typeIfLj2EEffffjfiS5_IjLj3EEiiiiiiiiiiiliiliiiiil,@function
_ZL15flash_attn_tileILi112ELi112ELi2ELi2ELb1EEvPKcS1_S1_S1_S1_PKiPfP15HIP_vector_typeIfLj2EEffffjfiS5_IjLj3EEiiiiiiiiiiiliiliiiiil: ; @_ZL15flash_attn_tileILi112ELi112ELi2ELi2ELb1EEvPKcS1_S1_S1_S1_PKiPfP15HIP_vector_typeIfLj2EEffffjfiS5_IjLj3EEiiiiiiiiiiiliiliiiiil
; %bb.0:
	s_add_u32 s0, s0, s7
	s_addc_u32 s1, s1, 0
	s_add_u32 s8, s4, 0xd0
	s_addc_u32 s9, s5, 0
	s_getpc_b64 s[4:5]
	s_add_u32 s4, s4, _ZL14no_device_codePKciS0_iS0_@rel32@lo+4
	s_addc_u32 s5, s5, _ZL14no_device_codePKciS0_iS0_@rel32@hi+12
	s_mov_b32 s32, 0
	s_swappc_b64 s[30:31], s[4:5]
	.section	.rodata,"a",@progbits
	.p2align	6, 0x0
	.amdhsa_kernel _ZL15flash_attn_tileILi112ELi112ELi2ELi2ELb1EEvPKcS1_S1_S1_S1_PKiPfP15HIP_vector_typeIfLj2EEffffjfiS5_IjLj3EEiiiiiiiiiiiliiliiiiil
		.amdhsa_group_segment_fixed_size 0
		.amdhsa_private_segment_fixed_size 16
		.amdhsa_kernarg_size 464
		.amdhsa_user_sgpr_count 6
		.amdhsa_user_sgpr_private_segment_buffer 1
		.amdhsa_user_sgpr_dispatch_ptr 0
		.amdhsa_user_sgpr_queue_ptr 0
		.amdhsa_user_sgpr_kernarg_segment_ptr 1
		.amdhsa_user_sgpr_dispatch_id 0
		.amdhsa_user_sgpr_flat_scratch_init 0
		.amdhsa_user_sgpr_private_segment_size 0
		.amdhsa_uses_dynamic_stack 0
		.amdhsa_system_sgpr_private_segment_wavefront_offset 1
		.amdhsa_system_sgpr_workgroup_id_x 1
		.amdhsa_system_sgpr_workgroup_id_y 0
		.amdhsa_system_sgpr_workgroup_id_z 0
		.amdhsa_system_sgpr_workgroup_info 0
		.amdhsa_system_vgpr_workitem_id 0
		.amdhsa_next_free_vgpr 41
		.amdhsa_next_free_sgpr 34
		.amdhsa_reserve_vcc 1
		.amdhsa_reserve_flat_scratch 0
		.amdhsa_float_round_mode_32 0
		.amdhsa_float_round_mode_16_64 0
		.amdhsa_float_denorm_mode_32 3
		.amdhsa_float_denorm_mode_16_64 3
		.amdhsa_dx10_clamp 1
		.amdhsa_ieee_mode 1
		.amdhsa_fp16_overflow 0
		.amdhsa_exception_fp_ieee_invalid_op 0
		.amdhsa_exception_fp_denorm_src 0
		.amdhsa_exception_fp_ieee_div_zero 0
		.amdhsa_exception_fp_ieee_overflow 0
		.amdhsa_exception_fp_ieee_underflow 0
		.amdhsa_exception_fp_ieee_inexact 0
		.amdhsa_exception_int_div_zero 0
	.end_amdhsa_kernel
	.section	.text._ZL15flash_attn_tileILi112ELi112ELi2ELi2ELb1EEvPKcS1_S1_S1_S1_PKiPfP15HIP_vector_typeIfLj2EEffffjfiS5_IjLj3EEiiiiiiiiiiiliiliiiiil,"axG",@progbits,_ZL15flash_attn_tileILi112ELi112ELi2ELi2ELb1EEvPKcS1_S1_S1_S1_PKiPfP15HIP_vector_typeIfLj2EEffffjfiS5_IjLj3EEiiiiiiiiiiiliiliiiiil,comdat
.Lfunc_end87:
	.size	_ZL15flash_attn_tileILi112ELi112ELi2ELi2ELb1EEvPKcS1_S1_S1_S1_PKiPfP15HIP_vector_typeIfLj2EEffffjfiS5_IjLj3EEiiiiiiiiiiiliiliiiiil, .Lfunc_end87-_ZL15flash_attn_tileILi112ELi112ELi2ELi2ELb1EEvPKcS1_S1_S1_S1_PKiPfP15HIP_vector_typeIfLj2EEffffjfiS5_IjLj3EEiiiiiiiiiiiliiliiiiil
                                        ; -- End function
	.set _ZL15flash_attn_tileILi112ELi112ELi2ELi2ELb1EEvPKcS1_S1_S1_S1_PKiPfP15HIP_vector_typeIfLj2EEffffjfiS5_IjLj3EEiiiiiiiiiiiliiliiiiil.num_vgpr, max(0, .L_ZL14no_device_codePKciS0_iS0_.num_vgpr)
	.set _ZL15flash_attn_tileILi112ELi112ELi2ELi2ELb1EEvPKcS1_S1_S1_S1_PKiPfP15HIP_vector_typeIfLj2EEffffjfiS5_IjLj3EEiiiiiiiiiiiliiliiiiil.num_agpr, max(0, .L_ZL14no_device_codePKciS0_iS0_.num_agpr)
	.set _ZL15flash_attn_tileILi112ELi112ELi2ELi2ELb1EEvPKcS1_S1_S1_S1_PKiPfP15HIP_vector_typeIfLj2EEffffjfiS5_IjLj3EEiiiiiiiiiiiliiliiiiil.numbered_sgpr, max(33, .L_ZL14no_device_codePKciS0_iS0_.numbered_sgpr)
	.set _ZL15flash_attn_tileILi112ELi112ELi2ELi2ELb1EEvPKcS1_S1_S1_S1_PKiPfP15HIP_vector_typeIfLj2EEffffjfiS5_IjLj3EEiiiiiiiiiiiliiliiiiil.num_named_barrier, max(0, .L_ZL14no_device_codePKciS0_iS0_.num_named_barrier)
	.set _ZL15flash_attn_tileILi112ELi112ELi2ELi2ELb1EEvPKcS1_S1_S1_S1_PKiPfP15HIP_vector_typeIfLj2EEffffjfiS5_IjLj3EEiiiiiiiiiiiliiliiiiil.private_seg_size, 0+max(.L_ZL14no_device_codePKciS0_iS0_.private_seg_size)
	.set _ZL15flash_attn_tileILi112ELi112ELi2ELi2ELb1EEvPKcS1_S1_S1_S1_PKiPfP15HIP_vector_typeIfLj2EEffffjfiS5_IjLj3EEiiiiiiiiiiiliiliiiiil.uses_vcc, or(1, .L_ZL14no_device_codePKciS0_iS0_.uses_vcc)
	.set _ZL15flash_attn_tileILi112ELi112ELi2ELi2ELb1EEvPKcS1_S1_S1_S1_PKiPfP15HIP_vector_typeIfLj2EEffffjfiS5_IjLj3EEiiiiiiiiiiiliiliiiiil.uses_flat_scratch, or(0, .L_ZL14no_device_codePKciS0_iS0_.uses_flat_scratch)
	.set _ZL15flash_attn_tileILi112ELi112ELi2ELi2ELb1EEvPKcS1_S1_S1_S1_PKiPfP15HIP_vector_typeIfLj2EEffffjfiS5_IjLj3EEiiiiiiiiiiiliiliiiiil.has_dyn_sized_stack, or(0, .L_ZL14no_device_codePKciS0_iS0_.has_dyn_sized_stack)
	.set _ZL15flash_attn_tileILi112ELi112ELi2ELi2ELb1EEvPKcS1_S1_S1_S1_PKiPfP15HIP_vector_typeIfLj2EEffffjfiS5_IjLj3EEiiiiiiiiiiiliiliiiiil.has_recursion, or(0, .L_ZL14no_device_codePKciS0_iS0_.has_recursion)
	.set _ZL15flash_attn_tileILi112ELi112ELi2ELi2ELb1EEvPKcS1_S1_S1_S1_PKiPfP15HIP_vector_typeIfLj2EEffffjfiS5_IjLj3EEiiiiiiiiiiiliiliiiiil.has_indirect_call, or(0, .L_ZL14no_device_codePKciS0_iS0_.has_indirect_call)
	.section	.AMDGPU.csdata,"",@progbits
; Kernel info:
; codeLenInByte = 48
; TotalNumSgprs: 38
; NumVgprs: 41
; ScratchSize: 16
; MemoryBound: 0
; FloatMode: 240
; IeeeMode: 1
; LDSByteSize: 0 bytes/workgroup (compile time only)
; SGPRBlocks: 4
; VGPRBlocks: 10
; NumSGPRsForWavesPerEU: 38
; NumVGPRsForWavesPerEU: 41
; Occupancy: 5
; WaveLimiterHint : 1
; COMPUTE_PGM_RSRC2:SCRATCH_EN: 1
; COMPUTE_PGM_RSRC2:USER_SGPR: 6
; COMPUTE_PGM_RSRC2:TRAP_HANDLER: 0
; COMPUTE_PGM_RSRC2:TGID_X_EN: 1
; COMPUTE_PGM_RSRC2:TGID_Y_EN: 0
; COMPUTE_PGM_RSRC2:TGID_Z_EN: 0
; COMPUTE_PGM_RSRC2:TIDIG_COMP_CNT: 0
	.section	.text._ZL15flash_attn_tileILi112ELi112ELi1ELi2ELb1EEvPKcS1_S1_S1_S1_PKiPfP15HIP_vector_typeIfLj2EEffffjfiS5_IjLj3EEiiiiiiiiiiiliiliiiiil,"axG",@progbits,_ZL15flash_attn_tileILi112ELi112ELi1ELi2ELb1EEvPKcS1_S1_S1_S1_PKiPfP15HIP_vector_typeIfLj2EEffffjfiS5_IjLj3EEiiiiiiiiiiiliiliiiiil,comdat
	.globl	_ZL15flash_attn_tileILi112ELi112ELi1ELi2ELb1EEvPKcS1_S1_S1_S1_PKiPfP15HIP_vector_typeIfLj2EEffffjfiS5_IjLj3EEiiiiiiiiiiiliiliiiiil ; -- Begin function _ZL15flash_attn_tileILi112ELi112ELi1ELi2ELb1EEvPKcS1_S1_S1_S1_PKiPfP15HIP_vector_typeIfLj2EEffffjfiS5_IjLj3EEiiiiiiiiiiiliiliiiiil
	.p2align	8
	.type	_ZL15flash_attn_tileILi112ELi112ELi1ELi2ELb1EEvPKcS1_S1_S1_S1_PKiPfP15HIP_vector_typeIfLj2EEffffjfiS5_IjLj3EEiiiiiiiiiiiliiliiiiil,@function
_ZL15flash_attn_tileILi112ELi112ELi1ELi2ELb1EEvPKcS1_S1_S1_S1_PKiPfP15HIP_vector_typeIfLj2EEffffjfiS5_IjLj3EEiiiiiiiiiiiliiliiiiil: ; @_ZL15flash_attn_tileILi112ELi112ELi1ELi2ELb1EEvPKcS1_S1_S1_S1_PKiPfP15HIP_vector_typeIfLj2EEffffjfiS5_IjLj3EEiiiiiiiiiiiliiliiiiil
; %bb.0:
	s_add_u32 s0, s0, s7
	s_addc_u32 s1, s1, 0
	s_add_u32 s8, s4, 0xd0
	s_addc_u32 s9, s5, 0
	s_getpc_b64 s[4:5]
	s_add_u32 s4, s4, _ZL14no_device_codePKciS0_iS0_@rel32@lo+4
	s_addc_u32 s5, s5, _ZL14no_device_codePKciS0_iS0_@rel32@hi+12
	s_mov_b32 s32, 0
	s_swappc_b64 s[30:31], s[4:5]
	.section	.rodata,"a",@progbits
	.p2align	6, 0x0
	.amdhsa_kernel _ZL15flash_attn_tileILi112ELi112ELi1ELi2ELb1EEvPKcS1_S1_S1_S1_PKiPfP15HIP_vector_typeIfLj2EEffffjfiS5_IjLj3EEiiiiiiiiiiiliiliiiiil
		.amdhsa_group_segment_fixed_size 0
		.amdhsa_private_segment_fixed_size 16
		.amdhsa_kernarg_size 464
		.amdhsa_user_sgpr_count 6
		.amdhsa_user_sgpr_private_segment_buffer 1
		.amdhsa_user_sgpr_dispatch_ptr 0
		.amdhsa_user_sgpr_queue_ptr 0
		.amdhsa_user_sgpr_kernarg_segment_ptr 1
		.amdhsa_user_sgpr_dispatch_id 0
		.amdhsa_user_sgpr_flat_scratch_init 0
		.amdhsa_user_sgpr_private_segment_size 0
		.amdhsa_uses_dynamic_stack 0
		.amdhsa_system_sgpr_private_segment_wavefront_offset 1
		.amdhsa_system_sgpr_workgroup_id_x 1
		.amdhsa_system_sgpr_workgroup_id_y 0
		.amdhsa_system_sgpr_workgroup_id_z 0
		.amdhsa_system_sgpr_workgroup_info 0
		.amdhsa_system_vgpr_workitem_id 0
		.amdhsa_next_free_vgpr 41
		.amdhsa_next_free_sgpr 34
		.amdhsa_reserve_vcc 1
		.amdhsa_reserve_flat_scratch 0
		.amdhsa_float_round_mode_32 0
		.amdhsa_float_round_mode_16_64 0
		.amdhsa_float_denorm_mode_32 3
		.amdhsa_float_denorm_mode_16_64 3
		.amdhsa_dx10_clamp 1
		.amdhsa_ieee_mode 1
		.amdhsa_fp16_overflow 0
		.amdhsa_exception_fp_ieee_invalid_op 0
		.amdhsa_exception_fp_denorm_src 0
		.amdhsa_exception_fp_ieee_div_zero 0
		.amdhsa_exception_fp_ieee_overflow 0
		.amdhsa_exception_fp_ieee_underflow 0
		.amdhsa_exception_fp_ieee_inexact 0
		.amdhsa_exception_int_div_zero 0
	.end_amdhsa_kernel
	.section	.text._ZL15flash_attn_tileILi112ELi112ELi1ELi2ELb1EEvPKcS1_S1_S1_S1_PKiPfP15HIP_vector_typeIfLj2EEffffjfiS5_IjLj3EEiiiiiiiiiiiliiliiiiil,"axG",@progbits,_ZL15flash_attn_tileILi112ELi112ELi1ELi2ELb1EEvPKcS1_S1_S1_S1_PKiPfP15HIP_vector_typeIfLj2EEffffjfiS5_IjLj3EEiiiiiiiiiiiliiliiiiil,comdat
.Lfunc_end88:
	.size	_ZL15flash_attn_tileILi112ELi112ELi1ELi2ELb1EEvPKcS1_S1_S1_S1_PKiPfP15HIP_vector_typeIfLj2EEffffjfiS5_IjLj3EEiiiiiiiiiiiliiliiiiil, .Lfunc_end88-_ZL15flash_attn_tileILi112ELi112ELi1ELi2ELb1EEvPKcS1_S1_S1_S1_PKiPfP15HIP_vector_typeIfLj2EEffffjfiS5_IjLj3EEiiiiiiiiiiiliiliiiiil
                                        ; -- End function
	.set _ZL15flash_attn_tileILi112ELi112ELi1ELi2ELb1EEvPKcS1_S1_S1_S1_PKiPfP15HIP_vector_typeIfLj2EEffffjfiS5_IjLj3EEiiiiiiiiiiiliiliiiiil.num_vgpr, max(0, .L_ZL14no_device_codePKciS0_iS0_.num_vgpr)
	.set _ZL15flash_attn_tileILi112ELi112ELi1ELi2ELb1EEvPKcS1_S1_S1_S1_PKiPfP15HIP_vector_typeIfLj2EEffffjfiS5_IjLj3EEiiiiiiiiiiiliiliiiiil.num_agpr, max(0, .L_ZL14no_device_codePKciS0_iS0_.num_agpr)
	.set _ZL15flash_attn_tileILi112ELi112ELi1ELi2ELb1EEvPKcS1_S1_S1_S1_PKiPfP15HIP_vector_typeIfLj2EEffffjfiS5_IjLj3EEiiiiiiiiiiiliiliiiiil.numbered_sgpr, max(33, .L_ZL14no_device_codePKciS0_iS0_.numbered_sgpr)
	.set _ZL15flash_attn_tileILi112ELi112ELi1ELi2ELb1EEvPKcS1_S1_S1_S1_PKiPfP15HIP_vector_typeIfLj2EEffffjfiS5_IjLj3EEiiiiiiiiiiiliiliiiiil.num_named_barrier, max(0, .L_ZL14no_device_codePKciS0_iS0_.num_named_barrier)
	.set _ZL15flash_attn_tileILi112ELi112ELi1ELi2ELb1EEvPKcS1_S1_S1_S1_PKiPfP15HIP_vector_typeIfLj2EEffffjfiS5_IjLj3EEiiiiiiiiiiiliiliiiiil.private_seg_size, 0+max(.L_ZL14no_device_codePKciS0_iS0_.private_seg_size)
	.set _ZL15flash_attn_tileILi112ELi112ELi1ELi2ELb1EEvPKcS1_S1_S1_S1_PKiPfP15HIP_vector_typeIfLj2EEffffjfiS5_IjLj3EEiiiiiiiiiiiliiliiiiil.uses_vcc, or(1, .L_ZL14no_device_codePKciS0_iS0_.uses_vcc)
	.set _ZL15flash_attn_tileILi112ELi112ELi1ELi2ELb1EEvPKcS1_S1_S1_S1_PKiPfP15HIP_vector_typeIfLj2EEffffjfiS5_IjLj3EEiiiiiiiiiiiliiliiiiil.uses_flat_scratch, or(0, .L_ZL14no_device_codePKciS0_iS0_.uses_flat_scratch)
	.set _ZL15flash_attn_tileILi112ELi112ELi1ELi2ELb1EEvPKcS1_S1_S1_S1_PKiPfP15HIP_vector_typeIfLj2EEffffjfiS5_IjLj3EEiiiiiiiiiiiliiliiiiil.has_dyn_sized_stack, or(0, .L_ZL14no_device_codePKciS0_iS0_.has_dyn_sized_stack)
	.set _ZL15flash_attn_tileILi112ELi112ELi1ELi2ELb1EEvPKcS1_S1_S1_S1_PKiPfP15HIP_vector_typeIfLj2EEffffjfiS5_IjLj3EEiiiiiiiiiiiliiliiiiil.has_recursion, or(0, .L_ZL14no_device_codePKciS0_iS0_.has_recursion)
	.set _ZL15flash_attn_tileILi112ELi112ELi1ELi2ELb1EEvPKcS1_S1_S1_S1_PKiPfP15HIP_vector_typeIfLj2EEffffjfiS5_IjLj3EEiiiiiiiiiiiliiliiiiil.has_indirect_call, or(0, .L_ZL14no_device_codePKciS0_iS0_.has_indirect_call)
	.section	.AMDGPU.csdata,"",@progbits
; Kernel info:
; codeLenInByte = 48
; TotalNumSgprs: 38
; NumVgprs: 41
; ScratchSize: 16
; MemoryBound: 0
; FloatMode: 240
; IeeeMode: 1
; LDSByteSize: 0 bytes/workgroup (compile time only)
; SGPRBlocks: 4
; VGPRBlocks: 10
; NumSGPRsForWavesPerEU: 38
; NumVGPRsForWavesPerEU: 41
; Occupancy: 5
; WaveLimiterHint : 1
; COMPUTE_PGM_RSRC2:SCRATCH_EN: 1
; COMPUTE_PGM_RSRC2:USER_SGPR: 6
; COMPUTE_PGM_RSRC2:TRAP_HANDLER: 0
; COMPUTE_PGM_RSRC2:TGID_X_EN: 1
; COMPUTE_PGM_RSRC2:TGID_Y_EN: 0
; COMPUTE_PGM_RSRC2:TGID_Z_EN: 0
; COMPUTE_PGM_RSRC2:TIDIG_COMP_CNT: 0
	.section	.text._ZL15flash_attn_tileILi112ELi112ELi64ELi1ELb1EEvPKcS1_S1_S1_S1_PKiPfP15HIP_vector_typeIfLj2EEffffjfiS5_IjLj3EEiiiiiiiiiiiliiliiiiil,"axG",@progbits,_ZL15flash_attn_tileILi112ELi112ELi64ELi1ELb1EEvPKcS1_S1_S1_S1_PKiPfP15HIP_vector_typeIfLj2EEffffjfiS5_IjLj3EEiiiiiiiiiiiliiliiiiil,comdat
	.globl	_ZL15flash_attn_tileILi112ELi112ELi64ELi1ELb1EEvPKcS1_S1_S1_S1_PKiPfP15HIP_vector_typeIfLj2EEffffjfiS5_IjLj3EEiiiiiiiiiiiliiliiiiil ; -- Begin function _ZL15flash_attn_tileILi112ELi112ELi64ELi1ELb1EEvPKcS1_S1_S1_S1_PKiPfP15HIP_vector_typeIfLj2EEffffjfiS5_IjLj3EEiiiiiiiiiiiliiliiiiil
	.p2align	8
	.type	_ZL15flash_attn_tileILi112ELi112ELi64ELi1ELb1EEvPKcS1_S1_S1_S1_PKiPfP15HIP_vector_typeIfLj2EEffffjfiS5_IjLj3EEiiiiiiiiiiiliiliiiiil,@function
_ZL15flash_attn_tileILi112ELi112ELi64ELi1ELb1EEvPKcS1_S1_S1_S1_PKiPfP15HIP_vector_typeIfLj2EEffffjfiS5_IjLj3EEiiiiiiiiiiiliiliiiiil: ; @_ZL15flash_attn_tileILi112ELi112ELi64ELi1ELb1EEvPKcS1_S1_S1_S1_PKiPfP15HIP_vector_typeIfLj2EEffffjfiS5_IjLj3EEiiiiiiiiiiiliiliiiiil
; %bb.0:
	s_add_u32 s0, s0, s7
	s_addc_u32 s1, s1, 0
	s_add_u32 s8, s4, 0xd0
	s_addc_u32 s9, s5, 0
	s_getpc_b64 s[4:5]
	s_add_u32 s4, s4, _ZL14no_device_codePKciS0_iS0_@rel32@lo+4
	s_addc_u32 s5, s5, _ZL14no_device_codePKciS0_iS0_@rel32@hi+12
	s_mov_b32 s32, 0
	s_swappc_b64 s[30:31], s[4:5]
	.section	.rodata,"a",@progbits
	.p2align	6, 0x0
	.amdhsa_kernel _ZL15flash_attn_tileILi112ELi112ELi64ELi1ELb1EEvPKcS1_S1_S1_S1_PKiPfP15HIP_vector_typeIfLj2EEffffjfiS5_IjLj3EEiiiiiiiiiiiliiliiiiil
		.amdhsa_group_segment_fixed_size 0
		.amdhsa_private_segment_fixed_size 16
		.amdhsa_kernarg_size 464
		.amdhsa_user_sgpr_count 6
		.amdhsa_user_sgpr_private_segment_buffer 1
		.amdhsa_user_sgpr_dispatch_ptr 0
		.amdhsa_user_sgpr_queue_ptr 0
		.amdhsa_user_sgpr_kernarg_segment_ptr 1
		.amdhsa_user_sgpr_dispatch_id 0
		.amdhsa_user_sgpr_flat_scratch_init 0
		.amdhsa_user_sgpr_private_segment_size 0
		.amdhsa_uses_dynamic_stack 0
		.amdhsa_system_sgpr_private_segment_wavefront_offset 1
		.amdhsa_system_sgpr_workgroup_id_x 1
		.amdhsa_system_sgpr_workgroup_id_y 0
		.amdhsa_system_sgpr_workgroup_id_z 0
		.amdhsa_system_sgpr_workgroup_info 0
		.amdhsa_system_vgpr_workitem_id 0
		.amdhsa_next_free_vgpr 41
		.amdhsa_next_free_sgpr 34
		.amdhsa_reserve_vcc 1
		.amdhsa_reserve_flat_scratch 0
		.amdhsa_float_round_mode_32 0
		.amdhsa_float_round_mode_16_64 0
		.amdhsa_float_denorm_mode_32 3
		.amdhsa_float_denorm_mode_16_64 3
		.amdhsa_dx10_clamp 1
		.amdhsa_ieee_mode 1
		.amdhsa_fp16_overflow 0
		.amdhsa_exception_fp_ieee_invalid_op 0
		.amdhsa_exception_fp_denorm_src 0
		.amdhsa_exception_fp_ieee_div_zero 0
		.amdhsa_exception_fp_ieee_overflow 0
		.amdhsa_exception_fp_ieee_underflow 0
		.amdhsa_exception_fp_ieee_inexact 0
		.amdhsa_exception_int_div_zero 0
	.end_amdhsa_kernel
	.section	.text._ZL15flash_attn_tileILi112ELi112ELi64ELi1ELb1EEvPKcS1_S1_S1_S1_PKiPfP15HIP_vector_typeIfLj2EEffffjfiS5_IjLj3EEiiiiiiiiiiiliiliiiiil,"axG",@progbits,_ZL15flash_attn_tileILi112ELi112ELi64ELi1ELb1EEvPKcS1_S1_S1_S1_PKiPfP15HIP_vector_typeIfLj2EEffffjfiS5_IjLj3EEiiiiiiiiiiiliiliiiiil,comdat
.Lfunc_end89:
	.size	_ZL15flash_attn_tileILi112ELi112ELi64ELi1ELb1EEvPKcS1_S1_S1_S1_PKiPfP15HIP_vector_typeIfLj2EEffffjfiS5_IjLj3EEiiiiiiiiiiiliiliiiiil, .Lfunc_end89-_ZL15flash_attn_tileILi112ELi112ELi64ELi1ELb1EEvPKcS1_S1_S1_S1_PKiPfP15HIP_vector_typeIfLj2EEffffjfiS5_IjLj3EEiiiiiiiiiiiliiliiiiil
                                        ; -- End function
	.set _ZL15flash_attn_tileILi112ELi112ELi64ELi1ELb1EEvPKcS1_S1_S1_S1_PKiPfP15HIP_vector_typeIfLj2EEffffjfiS5_IjLj3EEiiiiiiiiiiiliiliiiiil.num_vgpr, max(0, .L_ZL14no_device_codePKciS0_iS0_.num_vgpr)
	.set _ZL15flash_attn_tileILi112ELi112ELi64ELi1ELb1EEvPKcS1_S1_S1_S1_PKiPfP15HIP_vector_typeIfLj2EEffffjfiS5_IjLj3EEiiiiiiiiiiiliiliiiiil.num_agpr, max(0, .L_ZL14no_device_codePKciS0_iS0_.num_agpr)
	.set _ZL15flash_attn_tileILi112ELi112ELi64ELi1ELb1EEvPKcS1_S1_S1_S1_PKiPfP15HIP_vector_typeIfLj2EEffffjfiS5_IjLj3EEiiiiiiiiiiiliiliiiiil.numbered_sgpr, max(33, .L_ZL14no_device_codePKciS0_iS0_.numbered_sgpr)
	.set _ZL15flash_attn_tileILi112ELi112ELi64ELi1ELb1EEvPKcS1_S1_S1_S1_PKiPfP15HIP_vector_typeIfLj2EEffffjfiS5_IjLj3EEiiiiiiiiiiiliiliiiiil.num_named_barrier, max(0, .L_ZL14no_device_codePKciS0_iS0_.num_named_barrier)
	.set _ZL15flash_attn_tileILi112ELi112ELi64ELi1ELb1EEvPKcS1_S1_S1_S1_PKiPfP15HIP_vector_typeIfLj2EEffffjfiS5_IjLj3EEiiiiiiiiiiiliiliiiiil.private_seg_size, 0+max(.L_ZL14no_device_codePKciS0_iS0_.private_seg_size)
	.set _ZL15flash_attn_tileILi112ELi112ELi64ELi1ELb1EEvPKcS1_S1_S1_S1_PKiPfP15HIP_vector_typeIfLj2EEffffjfiS5_IjLj3EEiiiiiiiiiiiliiliiiiil.uses_vcc, or(1, .L_ZL14no_device_codePKciS0_iS0_.uses_vcc)
	.set _ZL15flash_attn_tileILi112ELi112ELi64ELi1ELb1EEvPKcS1_S1_S1_S1_PKiPfP15HIP_vector_typeIfLj2EEffffjfiS5_IjLj3EEiiiiiiiiiiiliiliiiiil.uses_flat_scratch, or(0, .L_ZL14no_device_codePKciS0_iS0_.uses_flat_scratch)
	.set _ZL15flash_attn_tileILi112ELi112ELi64ELi1ELb1EEvPKcS1_S1_S1_S1_PKiPfP15HIP_vector_typeIfLj2EEffffjfiS5_IjLj3EEiiiiiiiiiiiliiliiiiil.has_dyn_sized_stack, or(0, .L_ZL14no_device_codePKciS0_iS0_.has_dyn_sized_stack)
	.set _ZL15flash_attn_tileILi112ELi112ELi64ELi1ELb1EEvPKcS1_S1_S1_S1_PKiPfP15HIP_vector_typeIfLj2EEffffjfiS5_IjLj3EEiiiiiiiiiiiliiliiiiil.has_recursion, or(0, .L_ZL14no_device_codePKciS0_iS0_.has_recursion)
	.set _ZL15flash_attn_tileILi112ELi112ELi64ELi1ELb1EEvPKcS1_S1_S1_S1_PKiPfP15HIP_vector_typeIfLj2EEffffjfiS5_IjLj3EEiiiiiiiiiiiliiliiiiil.has_indirect_call, or(0, .L_ZL14no_device_codePKciS0_iS0_.has_indirect_call)
	.section	.AMDGPU.csdata,"",@progbits
; Kernel info:
; codeLenInByte = 48
; TotalNumSgprs: 38
; NumVgprs: 41
; ScratchSize: 16
; MemoryBound: 0
; FloatMode: 240
; IeeeMode: 1
; LDSByteSize: 0 bytes/workgroup (compile time only)
; SGPRBlocks: 4
; VGPRBlocks: 10
; NumSGPRsForWavesPerEU: 38
; NumVGPRsForWavesPerEU: 41
; Occupancy: 5
; WaveLimiterHint : 1
; COMPUTE_PGM_RSRC2:SCRATCH_EN: 1
; COMPUTE_PGM_RSRC2:USER_SGPR: 6
; COMPUTE_PGM_RSRC2:TRAP_HANDLER: 0
; COMPUTE_PGM_RSRC2:TGID_X_EN: 1
; COMPUTE_PGM_RSRC2:TGID_Y_EN: 0
; COMPUTE_PGM_RSRC2:TGID_Z_EN: 0
; COMPUTE_PGM_RSRC2:TIDIG_COMP_CNT: 0
	.section	.text._ZL15flash_attn_tileILi112ELi112ELi32ELi1ELb1EEvPKcS1_S1_S1_S1_PKiPfP15HIP_vector_typeIfLj2EEffffjfiS5_IjLj3EEiiiiiiiiiiiliiliiiiil,"axG",@progbits,_ZL15flash_attn_tileILi112ELi112ELi32ELi1ELb1EEvPKcS1_S1_S1_S1_PKiPfP15HIP_vector_typeIfLj2EEffffjfiS5_IjLj3EEiiiiiiiiiiiliiliiiiil,comdat
	.globl	_ZL15flash_attn_tileILi112ELi112ELi32ELi1ELb1EEvPKcS1_S1_S1_S1_PKiPfP15HIP_vector_typeIfLj2EEffffjfiS5_IjLj3EEiiiiiiiiiiiliiliiiiil ; -- Begin function _ZL15flash_attn_tileILi112ELi112ELi32ELi1ELb1EEvPKcS1_S1_S1_S1_PKiPfP15HIP_vector_typeIfLj2EEffffjfiS5_IjLj3EEiiiiiiiiiiiliiliiiiil
	.p2align	8
	.type	_ZL15flash_attn_tileILi112ELi112ELi32ELi1ELb1EEvPKcS1_S1_S1_S1_PKiPfP15HIP_vector_typeIfLj2EEffffjfiS5_IjLj3EEiiiiiiiiiiiliiliiiiil,@function
_ZL15flash_attn_tileILi112ELi112ELi32ELi1ELb1EEvPKcS1_S1_S1_S1_PKiPfP15HIP_vector_typeIfLj2EEffffjfiS5_IjLj3EEiiiiiiiiiiiliiliiiiil: ; @_ZL15flash_attn_tileILi112ELi112ELi32ELi1ELb1EEvPKcS1_S1_S1_S1_PKiPfP15HIP_vector_typeIfLj2EEffffjfiS5_IjLj3EEiiiiiiiiiiiliiliiiiil
; %bb.0:
	s_add_u32 s0, s0, s7
	s_addc_u32 s1, s1, 0
	s_add_u32 s8, s4, 0xd0
	s_addc_u32 s9, s5, 0
	s_getpc_b64 s[4:5]
	s_add_u32 s4, s4, _ZL14no_device_codePKciS0_iS0_@rel32@lo+4
	s_addc_u32 s5, s5, _ZL14no_device_codePKciS0_iS0_@rel32@hi+12
	s_mov_b32 s32, 0
	s_swappc_b64 s[30:31], s[4:5]
	.section	.rodata,"a",@progbits
	.p2align	6, 0x0
	.amdhsa_kernel _ZL15flash_attn_tileILi112ELi112ELi32ELi1ELb1EEvPKcS1_S1_S1_S1_PKiPfP15HIP_vector_typeIfLj2EEffffjfiS5_IjLj3EEiiiiiiiiiiiliiliiiiil
		.amdhsa_group_segment_fixed_size 0
		.amdhsa_private_segment_fixed_size 16
		.amdhsa_kernarg_size 464
		.amdhsa_user_sgpr_count 6
		.amdhsa_user_sgpr_private_segment_buffer 1
		.amdhsa_user_sgpr_dispatch_ptr 0
		.amdhsa_user_sgpr_queue_ptr 0
		.amdhsa_user_sgpr_kernarg_segment_ptr 1
		.amdhsa_user_sgpr_dispatch_id 0
		.amdhsa_user_sgpr_flat_scratch_init 0
		.amdhsa_user_sgpr_private_segment_size 0
		.amdhsa_uses_dynamic_stack 0
		.amdhsa_system_sgpr_private_segment_wavefront_offset 1
		.amdhsa_system_sgpr_workgroup_id_x 1
		.amdhsa_system_sgpr_workgroup_id_y 0
		.amdhsa_system_sgpr_workgroup_id_z 0
		.amdhsa_system_sgpr_workgroup_info 0
		.amdhsa_system_vgpr_workitem_id 0
		.amdhsa_next_free_vgpr 41
		.amdhsa_next_free_sgpr 34
		.amdhsa_reserve_vcc 1
		.amdhsa_reserve_flat_scratch 0
		.amdhsa_float_round_mode_32 0
		.amdhsa_float_round_mode_16_64 0
		.amdhsa_float_denorm_mode_32 3
		.amdhsa_float_denorm_mode_16_64 3
		.amdhsa_dx10_clamp 1
		.amdhsa_ieee_mode 1
		.amdhsa_fp16_overflow 0
		.amdhsa_exception_fp_ieee_invalid_op 0
		.amdhsa_exception_fp_denorm_src 0
		.amdhsa_exception_fp_ieee_div_zero 0
		.amdhsa_exception_fp_ieee_overflow 0
		.amdhsa_exception_fp_ieee_underflow 0
		.amdhsa_exception_fp_ieee_inexact 0
		.amdhsa_exception_int_div_zero 0
	.end_amdhsa_kernel
	.section	.text._ZL15flash_attn_tileILi112ELi112ELi32ELi1ELb1EEvPKcS1_S1_S1_S1_PKiPfP15HIP_vector_typeIfLj2EEffffjfiS5_IjLj3EEiiiiiiiiiiiliiliiiiil,"axG",@progbits,_ZL15flash_attn_tileILi112ELi112ELi32ELi1ELb1EEvPKcS1_S1_S1_S1_PKiPfP15HIP_vector_typeIfLj2EEffffjfiS5_IjLj3EEiiiiiiiiiiiliiliiiiil,comdat
.Lfunc_end90:
	.size	_ZL15flash_attn_tileILi112ELi112ELi32ELi1ELb1EEvPKcS1_S1_S1_S1_PKiPfP15HIP_vector_typeIfLj2EEffffjfiS5_IjLj3EEiiiiiiiiiiiliiliiiiil, .Lfunc_end90-_ZL15flash_attn_tileILi112ELi112ELi32ELi1ELb1EEvPKcS1_S1_S1_S1_PKiPfP15HIP_vector_typeIfLj2EEffffjfiS5_IjLj3EEiiiiiiiiiiiliiliiiiil
                                        ; -- End function
	.set _ZL15flash_attn_tileILi112ELi112ELi32ELi1ELb1EEvPKcS1_S1_S1_S1_PKiPfP15HIP_vector_typeIfLj2EEffffjfiS5_IjLj3EEiiiiiiiiiiiliiliiiiil.num_vgpr, max(0, .L_ZL14no_device_codePKciS0_iS0_.num_vgpr)
	.set _ZL15flash_attn_tileILi112ELi112ELi32ELi1ELb1EEvPKcS1_S1_S1_S1_PKiPfP15HIP_vector_typeIfLj2EEffffjfiS5_IjLj3EEiiiiiiiiiiiliiliiiiil.num_agpr, max(0, .L_ZL14no_device_codePKciS0_iS0_.num_agpr)
	.set _ZL15flash_attn_tileILi112ELi112ELi32ELi1ELb1EEvPKcS1_S1_S1_S1_PKiPfP15HIP_vector_typeIfLj2EEffffjfiS5_IjLj3EEiiiiiiiiiiiliiliiiiil.numbered_sgpr, max(33, .L_ZL14no_device_codePKciS0_iS0_.numbered_sgpr)
	.set _ZL15flash_attn_tileILi112ELi112ELi32ELi1ELb1EEvPKcS1_S1_S1_S1_PKiPfP15HIP_vector_typeIfLj2EEffffjfiS5_IjLj3EEiiiiiiiiiiiliiliiiiil.num_named_barrier, max(0, .L_ZL14no_device_codePKciS0_iS0_.num_named_barrier)
	.set _ZL15flash_attn_tileILi112ELi112ELi32ELi1ELb1EEvPKcS1_S1_S1_S1_PKiPfP15HIP_vector_typeIfLj2EEffffjfiS5_IjLj3EEiiiiiiiiiiiliiliiiiil.private_seg_size, 0+max(.L_ZL14no_device_codePKciS0_iS0_.private_seg_size)
	.set _ZL15flash_attn_tileILi112ELi112ELi32ELi1ELb1EEvPKcS1_S1_S1_S1_PKiPfP15HIP_vector_typeIfLj2EEffffjfiS5_IjLj3EEiiiiiiiiiiiliiliiiiil.uses_vcc, or(1, .L_ZL14no_device_codePKciS0_iS0_.uses_vcc)
	.set _ZL15flash_attn_tileILi112ELi112ELi32ELi1ELb1EEvPKcS1_S1_S1_S1_PKiPfP15HIP_vector_typeIfLj2EEffffjfiS5_IjLj3EEiiiiiiiiiiiliiliiiiil.uses_flat_scratch, or(0, .L_ZL14no_device_codePKciS0_iS0_.uses_flat_scratch)
	.set _ZL15flash_attn_tileILi112ELi112ELi32ELi1ELb1EEvPKcS1_S1_S1_S1_PKiPfP15HIP_vector_typeIfLj2EEffffjfiS5_IjLj3EEiiiiiiiiiiiliiliiiiil.has_dyn_sized_stack, or(0, .L_ZL14no_device_codePKciS0_iS0_.has_dyn_sized_stack)
	.set _ZL15flash_attn_tileILi112ELi112ELi32ELi1ELb1EEvPKcS1_S1_S1_S1_PKiPfP15HIP_vector_typeIfLj2EEffffjfiS5_IjLj3EEiiiiiiiiiiiliiliiiiil.has_recursion, or(0, .L_ZL14no_device_codePKciS0_iS0_.has_recursion)
	.set _ZL15flash_attn_tileILi112ELi112ELi32ELi1ELb1EEvPKcS1_S1_S1_S1_PKiPfP15HIP_vector_typeIfLj2EEffffjfiS5_IjLj3EEiiiiiiiiiiiliiliiiiil.has_indirect_call, or(0, .L_ZL14no_device_codePKciS0_iS0_.has_indirect_call)
	.section	.AMDGPU.csdata,"",@progbits
; Kernel info:
; codeLenInByte = 48
; TotalNumSgprs: 38
; NumVgprs: 41
; ScratchSize: 16
; MemoryBound: 0
; FloatMode: 240
; IeeeMode: 1
; LDSByteSize: 0 bytes/workgroup (compile time only)
; SGPRBlocks: 4
; VGPRBlocks: 10
; NumSGPRsForWavesPerEU: 38
; NumVGPRsForWavesPerEU: 41
; Occupancy: 5
; WaveLimiterHint : 1
; COMPUTE_PGM_RSRC2:SCRATCH_EN: 1
; COMPUTE_PGM_RSRC2:USER_SGPR: 6
; COMPUTE_PGM_RSRC2:TRAP_HANDLER: 0
; COMPUTE_PGM_RSRC2:TGID_X_EN: 1
; COMPUTE_PGM_RSRC2:TGID_Y_EN: 0
; COMPUTE_PGM_RSRC2:TGID_Z_EN: 0
; COMPUTE_PGM_RSRC2:TIDIG_COMP_CNT: 0
	.section	.text._ZL15flash_attn_tileILi112ELi112ELi16ELi1ELb1EEvPKcS1_S1_S1_S1_PKiPfP15HIP_vector_typeIfLj2EEffffjfiS5_IjLj3EEiiiiiiiiiiiliiliiiiil,"axG",@progbits,_ZL15flash_attn_tileILi112ELi112ELi16ELi1ELb1EEvPKcS1_S1_S1_S1_PKiPfP15HIP_vector_typeIfLj2EEffffjfiS5_IjLj3EEiiiiiiiiiiiliiliiiiil,comdat
	.globl	_ZL15flash_attn_tileILi112ELi112ELi16ELi1ELb1EEvPKcS1_S1_S1_S1_PKiPfP15HIP_vector_typeIfLj2EEffffjfiS5_IjLj3EEiiiiiiiiiiiliiliiiiil ; -- Begin function _ZL15flash_attn_tileILi112ELi112ELi16ELi1ELb1EEvPKcS1_S1_S1_S1_PKiPfP15HIP_vector_typeIfLj2EEffffjfiS5_IjLj3EEiiiiiiiiiiiliiliiiiil
	.p2align	8
	.type	_ZL15flash_attn_tileILi112ELi112ELi16ELi1ELb1EEvPKcS1_S1_S1_S1_PKiPfP15HIP_vector_typeIfLj2EEffffjfiS5_IjLj3EEiiiiiiiiiiiliiliiiiil,@function
_ZL15flash_attn_tileILi112ELi112ELi16ELi1ELb1EEvPKcS1_S1_S1_S1_PKiPfP15HIP_vector_typeIfLj2EEffffjfiS5_IjLj3EEiiiiiiiiiiiliiliiiiil: ; @_ZL15flash_attn_tileILi112ELi112ELi16ELi1ELb1EEvPKcS1_S1_S1_S1_PKiPfP15HIP_vector_typeIfLj2EEffffjfiS5_IjLj3EEiiiiiiiiiiiliiliiiiil
; %bb.0:
	s_add_u32 s0, s0, s7
	s_addc_u32 s1, s1, 0
	s_add_u32 s8, s4, 0xd0
	s_addc_u32 s9, s5, 0
	s_getpc_b64 s[4:5]
	s_add_u32 s4, s4, _ZL14no_device_codePKciS0_iS0_@rel32@lo+4
	s_addc_u32 s5, s5, _ZL14no_device_codePKciS0_iS0_@rel32@hi+12
	s_mov_b32 s32, 0
	s_swappc_b64 s[30:31], s[4:5]
	.section	.rodata,"a",@progbits
	.p2align	6, 0x0
	.amdhsa_kernel _ZL15flash_attn_tileILi112ELi112ELi16ELi1ELb1EEvPKcS1_S1_S1_S1_PKiPfP15HIP_vector_typeIfLj2EEffffjfiS5_IjLj3EEiiiiiiiiiiiliiliiiiil
		.amdhsa_group_segment_fixed_size 0
		.amdhsa_private_segment_fixed_size 16
		.amdhsa_kernarg_size 464
		.amdhsa_user_sgpr_count 6
		.amdhsa_user_sgpr_private_segment_buffer 1
		.amdhsa_user_sgpr_dispatch_ptr 0
		.amdhsa_user_sgpr_queue_ptr 0
		.amdhsa_user_sgpr_kernarg_segment_ptr 1
		.amdhsa_user_sgpr_dispatch_id 0
		.amdhsa_user_sgpr_flat_scratch_init 0
		.amdhsa_user_sgpr_private_segment_size 0
		.amdhsa_uses_dynamic_stack 0
		.amdhsa_system_sgpr_private_segment_wavefront_offset 1
		.amdhsa_system_sgpr_workgroup_id_x 1
		.amdhsa_system_sgpr_workgroup_id_y 0
		.amdhsa_system_sgpr_workgroup_id_z 0
		.amdhsa_system_sgpr_workgroup_info 0
		.amdhsa_system_vgpr_workitem_id 0
		.amdhsa_next_free_vgpr 41
		.amdhsa_next_free_sgpr 34
		.amdhsa_reserve_vcc 1
		.amdhsa_reserve_flat_scratch 0
		.amdhsa_float_round_mode_32 0
		.amdhsa_float_round_mode_16_64 0
		.amdhsa_float_denorm_mode_32 3
		.amdhsa_float_denorm_mode_16_64 3
		.amdhsa_dx10_clamp 1
		.amdhsa_ieee_mode 1
		.amdhsa_fp16_overflow 0
		.amdhsa_exception_fp_ieee_invalid_op 0
		.amdhsa_exception_fp_denorm_src 0
		.amdhsa_exception_fp_ieee_div_zero 0
		.amdhsa_exception_fp_ieee_overflow 0
		.amdhsa_exception_fp_ieee_underflow 0
		.amdhsa_exception_fp_ieee_inexact 0
		.amdhsa_exception_int_div_zero 0
	.end_amdhsa_kernel
	.section	.text._ZL15flash_attn_tileILi112ELi112ELi16ELi1ELb1EEvPKcS1_S1_S1_S1_PKiPfP15HIP_vector_typeIfLj2EEffffjfiS5_IjLj3EEiiiiiiiiiiiliiliiiiil,"axG",@progbits,_ZL15flash_attn_tileILi112ELi112ELi16ELi1ELb1EEvPKcS1_S1_S1_S1_PKiPfP15HIP_vector_typeIfLj2EEffffjfiS5_IjLj3EEiiiiiiiiiiiliiliiiiil,comdat
.Lfunc_end91:
	.size	_ZL15flash_attn_tileILi112ELi112ELi16ELi1ELb1EEvPKcS1_S1_S1_S1_PKiPfP15HIP_vector_typeIfLj2EEffffjfiS5_IjLj3EEiiiiiiiiiiiliiliiiiil, .Lfunc_end91-_ZL15flash_attn_tileILi112ELi112ELi16ELi1ELb1EEvPKcS1_S1_S1_S1_PKiPfP15HIP_vector_typeIfLj2EEffffjfiS5_IjLj3EEiiiiiiiiiiiliiliiiiil
                                        ; -- End function
	.set _ZL15flash_attn_tileILi112ELi112ELi16ELi1ELb1EEvPKcS1_S1_S1_S1_PKiPfP15HIP_vector_typeIfLj2EEffffjfiS5_IjLj3EEiiiiiiiiiiiliiliiiiil.num_vgpr, max(0, .L_ZL14no_device_codePKciS0_iS0_.num_vgpr)
	.set _ZL15flash_attn_tileILi112ELi112ELi16ELi1ELb1EEvPKcS1_S1_S1_S1_PKiPfP15HIP_vector_typeIfLj2EEffffjfiS5_IjLj3EEiiiiiiiiiiiliiliiiiil.num_agpr, max(0, .L_ZL14no_device_codePKciS0_iS0_.num_agpr)
	.set _ZL15flash_attn_tileILi112ELi112ELi16ELi1ELb1EEvPKcS1_S1_S1_S1_PKiPfP15HIP_vector_typeIfLj2EEffffjfiS5_IjLj3EEiiiiiiiiiiiliiliiiiil.numbered_sgpr, max(33, .L_ZL14no_device_codePKciS0_iS0_.numbered_sgpr)
	.set _ZL15flash_attn_tileILi112ELi112ELi16ELi1ELb1EEvPKcS1_S1_S1_S1_PKiPfP15HIP_vector_typeIfLj2EEffffjfiS5_IjLj3EEiiiiiiiiiiiliiliiiiil.num_named_barrier, max(0, .L_ZL14no_device_codePKciS0_iS0_.num_named_barrier)
	.set _ZL15flash_attn_tileILi112ELi112ELi16ELi1ELb1EEvPKcS1_S1_S1_S1_PKiPfP15HIP_vector_typeIfLj2EEffffjfiS5_IjLj3EEiiiiiiiiiiiliiliiiiil.private_seg_size, 0+max(.L_ZL14no_device_codePKciS0_iS0_.private_seg_size)
	.set _ZL15flash_attn_tileILi112ELi112ELi16ELi1ELb1EEvPKcS1_S1_S1_S1_PKiPfP15HIP_vector_typeIfLj2EEffffjfiS5_IjLj3EEiiiiiiiiiiiliiliiiiil.uses_vcc, or(1, .L_ZL14no_device_codePKciS0_iS0_.uses_vcc)
	.set _ZL15flash_attn_tileILi112ELi112ELi16ELi1ELb1EEvPKcS1_S1_S1_S1_PKiPfP15HIP_vector_typeIfLj2EEffffjfiS5_IjLj3EEiiiiiiiiiiiliiliiiiil.uses_flat_scratch, or(0, .L_ZL14no_device_codePKciS0_iS0_.uses_flat_scratch)
	.set _ZL15flash_attn_tileILi112ELi112ELi16ELi1ELb1EEvPKcS1_S1_S1_S1_PKiPfP15HIP_vector_typeIfLj2EEffffjfiS5_IjLj3EEiiiiiiiiiiiliiliiiiil.has_dyn_sized_stack, or(0, .L_ZL14no_device_codePKciS0_iS0_.has_dyn_sized_stack)
	.set _ZL15flash_attn_tileILi112ELi112ELi16ELi1ELb1EEvPKcS1_S1_S1_S1_PKiPfP15HIP_vector_typeIfLj2EEffffjfiS5_IjLj3EEiiiiiiiiiiiliiliiiiil.has_recursion, or(0, .L_ZL14no_device_codePKciS0_iS0_.has_recursion)
	.set _ZL15flash_attn_tileILi112ELi112ELi16ELi1ELb1EEvPKcS1_S1_S1_S1_PKiPfP15HIP_vector_typeIfLj2EEffffjfiS5_IjLj3EEiiiiiiiiiiiliiliiiiil.has_indirect_call, or(0, .L_ZL14no_device_codePKciS0_iS0_.has_indirect_call)
	.section	.AMDGPU.csdata,"",@progbits
; Kernel info:
; codeLenInByte = 48
; TotalNumSgprs: 38
; NumVgprs: 41
; ScratchSize: 16
; MemoryBound: 0
; FloatMode: 240
; IeeeMode: 1
; LDSByteSize: 0 bytes/workgroup (compile time only)
; SGPRBlocks: 4
; VGPRBlocks: 10
; NumSGPRsForWavesPerEU: 38
; NumVGPRsForWavesPerEU: 41
; Occupancy: 5
; WaveLimiterHint : 1
; COMPUTE_PGM_RSRC2:SCRATCH_EN: 1
; COMPUTE_PGM_RSRC2:USER_SGPR: 6
; COMPUTE_PGM_RSRC2:TRAP_HANDLER: 0
; COMPUTE_PGM_RSRC2:TGID_X_EN: 1
; COMPUTE_PGM_RSRC2:TGID_Y_EN: 0
; COMPUTE_PGM_RSRC2:TGID_Z_EN: 0
; COMPUTE_PGM_RSRC2:TIDIG_COMP_CNT: 0
	.section	.text._ZL15flash_attn_tileILi112ELi112ELi8ELi1ELb1EEvPKcS1_S1_S1_S1_PKiPfP15HIP_vector_typeIfLj2EEffffjfiS5_IjLj3EEiiiiiiiiiiiliiliiiiil,"axG",@progbits,_ZL15flash_attn_tileILi112ELi112ELi8ELi1ELb1EEvPKcS1_S1_S1_S1_PKiPfP15HIP_vector_typeIfLj2EEffffjfiS5_IjLj3EEiiiiiiiiiiiliiliiiiil,comdat
	.globl	_ZL15flash_attn_tileILi112ELi112ELi8ELi1ELb1EEvPKcS1_S1_S1_S1_PKiPfP15HIP_vector_typeIfLj2EEffffjfiS5_IjLj3EEiiiiiiiiiiiliiliiiiil ; -- Begin function _ZL15flash_attn_tileILi112ELi112ELi8ELi1ELb1EEvPKcS1_S1_S1_S1_PKiPfP15HIP_vector_typeIfLj2EEffffjfiS5_IjLj3EEiiiiiiiiiiiliiliiiiil
	.p2align	8
	.type	_ZL15flash_attn_tileILi112ELi112ELi8ELi1ELb1EEvPKcS1_S1_S1_S1_PKiPfP15HIP_vector_typeIfLj2EEffffjfiS5_IjLj3EEiiiiiiiiiiiliiliiiiil,@function
_ZL15flash_attn_tileILi112ELi112ELi8ELi1ELb1EEvPKcS1_S1_S1_S1_PKiPfP15HIP_vector_typeIfLj2EEffffjfiS5_IjLj3EEiiiiiiiiiiiliiliiiiil: ; @_ZL15flash_attn_tileILi112ELi112ELi8ELi1ELb1EEvPKcS1_S1_S1_S1_PKiPfP15HIP_vector_typeIfLj2EEffffjfiS5_IjLj3EEiiiiiiiiiiiliiliiiiil
; %bb.0:
	s_add_u32 s0, s0, s7
	s_addc_u32 s1, s1, 0
	s_add_u32 s8, s4, 0xd0
	s_addc_u32 s9, s5, 0
	s_getpc_b64 s[4:5]
	s_add_u32 s4, s4, _ZL14no_device_codePKciS0_iS0_@rel32@lo+4
	s_addc_u32 s5, s5, _ZL14no_device_codePKciS0_iS0_@rel32@hi+12
	s_mov_b32 s32, 0
	s_swappc_b64 s[30:31], s[4:5]
	.section	.rodata,"a",@progbits
	.p2align	6, 0x0
	.amdhsa_kernel _ZL15flash_attn_tileILi112ELi112ELi8ELi1ELb1EEvPKcS1_S1_S1_S1_PKiPfP15HIP_vector_typeIfLj2EEffffjfiS5_IjLj3EEiiiiiiiiiiiliiliiiiil
		.amdhsa_group_segment_fixed_size 0
		.amdhsa_private_segment_fixed_size 16
		.amdhsa_kernarg_size 464
		.amdhsa_user_sgpr_count 6
		.amdhsa_user_sgpr_private_segment_buffer 1
		.amdhsa_user_sgpr_dispatch_ptr 0
		.amdhsa_user_sgpr_queue_ptr 0
		.amdhsa_user_sgpr_kernarg_segment_ptr 1
		.amdhsa_user_sgpr_dispatch_id 0
		.amdhsa_user_sgpr_flat_scratch_init 0
		.amdhsa_user_sgpr_private_segment_size 0
		.amdhsa_uses_dynamic_stack 0
		.amdhsa_system_sgpr_private_segment_wavefront_offset 1
		.amdhsa_system_sgpr_workgroup_id_x 1
		.amdhsa_system_sgpr_workgroup_id_y 0
		.amdhsa_system_sgpr_workgroup_id_z 0
		.amdhsa_system_sgpr_workgroup_info 0
		.amdhsa_system_vgpr_workitem_id 0
		.amdhsa_next_free_vgpr 41
		.amdhsa_next_free_sgpr 34
		.amdhsa_reserve_vcc 1
		.amdhsa_reserve_flat_scratch 0
		.amdhsa_float_round_mode_32 0
		.amdhsa_float_round_mode_16_64 0
		.amdhsa_float_denorm_mode_32 3
		.amdhsa_float_denorm_mode_16_64 3
		.amdhsa_dx10_clamp 1
		.amdhsa_ieee_mode 1
		.amdhsa_fp16_overflow 0
		.amdhsa_exception_fp_ieee_invalid_op 0
		.amdhsa_exception_fp_denorm_src 0
		.amdhsa_exception_fp_ieee_div_zero 0
		.amdhsa_exception_fp_ieee_overflow 0
		.amdhsa_exception_fp_ieee_underflow 0
		.amdhsa_exception_fp_ieee_inexact 0
		.amdhsa_exception_int_div_zero 0
	.end_amdhsa_kernel
	.section	.text._ZL15flash_attn_tileILi112ELi112ELi8ELi1ELb1EEvPKcS1_S1_S1_S1_PKiPfP15HIP_vector_typeIfLj2EEffffjfiS5_IjLj3EEiiiiiiiiiiiliiliiiiil,"axG",@progbits,_ZL15flash_attn_tileILi112ELi112ELi8ELi1ELb1EEvPKcS1_S1_S1_S1_PKiPfP15HIP_vector_typeIfLj2EEffffjfiS5_IjLj3EEiiiiiiiiiiiliiliiiiil,comdat
.Lfunc_end92:
	.size	_ZL15flash_attn_tileILi112ELi112ELi8ELi1ELb1EEvPKcS1_S1_S1_S1_PKiPfP15HIP_vector_typeIfLj2EEffffjfiS5_IjLj3EEiiiiiiiiiiiliiliiiiil, .Lfunc_end92-_ZL15flash_attn_tileILi112ELi112ELi8ELi1ELb1EEvPKcS1_S1_S1_S1_PKiPfP15HIP_vector_typeIfLj2EEffffjfiS5_IjLj3EEiiiiiiiiiiiliiliiiiil
                                        ; -- End function
	.set _ZL15flash_attn_tileILi112ELi112ELi8ELi1ELb1EEvPKcS1_S1_S1_S1_PKiPfP15HIP_vector_typeIfLj2EEffffjfiS5_IjLj3EEiiiiiiiiiiiliiliiiiil.num_vgpr, max(0, .L_ZL14no_device_codePKciS0_iS0_.num_vgpr)
	.set _ZL15flash_attn_tileILi112ELi112ELi8ELi1ELb1EEvPKcS1_S1_S1_S1_PKiPfP15HIP_vector_typeIfLj2EEffffjfiS5_IjLj3EEiiiiiiiiiiiliiliiiiil.num_agpr, max(0, .L_ZL14no_device_codePKciS0_iS0_.num_agpr)
	.set _ZL15flash_attn_tileILi112ELi112ELi8ELi1ELb1EEvPKcS1_S1_S1_S1_PKiPfP15HIP_vector_typeIfLj2EEffffjfiS5_IjLj3EEiiiiiiiiiiiliiliiiiil.numbered_sgpr, max(33, .L_ZL14no_device_codePKciS0_iS0_.numbered_sgpr)
	.set _ZL15flash_attn_tileILi112ELi112ELi8ELi1ELb1EEvPKcS1_S1_S1_S1_PKiPfP15HIP_vector_typeIfLj2EEffffjfiS5_IjLj3EEiiiiiiiiiiiliiliiiiil.num_named_barrier, max(0, .L_ZL14no_device_codePKciS0_iS0_.num_named_barrier)
	.set _ZL15flash_attn_tileILi112ELi112ELi8ELi1ELb1EEvPKcS1_S1_S1_S1_PKiPfP15HIP_vector_typeIfLj2EEffffjfiS5_IjLj3EEiiiiiiiiiiiliiliiiiil.private_seg_size, 0+max(.L_ZL14no_device_codePKciS0_iS0_.private_seg_size)
	.set _ZL15flash_attn_tileILi112ELi112ELi8ELi1ELb1EEvPKcS1_S1_S1_S1_PKiPfP15HIP_vector_typeIfLj2EEffffjfiS5_IjLj3EEiiiiiiiiiiiliiliiiiil.uses_vcc, or(1, .L_ZL14no_device_codePKciS0_iS0_.uses_vcc)
	.set _ZL15flash_attn_tileILi112ELi112ELi8ELi1ELb1EEvPKcS1_S1_S1_S1_PKiPfP15HIP_vector_typeIfLj2EEffffjfiS5_IjLj3EEiiiiiiiiiiiliiliiiiil.uses_flat_scratch, or(0, .L_ZL14no_device_codePKciS0_iS0_.uses_flat_scratch)
	.set _ZL15flash_attn_tileILi112ELi112ELi8ELi1ELb1EEvPKcS1_S1_S1_S1_PKiPfP15HIP_vector_typeIfLj2EEffffjfiS5_IjLj3EEiiiiiiiiiiiliiliiiiil.has_dyn_sized_stack, or(0, .L_ZL14no_device_codePKciS0_iS0_.has_dyn_sized_stack)
	.set _ZL15flash_attn_tileILi112ELi112ELi8ELi1ELb1EEvPKcS1_S1_S1_S1_PKiPfP15HIP_vector_typeIfLj2EEffffjfiS5_IjLj3EEiiiiiiiiiiiliiliiiiil.has_recursion, or(0, .L_ZL14no_device_codePKciS0_iS0_.has_recursion)
	.set _ZL15flash_attn_tileILi112ELi112ELi8ELi1ELb1EEvPKcS1_S1_S1_S1_PKiPfP15HIP_vector_typeIfLj2EEffffjfiS5_IjLj3EEiiiiiiiiiiiliiliiiiil.has_indirect_call, or(0, .L_ZL14no_device_codePKciS0_iS0_.has_indirect_call)
	.section	.AMDGPU.csdata,"",@progbits
; Kernel info:
; codeLenInByte = 48
; TotalNumSgprs: 38
; NumVgprs: 41
; ScratchSize: 16
; MemoryBound: 0
; FloatMode: 240
; IeeeMode: 1
; LDSByteSize: 0 bytes/workgroup (compile time only)
; SGPRBlocks: 4
; VGPRBlocks: 10
; NumSGPRsForWavesPerEU: 38
; NumVGPRsForWavesPerEU: 41
; Occupancy: 5
; WaveLimiterHint : 1
; COMPUTE_PGM_RSRC2:SCRATCH_EN: 1
; COMPUTE_PGM_RSRC2:USER_SGPR: 6
; COMPUTE_PGM_RSRC2:TRAP_HANDLER: 0
; COMPUTE_PGM_RSRC2:TGID_X_EN: 1
; COMPUTE_PGM_RSRC2:TGID_Y_EN: 0
; COMPUTE_PGM_RSRC2:TGID_Z_EN: 0
; COMPUTE_PGM_RSRC2:TIDIG_COMP_CNT: 0
	.section	.text._ZL15flash_attn_tileILi112ELi112ELi4ELi1ELb1EEvPKcS1_S1_S1_S1_PKiPfP15HIP_vector_typeIfLj2EEffffjfiS5_IjLj3EEiiiiiiiiiiiliiliiiiil,"axG",@progbits,_ZL15flash_attn_tileILi112ELi112ELi4ELi1ELb1EEvPKcS1_S1_S1_S1_PKiPfP15HIP_vector_typeIfLj2EEffffjfiS5_IjLj3EEiiiiiiiiiiiliiliiiiil,comdat
	.globl	_ZL15flash_attn_tileILi112ELi112ELi4ELi1ELb1EEvPKcS1_S1_S1_S1_PKiPfP15HIP_vector_typeIfLj2EEffffjfiS5_IjLj3EEiiiiiiiiiiiliiliiiiil ; -- Begin function _ZL15flash_attn_tileILi112ELi112ELi4ELi1ELb1EEvPKcS1_S1_S1_S1_PKiPfP15HIP_vector_typeIfLj2EEffffjfiS5_IjLj3EEiiiiiiiiiiiliiliiiiil
	.p2align	8
	.type	_ZL15flash_attn_tileILi112ELi112ELi4ELi1ELb1EEvPKcS1_S1_S1_S1_PKiPfP15HIP_vector_typeIfLj2EEffffjfiS5_IjLj3EEiiiiiiiiiiiliiliiiiil,@function
_ZL15flash_attn_tileILi112ELi112ELi4ELi1ELb1EEvPKcS1_S1_S1_S1_PKiPfP15HIP_vector_typeIfLj2EEffffjfiS5_IjLj3EEiiiiiiiiiiiliiliiiiil: ; @_ZL15flash_attn_tileILi112ELi112ELi4ELi1ELb1EEvPKcS1_S1_S1_S1_PKiPfP15HIP_vector_typeIfLj2EEffffjfiS5_IjLj3EEiiiiiiiiiiiliiliiiiil
; %bb.0:
	s_add_u32 s0, s0, s7
	s_addc_u32 s1, s1, 0
	s_add_u32 s8, s4, 0xd0
	s_addc_u32 s9, s5, 0
	s_getpc_b64 s[4:5]
	s_add_u32 s4, s4, _ZL14no_device_codePKciS0_iS0_@rel32@lo+4
	s_addc_u32 s5, s5, _ZL14no_device_codePKciS0_iS0_@rel32@hi+12
	s_mov_b32 s32, 0
	s_swappc_b64 s[30:31], s[4:5]
	.section	.rodata,"a",@progbits
	.p2align	6, 0x0
	.amdhsa_kernel _ZL15flash_attn_tileILi112ELi112ELi4ELi1ELb1EEvPKcS1_S1_S1_S1_PKiPfP15HIP_vector_typeIfLj2EEffffjfiS5_IjLj3EEiiiiiiiiiiiliiliiiiil
		.amdhsa_group_segment_fixed_size 0
		.amdhsa_private_segment_fixed_size 16
		.amdhsa_kernarg_size 464
		.amdhsa_user_sgpr_count 6
		.amdhsa_user_sgpr_private_segment_buffer 1
		.amdhsa_user_sgpr_dispatch_ptr 0
		.amdhsa_user_sgpr_queue_ptr 0
		.amdhsa_user_sgpr_kernarg_segment_ptr 1
		.amdhsa_user_sgpr_dispatch_id 0
		.amdhsa_user_sgpr_flat_scratch_init 0
		.amdhsa_user_sgpr_private_segment_size 0
		.amdhsa_uses_dynamic_stack 0
		.amdhsa_system_sgpr_private_segment_wavefront_offset 1
		.amdhsa_system_sgpr_workgroup_id_x 1
		.amdhsa_system_sgpr_workgroup_id_y 0
		.amdhsa_system_sgpr_workgroup_id_z 0
		.amdhsa_system_sgpr_workgroup_info 0
		.amdhsa_system_vgpr_workitem_id 0
		.amdhsa_next_free_vgpr 41
		.amdhsa_next_free_sgpr 34
		.amdhsa_reserve_vcc 1
		.amdhsa_reserve_flat_scratch 0
		.amdhsa_float_round_mode_32 0
		.amdhsa_float_round_mode_16_64 0
		.amdhsa_float_denorm_mode_32 3
		.amdhsa_float_denorm_mode_16_64 3
		.amdhsa_dx10_clamp 1
		.amdhsa_ieee_mode 1
		.amdhsa_fp16_overflow 0
		.amdhsa_exception_fp_ieee_invalid_op 0
		.amdhsa_exception_fp_denorm_src 0
		.amdhsa_exception_fp_ieee_div_zero 0
		.amdhsa_exception_fp_ieee_overflow 0
		.amdhsa_exception_fp_ieee_underflow 0
		.amdhsa_exception_fp_ieee_inexact 0
		.amdhsa_exception_int_div_zero 0
	.end_amdhsa_kernel
	.section	.text._ZL15flash_attn_tileILi112ELi112ELi4ELi1ELb1EEvPKcS1_S1_S1_S1_PKiPfP15HIP_vector_typeIfLj2EEffffjfiS5_IjLj3EEiiiiiiiiiiiliiliiiiil,"axG",@progbits,_ZL15flash_attn_tileILi112ELi112ELi4ELi1ELb1EEvPKcS1_S1_S1_S1_PKiPfP15HIP_vector_typeIfLj2EEffffjfiS5_IjLj3EEiiiiiiiiiiiliiliiiiil,comdat
.Lfunc_end93:
	.size	_ZL15flash_attn_tileILi112ELi112ELi4ELi1ELb1EEvPKcS1_S1_S1_S1_PKiPfP15HIP_vector_typeIfLj2EEffffjfiS5_IjLj3EEiiiiiiiiiiiliiliiiiil, .Lfunc_end93-_ZL15flash_attn_tileILi112ELi112ELi4ELi1ELb1EEvPKcS1_S1_S1_S1_PKiPfP15HIP_vector_typeIfLj2EEffffjfiS5_IjLj3EEiiiiiiiiiiiliiliiiiil
                                        ; -- End function
	.set _ZL15flash_attn_tileILi112ELi112ELi4ELi1ELb1EEvPKcS1_S1_S1_S1_PKiPfP15HIP_vector_typeIfLj2EEffffjfiS5_IjLj3EEiiiiiiiiiiiliiliiiiil.num_vgpr, max(0, .L_ZL14no_device_codePKciS0_iS0_.num_vgpr)
	.set _ZL15flash_attn_tileILi112ELi112ELi4ELi1ELb1EEvPKcS1_S1_S1_S1_PKiPfP15HIP_vector_typeIfLj2EEffffjfiS5_IjLj3EEiiiiiiiiiiiliiliiiiil.num_agpr, max(0, .L_ZL14no_device_codePKciS0_iS0_.num_agpr)
	.set _ZL15flash_attn_tileILi112ELi112ELi4ELi1ELb1EEvPKcS1_S1_S1_S1_PKiPfP15HIP_vector_typeIfLj2EEffffjfiS5_IjLj3EEiiiiiiiiiiiliiliiiiil.numbered_sgpr, max(33, .L_ZL14no_device_codePKciS0_iS0_.numbered_sgpr)
	.set _ZL15flash_attn_tileILi112ELi112ELi4ELi1ELb1EEvPKcS1_S1_S1_S1_PKiPfP15HIP_vector_typeIfLj2EEffffjfiS5_IjLj3EEiiiiiiiiiiiliiliiiiil.num_named_barrier, max(0, .L_ZL14no_device_codePKciS0_iS0_.num_named_barrier)
	.set _ZL15flash_attn_tileILi112ELi112ELi4ELi1ELb1EEvPKcS1_S1_S1_S1_PKiPfP15HIP_vector_typeIfLj2EEffffjfiS5_IjLj3EEiiiiiiiiiiiliiliiiiil.private_seg_size, 0+max(.L_ZL14no_device_codePKciS0_iS0_.private_seg_size)
	.set _ZL15flash_attn_tileILi112ELi112ELi4ELi1ELb1EEvPKcS1_S1_S1_S1_PKiPfP15HIP_vector_typeIfLj2EEffffjfiS5_IjLj3EEiiiiiiiiiiiliiliiiiil.uses_vcc, or(1, .L_ZL14no_device_codePKciS0_iS0_.uses_vcc)
	.set _ZL15flash_attn_tileILi112ELi112ELi4ELi1ELb1EEvPKcS1_S1_S1_S1_PKiPfP15HIP_vector_typeIfLj2EEffffjfiS5_IjLj3EEiiiiiiiiiiiliiliiiiil.uses_flat_scratch, or(0, .L_ZL14no_device_codePKciS0_iS0_.uses_flat_scratch)
	.set _ZL15flash_attn_tileILi112ELi112ELi4ELi1ELb1EEvPKcS1_S1_S1_S1_PKiPfP15HIP_vector_typeIfLj2EEffffjfiS5_IjLj3EEiiiiiiiiiiiliiliiiiil.has_dyn_sized_stack, or(0, .L_ZL14no_device_codePKciS0_iS0_.has_dyn_sized_stack)
	.set _ZL15flash_attn_tileILi112ELi112ELi4ELi1ELb1EEvPKcS1_S1_S1_S1_PKiPfP15HIP_vector_typeIfLj2EEffffjfiS5_IjLj3EEiiiiiiiiiiiliiliiiiil.has_recursion, or(0, .L_ZL14no_device_codePKciS0_iS0_.has_recursion)
	.set _ZL15flash_attn_tileILi112ELi112ELi4ELi1ELb1EEvPKcS1_S1_S1_S1_PKiPfP15HIP_vector_typeIfLj2EEffffjfiS5_IjLj3EEiiiiiiiiiiiliiliiiiil.has_indirect_call, or(0, .L_ZL14no_device_codePKciS0_iS0_.has_indirect_call)
	.section	.AMDGPU.csdata,"",@progbits
; Kernel info:
; codeLenInByte = 48
; TotalNumSgprs: 38
; NumVgprs: 41
; ScratchSize: 16
; MemoryBound: 0
; FloatMode: 240
; IeeeMode: 1
; LDSByteSize: 0 bytes/workgroup (compile time only)
; SGPRBlocks: 4
; VGPRBlocks: 10
; NumSGPRsForWavesPerEU: 38
; NumVGPRsForWavesPerEU: 41
; Occupancy: 5
; WaveLimiterHint : 1
; COMPUTE_PGM_RSRC2:SCRATCH_EN: 1
; COMPUTE_PGM_RSRC2:USER_SGPR: 6
; COMPUTE_PGM_RSRC2:TRAP_HANDLER: 0
; COMPUTE_PGM_RSRC2:TGID_X_EN: 1
; COMPUTE_PGM_RSRC2:TGID_Y_EN: 0
; COMPUTE_PGM_RSRC2:TGID_Z_EN: 0
; COMPUTE_PGM_RSRC2:TIDIG_COMP_CNT: 0
	.section	.text._ZL15flash_attn_tileILi112ELi112ELi2ELi1ELb1EEvPKcS1_S1_S1_S1_PKiPfP15HIP_vector_typeIfLj2EEffffjfiS5_IjLj3EEiiiiiiiiiiiliiliiiiil,"axG",@progbits,_ZL15flash_attn_tileILi112ELi112ELi2ELi1ELb1EEvPKcS1_S1_S1_S1_PKiPfP15HIP_vector_typeIfLj2EEffffjfiS5_IjLj3EEiiiiiiiiiiiliiliiiiil,comdat
	.globl	_ZL15flash_attn_tileILi112ELi112ELi2ELi1ELb1EEvPKcS1_S1_S1_S1_PKiPfP15HIP_vector_typeIfLj2EEffffjfiS5_IjLj3EEiiiiiiiiiiiliiliiiiil ; -- Begin function _ZL15flash_attn_tileILi112ELi112ELi2ELi1ELb1EEvPKcS1_S1_S1_S1_PKiPfP15HIP_vector_typeIfLj2EEffffjfiS5_IjLj3EEiiiiiiiiiiiliiliiiiil
	.p2align	8
	.type	_ZL15flash_attn_tileILi112ELi112ELi2ELi1ELb1EEvPKcS1_S1_S1_S1_PKiPfP15HIP_vector_typeIfLj2EEffffjfiS5_IjLj3EEiiiiiiiiiiiliiliiiiil,@function
_ZL15flash_attn_tileILi112ELi112ELi2ELi1ELb1EEvPKcS1_S1_S1_S1_PKiPfP15HIP_vector_typeIfLj2EEffffjfiS5_IjLj3EEiiiiiiiiiiiliiliiiiil: ; @_ZL15flash_attn_tileILi112ELi112ELi2ELi1ELb1EEvPKcS1_S1_S1_S1_PKiPfP15HIP_vector_typeIfLj2EEffffjfiS5_IjLj3EEiiiiiiiiiiiliiliiiiil
; %bb.0:
	s_add_u32 s0, s0, s7
	s_addc_u32 s1, s1, 0
	s_add_u32 s8, s4, 0xd0
	s_addc_u32 s9, s5, 0
	s_getpc_b64 s[4:5]
	s_add_u32 s4, s4, _ZL14no_device_codePKciS0_iS0_@rel32@lo+4
	s_addc_u32 s5, s5, _ZL14no_device_codePKciS0_iS0_@rel32@hi+12
	s_mov_b32 s32, 0
	s_swappc_b64 s[30:31], s[4:5]
	.section	.rodata,"a",@progbits
	.p2align	6, 0x0
	.amdhsa_kernel _ZL15flash_attn_tileILi112ELi112ELi2ELi1ELb1EEvPKcS1_S1_S1_S1_PKiPfP15HIP_vector_typeIfLj2EEffffjfiS5_IjLj3EEiiiiiiiiiiiliiliiiiil
		.amdhsa_group_segment_fixed_size 0
		.amdhsa_private_segment_fixed_size 16
		.amdhsa_kernarg_size 464
		.amdhsa_user_sgpr_count 6
		.amdhsa_user_sgpr_private_segment_buffer 1
		.amdhsa_user_sgpr_dispatch_ptr 0
		.amdhsa_user_sgpr_queue_ptr 0
		.amdhsa_user_sgpr_kernarg_segment_ptr 1
		.amdhsa_user_sgpr_dispatch_id 0
		.amdhsa_user_sgpr_flat_scratch_init 0
		.amdhsa_user_sgpr_private_segment_size 0
		.amdhsa_uses_dynamic_stack 0
		.amdhsa_system_sgpr_private_segment_wavefront_offset 1
		.amdhsa_system_sgpr_workgroup_id_x 1
		.amdhsa_system_sgpr_workgroup_id_y 0
		.amdhsa_system_sgpr_workgroup_id_z 0
		.amdhsa_system_sgpr_workgroup_info 0
		.amdhsa_system_vgpr_workitem_id 0
		.amdhsa_next_free_vgpr 41
		.amdhsa_next_free_sgpr 34
		.amdhsa_reserve_vcc 1
		.amdhsa_reserve_flat_scratch 0
		.amdhsa_float_round_mode_32 0
		.amdhsa_float_round_mode_16_64 0
		.amdhsa_float_denorm_mode_32 3
		.amdhsa_float_denorm_mode_16_64 3
		.amdhsa_dx10_clamp 1
		.amdhsa_ieee_mode 1
		.amdhsa_fp16_overflow 0
		.amdhsa_exception_fp_ieee_invalid_op 0
		.amdhsa_exception_fp_denorm_src 0
		.amdhsa_exception_fp_ieee_div_zero 0
		.amdhsa_exception_fp_ieee_overflow 0
		.amdhsa_exception_fp_ieee_underflow 0
		.amdhsa_exception_fp_ieee_inexact 0
		.amdhsa_exception_int_div_zero 0
	.end_amdhsa_kernel
	.section	.text._ZL15flash_attn_tileILi112ELi112ELi2ELi1ELb1EEvPKcS1_S1_S1_S1_PKiPfP15HIP_vector_typeIfLj2EEffffjfiS5_IjLj3EEiiiiiiiiiiiliiliiiiil,"axG",@progbits,_ZL15flash_attn_tileILi112ELi112ELi2ELi1ELb1EEvPKcS1_S1_S1_S1_PKiPfP15HIP_vector_typeIfLj2EEffffjfiS5_IjLj3EEiiiiiiiiiiiliiliiiiil,comdat
.Lfunc_end94:
	.size	_ZL15flash_attn_tileILi112ELi112ELi2ELi1ELb1EEvPKcS1_S1_S1_S1_PKiPfP15HIP_vector_typeIfLj2EEffffjfiS5_IjLj3EEiiiiiiiiiiiliiliiiiil, .Lfunc_end94-_ZL15flash_attn_tileILi112ELi112ELi2ELi1ELb1EEvPKcS1_S1_S1_S1_PKiPfP15HIP_vector_typeIfLj2EEffffjfiS5_IjLj3EEiiiiiiiiiiiliiliiiiil
                                        ; -- End function
	.set _ZL15flash_attn_tileILi112ELi112ELi2ELi1ELb1EEvPKcS1_S1_S1_S1_PKiPfP15HIP_vector_typeIfLj2EEffffjfiS5_IjLj3EEiiiiiiiiiiiliiliiiiil.num_vgpr, max(0, .L_ZL14no_device_codePKciS0_iS0_.num_vgpr)
	.set _ZL15flash_attn_tileILi112ELi112ELi2ELi1ELb1EEvPKcS1_S1_S1_S1_PKiPfP15HIP_vector_typeIfLj2EEffffjfiS5_IjLj3EEiiiiiiiiiiiliiliiiiil.num_agpr, max(0, .L_ZL14no_device_codePKciS0_iS0_.num_agpr)
	.set _ZL15flash_attn_tileILi112ELi112ELi2ELi1ELb1EEvPKcS1_S1_S1_S1_PKiPfP15HIP_vector_typeIfLj2EEffffjfiS5_IjLj3EEiiiiiiiiiiiliiliiiiil.numbered_sgpr, max(33, .L_ZL14no_device_codePKciS0_iS0_.numbered_sgpr)
	.set _ZL15flash_attn_tileILi112ELi112ELi2ELi1ELb1EEvPKcS1_S1_S1_S1_PKiPfP15HIP_vector_typeIfLj2EEffffjfiS5_IjLj3EEiiiiiiiiiiiliiliiiiil.num_named_barrier, max(0, .L_ZL14no_device_codePKciS0_iS0_.num_named_barrier)
	.set _ZL15flash_attn_tileILi112ELi112ELi2ELi1ELb1EEvPKcS1_S1_S1_S1_PKiPfP15HIP_vector_typeIfLj2EEffffjfiS5_IjLj3EEiiiiiiiiiiiliiliiiiil.private_seg_size, 0+max(.L_ZL14no_device_codePKciS0_iS0_.private_seg_size)
	.set _ZL15flash_attn_tileILi112ELi112ELi2ELi1ELb1EEvPKcS1_S1_S1_S1_PKiPfP15HIP_vector_typeIfLj2EEffffjfiS5_IjLj3EEiiiiiiiiiiiliiliiiiil.uses_vcc, or(1, .L_ZL14no_device_codePKciS0_iS0_.uses_vcc)
	.set _ZL15flash_attn_tileILi112ELi112ELi2ELi1ELb1EEvPKcS1_S1_S1_S1_PKiPfP15HIP_vector_typeIfLj2EEffffjfiS5_IjLj3EEiiiiiiiiiiiliiliiiiil.uses_flat_scratch, or(0, .L_ZL14no_device_codePKciS0_iS0_.uses_flat_scratch)
	.set _ZL15flash_attn_tileILi112ELi112ELi2ELi1ELb1EEvPKcS1_S1_S1_S1_PKiPfP15HIP_vector_typeIfLj2EEffffjfiS5_IjLj3EEiiiiiiiiiiiliiliiiiil.has_dyn_sized_stack, or(0, .L_ZL14no_device_codePKciS0_iS0_.has_dyn_sized_stack)
	.set _ZL15flash_attn_tileILi112ELi112ELi2ELi1ELb1EEvPKcS1_S1_S1_S1_PKiPfP15HIP_vector_typeIfLj2EEffffjfiS5_IjLj3EEiiiiiiiiiiiliiliiiiil.has_recursion, or(0, .L_ZL14no_device_codePKciS0_iS0_.has_recursion)
	.set _ZL15flash_attn_tileILi112ELi112ELi2ELi1ELb1EEvPKcS1_S1_S1_S1_PKiPfP15HIP_vector_typeIfLj2EEffffjfiS5_IjLj3EEiiiiiiiiiiiliiliiiiil.has_indirect_call, or(0, .L_ZL14no_device_codePKciS0_iS0_.has_indirect_call)
	.section	.AMDGPU.csdata,"",@progbits
; Kernel info:
; codeLenInByte = 48
; TotalNumSgprs: 38
; NumVgprs: 41
; ScratchSize: 16
; MemoryBound: 0
; FloatMode: 240
; IeeeMode: 1
; LDSByteSize: 0 bytes/workgroup (compile time only)
; SGPRBlocks: 4
; VGPRBlocks: 10
; NumSGPRsForWavesPerEU: 38
; NumVGPRsForWavesPerEU: 41
; Occupancy: 5
; WaveLimiterHint : 1
; COMPUTE_PGM_RSRC2:SCRATCH_EN: 1
; COMPUTE_PGM_RSRC2:USER_SGPR: 6
; COMPUTE_PGM_RSRC2:TRAP_HANDLER: 0
; COMPUTE_PGM_RSRC2:TGID_X_EN: 1
; COMPUTE_PGM_RSRC2:TGID_Y_EN: 0
; COMPUTE_PGM_RSRC2:TGID_Z_EN: 0
; COMPUTE_PGM_RSRC2:TIDIG_COMP_CNT: 0
	.section	.AMDGPU.gpr_maximums,"",@progbits
	.set amdgpu.max_num_vgpr, 41
	.set amdgpu.max_num_agpr, 0
	.set amdgpu.max_num_sgpr, 34
	.section	.AMDGPU.csdata,"",@progbits
	.type	.str.3,@object                  ; @.str.3
	.section	.rodata.str1.1,"aMS",@progbits,1
.str.3:
	.asciz	"/root/src/amdgpu-assembly/repos/ggml-org__llama.cpp/ggml/src/ggml-cuda/template-instances/../fattn-tile.cuh"
	.size	.str.3, 108

	.type	__FUNCTION__._ZL15flash_attn_tileILi112ELi112ELi8ELi8ELb1EEvPKcS1_S1_S1_S1_PKiPfP15HIP_vector_typeIfLj2EEffffjfiS5_IjLj3EEiiiiiiiiiiiliiliiiiil,@object ; @__FUNCTION__._ZL15flash_attn_tileILi112ELi112ELi8ELi8ELb1EEvPKcS1_S1_S1_S1_PKiPfP15HIP_vector_typeIfLj2EEffffjfiS5_IjLj3EEiiiiiiiiiiiliiliiiiil
__FUNCTION__._ZL15flash_attn_tileILi112ELi112ELi8ELi8ELb1EEvPKcS1_S1_S1_S1_PKiPfP15HIP_vector_typeIfLj2EEffffjfiS5_IjLj3EEiiiiiiiiiiiliiliiiiil:
	.asciz	"flash_attn_tile"
	.size	__FUNCTION__._ZL15flash_attn_tileILi112ELi112ELi8ELi8ELb1EEvPKcS1_S1_S1_S1_PKiPfP15HIP_vector_typeIfLj2EEffffjfiS5_IjLj3EEiiiiiiiiiiiliiliiiiil, 16

	.type	.str.5,@object                  ; @.str.5
.str.5:
	.asciz	"%s:%d: ERROR: HIP kernel %s has no device code compatible with HIP arch %d.\n"
	.size	.str.5, 77

	.type	__hip_cuid_d2b31adb405b5245,@object ; @__hip_cuid_d2b31adb405b5245
	.section	.bss,"aw",@nobits
	.globl	__hip_cuid_d2b31adb405b5245
__hip_cuid_d2b31adb405b5245:
	.byte	0                               ; 0x0
	.size	__hip_cuid_d2b31adb405b5245, 1

	.ident	"AMD clang version 22.0.0git (https://github.com/RadeonOpenCompute/llvm-project roc-7.2.4 26084 f58b06dce1f9c15707c5f808fd002e18c2accf7e)"
	.section	".note.GNU-stack","",@progbits
	.addrsig
	.addrsig_sym __hip_cuid_d2b31adb405b5245
	.amdgpu_metadata
---
amdhsa.kernels:
  - .args:
      - .address_space:  global
        .offset:         0
        .size:           8
        .value_kind:     global_buffer
      - .address_space:  global
        .offset:         8
        .size:           8
        .value_kind:     global_buffer
      - .address_space:  global
        .offset:         16
        .size:           8
        .value_kind:     global_buffer
      - .address_space:  global
        .offset:         24
        .size:           8
        .value_kind:     global_buffer
      - .address_space:  global
        .offset:         32
        .size:           8
        .value_kind:     global_buffer
      - .address_space:  global
        .offset:         40
        .size:           8
        .value_kind:     global_buffer
      - .address_space:  global
        .offset:         48
        .size:           8
        .value_kind:     global_buffer
      - .address_space:  global
        .offset:         56
        .size:           8
        .value_kind:     global_buffer
      - .offset:         64
        .size:           4
        .value_kind:     by_value
      - .offset:         68
        .size:           4
        .value_kind:     by_value
      - .offset:         72
        .size:           4
        .value_kind:     by_value
      - .offset:         76
        .size:           4
        .value_kind:     by_value
      - .offset:         80
        .size:           4
        .value_kind:     by_value
      - .offset:         84
        .size:           4
        .value_kind:     by_value
      - .offset:         88
        .size:           4
        .value_kind:     by_value
      - .offset:         92
        .size:           12
        .value_kind:     by_value
      - .offset:         104
        .size:           4
        .value_kind:     by_value
      - .offset:         108
        .size:           4
        .value_kind:     by_value
      - .offset:         112
        .size:           4
        .value_kind:     by_value
      - .offset:         116
        .size:           4
        .value_kind:     by_value
      - .offset:         120
        .size:           4
        .value_kind:     by_value
      - .offset:         124
        .size:           4
        .value_kind:     by_value
      - .offset:         128
        .size:           4
        .value_kind:     by_value
      - .offset:         132
        .size:           4
        .value_kind:     by_value
      - .offset:         136
        .size:           4
        .value_kind:     by_value
      - .offset:         140
        .size:           4
        .value_kind:     by_value
      - .offset:         144
        .size:           4
        .value_kind:     by_value
      - .offset:         152
        .size:           8
        .value_kind:     by_value
      - .offset:         160
        .size:           4
        .value_kind:     by_value
      - .offset:         164
        .size:           4
        .value_kind:     by_value
      - .offset:         168
        .size:           8
        .value_kind:     by_value
      - .offset:         176
        .size:           4
        .value_kind:     by_value
      - .offset:         180
        .size:           4
        .value_kind:     by_value
      - .offset:         184
        .size:           4
        .value_kind:     by_value
      - .offset:         188
        .size:           4
        .value_kind:     by_value
      - .offset:         192
        .size:           4
        .value_kind:     by_value
      - .offset:         200
        .size:           8
        .value_kind:     by_value
      - .offset:         208
        .size:           4
        .value_kind:     hidden_block_count_x
      - .offset:         212
        .size:           4
        .value_kind:     hidden_block_count_y
      - .offset:         216
        .size:           4
        .value_kind:     hidden_block_count_z
      - .offset:         220
        .size:           2
        .value_kind:     hidden_group_size_x
      - .offset:         222
        .size:           2
        .value_kind:     hidden_group_size_y
      - .offset:         224
        .size:           2
        .value_kind:     hidden_group_size_z
      - .offset:         226
        .size:           2
        .value_kind:     hidden_remainder_x
      - .offset:         228
        .size:           2
        .value_kind:     hidden_remainder_y
      - .offset:         230
        .size:           2
        .value_kind:     hidden_remainder_z
      - .offset:         248
        .size:           8
        .value_kind:     hidden_global_offset_x
      - .offset:         256
        .size:           8
        .value_kind:     hidden_global_offset_y
      - .offset:         264
        .size:           8
        .value_kind:     hidden_global_offset_z
      - .offset:         272
        .size:           2
        .value_kind:     hidden_grid_dims
    .group_segment_fixed_size: 22592
    .kernarg_segment_align: 8
    .kernarg_segment_size: 464
    .language:       OpenCL C
    .language_version:
      - 2
      - 0
    .max_flat_workgroup_size: 256
    .name:           _ZL15flash_attn_tileILi112ELi112ELi8ELi8ELb0EEvPKcS1_S1_S1_S1_PKiPfP15HIP_vector_typeIfLj2EEffffjfiS5_IjLj3EEiiiiiiiiiiiliiliiiiil
    .private_segment_fixed_size: 308
    .sgpr_count:     88
    .sgpr_spill_count: 0
    .symbol:         _ZL15flash_attn_tileILi112ELi112ELi8ELi8ELb0EEvPKcS1_S1_S1_S1_PKiPfP15HIP_vector_typeIfLj2EEffffjfiS5_IjLj3EEiiiiiiiiiiiliiliiiiil.kd
    .uniform_work_group_size: 1
    .uses_dynamic_stack: false
    .vgpr_count:     128
    .vgpr_spill_count: 91
    .wavefront_size: 64
  - .args:
      - .actual_access:  read_only
        .address_space:  global
        .offset:         0
        .size:           8
        .value_kind:     global_buffer
      - .actual_access:  write_only
        .address_space:  global
        .offset:         8
        .size:           8
        .value_kind:     global_buffer
      - .offset:         16
        .size:           4
        .value_kind:     by_value
      - .offset:         20
        .size:           4
        .value_kind:     by_value
      - .offset:         24
        .size:           4
        .value_kind:     by_value
      - .offset:         32
        .size:           4
        .value_kind:     hidden_block_count_x
      - .offset:         36
        .size:           4
        .value_kind:     hidden_block_count_y
      - .offset:         40
        .size:           4
        .value_kind:     hidden_block_count_z
      - .offset:         44
        .size:           2
        .value_kind:     hidden_group_size_x
      - .offset:         46
        .size:           2
        .value_kind:     hidden_group_size_y
      - .offset:         48
        .size:           2
        .value_kind:     hidden_group_size_z
      - .offset:         50
        .size:           2
        .value_kind:     hidden_remainder_x
      - .offset:         52
        .size:           2
        .value_kind:     hidden_remainder_y
      - .offset:         54
        .size:           2
        .value_kind:     hidden_remainder_z
      - .offset:         72
        .size:           8
        .value_kind:     hidden_global_offset_x
      - .offset:         80
        .size:           8
        .value_kind:     hidden_global_offset_y
      - .offset:         88
        .size:           8
        .value_kind:     hidden_global_offset_z
      - .offset:         96
        .size:           2
        .value_kind:     hidden_grid_dims
    .group_segment_fixed_size: 128
    .kernarg_segment_align: 8
    .kernarg_segment_size: 288
    .language:       OpenCL C
    .language_version:
      - 2
      - 0
    .max_flat_workgroup_size: 128
    .name:           _ZL25flash_attn_mask_to_KV_maxILi8EEvPK7__half2Piiii
    .private_segment_fixed_size: 0
    .sgpr_count:     50
    .sgpr_spill_count: 0
    .symbol:         _ZL25flash_attn_mask_to_KV_maxILi8EEvPK7__half2Piiii.kd
    .uniform_work_group_size: 1
    .uses_dynamic_stack: false
    .vgpr_count:     12
    .vgpr_spill_count: 0
    .wavefront_size: 64
  - .args:
      - .address_space:  global
        .offset:         0
        .size:           8
        .value_kind:     global_buffer
      - .address_space:  global
        .offset:         8
        .size:           8
        .value_kind:     global_buffer
      - .offset:         16
        .size:           4
        .value_kind:     by_value
      - .offset:         20
        .size:           4
        .value_kind:     by_value
      - .offset:         24
        .size:           4
        .value_kind:     by_value
      - .offset:         28
        .size:           4
        .value_kind:     by_value
      - .offset:         32
        .size:           4
        .value_kind:     by_value
      - .offset:         36
        .size:           4
        .value_kind:     by_value
      - .offset:         40
        .size:           12
        .value_kind:     by_value
      - .offset:         52
        .size:           12
        .value_kind:     by_value
      - .offset:         64
        .size:           12
        .value_kind:     by_value
    .group_segment_fixed_size: 0
    .kernarg_segment_align: 8
    .kernarg_segment_size: 76
    .language:       OpenCL C
    .language_version:
      - 2
      - 0
    .max_flat_workgroup_size: 112
    .name:           _ZL33flash_attn_stream_k_fixup_uniformILi112ELi8ELi8EEvPfPK15HIP_vector_typeIfLj2EEiiiiiiS1_IjLj3EES5_S5_
    .private_segment_fixed_size: 0
    .sgpr_count:     24
    .sgpr_spill_count: 0
    .symbol:         _ZL33flash_attn_stream_k_fixup_uniformILi112ELi8ELi8EEvPfPK15HIP_vector_typeIfLj2EEiiiiiiS1_IjLj3EES5_S5_.kd
    .uniform_work_group_size: 1
    .uses_dynamic_stack: false
    .vgpr_count:     17
    .vgpr_spill_count: 0
    .wavefront_size: 64
  - .args:
      - .address_space:  global
        .offset:         0
        .size:           8
        .value_kind:     global_buffer
      - .address_space:  global
        .offset:         8
        .size:           8
        .value_kind:     global_buffer
      - .offset:         16
        .size:           4
        .value_kind:     by_value
      - .offset:         20
        .size:           4
        .value_kind:     by_value
      - .offset:         24
        .size:           4
        .value_kind:     by_value
      - .offset:         28
        .size:           4
        .value_kind:     by_value
      - .offset:         32
        .size:           12
        .value_kind:     by_value
      - .offset:         44
        .size:           12
        .value_kind:     by_value
      - .offset:         56
        .size:           12
        .value_kind:     by_value
      - .offset:         68
        .size:           12
        .value_kind:     by_value
      - .offset:         80
        .size:           4
        .value_kind:     hidden_block_count_x
      - .offset:         84
        .size:           4
        .value_kind:     hidden_block_count_y
      - .offset:         88
        .size:           4
        .value_kind:     hidden_block_count_z
      - .offset:         92
        .size:           2
        .value_kind:     hidden_group_size_x
      - .offset:         94
        .size:           2
        .value_kind:     hidden_group_size_y
      - .offset:         96
        .size:           2
        .value_kind:     hidden_group_size_z
      - .offset:         98
        .size:           2
        .value_kind:     hidden_remainder_x
      - .offset:         100
        .size:           2
        .value_kind:     hidden_remainder_y
      - .offset:         102
        .size:           2
        .value_kind:     hidden_remainder_z
      - .offset:         120
        .size:           8
        .value_kind:     hidden_global_offset_x
      - .offset:         128
        .size:           8
        .value_kind:     hidden_global_offset_y
      - .offset:         136
        .size:           8
        .value_kind:     hidden_global_offset_z
      - .offset:         144
        .size:           2
        .value_kind:     hidden_grid_dims
    .group_segment_fixed_size: 0
    .kernarg_segment_align: 8
    .kernarg_segment_size: 336
    .language:       OpenCL C
    .language_version:
      - 2
      - 0
    .max_flat_workgroup_size: 112
    .name:           _ZL33flash_attn_stream_k_fixup_generalILi112ELi8ELi8EEvPfPK15HIP_vector_typeIfLj2EEiiiiS1_IjLj3EES5_S5_S5_
    .private_segment_fixed_size: 0
    .sgpr_count:     40
    .sgpr_spill_count: 0
    .symbol:         _ZL33flash_attn_stream_k_fixup_generalILi112ELi8ELi8EEvPfPK15HIP_vector_typeIfLj2EEiiiiS1_IjLj3EES5_S5_S5_.kd
    .uniform_work_group_size: 1
    .uses_dynamic_stack: false
    .vgpr_count:     18
    .vgpr_spill_count: 0
    .wavefront_size: 64
  - .args:
      - .address_space:  global
        .offset:         0
        .size:           8
        .value_kind:     global_buffer
      - .address_space:  global
        .offset:         8
        .size:           8
        .value_kind:     global_buffer
      - .address_space:  global
        .offset:         16
        .size:           8
        .value_kind:     global_buffer
      - .offset:         24
        .size:           4
        .value_kind:     by_value
      - .offset:         32
        .size:           4
        .value_kind:     hidden_block_count_x
      - .offset:         36
        .size:           4
        .value_kind:     hidden_block_count_y
      - .offset:         40
        .size:           4
        .value_kind:     hidden_block_count_z
      - .offset:         44
        .size:           2
        .value_kind:     hidden_group_size_x
      - .offset:         46
        .size:           2
        .value_kind:     hidden_group_size_y
      - .offset:         48
        .size:           2
        .value_kind:     hidden_group_size_z
      - .offset:         50
        .size:           2
        .value_kind:     hidden_remainder_x
      - .offset:         52
        .size:           2
        .value_kind:     hidden_remainder_y
      - .offset:         54
        .size:           2
        .value_kind:     hidden_remainder_z
      - .offset:         72
        .size:           8
        .value_kind:     hidden_global_offset_x
      - .offset:         80
        .size:           8
        .value_kind:     hidden_global_offset_y
      - .offset:         88
        .size:           8
        .value_kind:     hidden_global_offset_z
      - .offset:         96
        .size:           2
        .value_kind:     hidden_grid_dims
      - .offset:         152
        .size:           4
        .value_kind:     hidden_dynamic_lds_size
    .group_segment_fixed_size: 0
    .kernarg_segment_align: 8
    .kernarg_segment_size: 288
    .language:       OpenCL C
    .language_version:
      - 2
      - 0
    .max_flat_workgroup_size: 112
    .name:           _ZL26flash_attn_combine_resultsILi112EEvPKfPK15HIP_vector_typeIfLj2EEPfi
    .private_segment_fixed_size: 0
    .sgpr_count:     20
    .sgpr_spill_count: 0
    .symbol:         _ZL26flash_attn_combine_resultsILi112EEvPKfPK15HIP_vector_typeIfLj2EEPfi.kd
    .uniform_work_group_size: 1
    .uses_dynamic_stack: false
    .vgpr_count:     17
    .vgpr_spill_count: 0
    .wavefront_size: 64
  - .args:
      - .address_space:  global
        .offset:         0
        .size:           8
        .value_kind:     global_buffer
      - .address_space:  global
        .offset:         8
        .size:           8
        .value_kind:     global_buffer
      - .address_space:  global
        .offset:         16
        .size:           8
        .value_kind:     global_buffer
      - .address_space:  global
        .offset:         24
        .size:           8
        .value_kind:     global_buffer
      - .address_space:  global
        .offset:         32
        .size:           8
        .value_kind:     global_buffer
      - .address_space:  global
        .offset:         40
        .size:           8
        .value_kind:     global_buffer
      - .address_space:  global
        .offset:         48
        .size:           8
        .value_kind:     global_buffer
      - .address_space:  global
        .offset:         56
        .size:           8
        .value_kind:     global_buffer
      - .offset:         64
        .size:           4
        .value_kind:     by_value
      - .offset:         68
        .size:           4
        .value_kind:     by_value
      - .offset:         72
        .size:           4
        .value_kind:     by_value
      - .offset:         76
        .size:           4
        .value_kind:     by_value
      - .offset:         80
        .size:           4
        .value_kind:     by_value
      - .offset:         84
        .size:           4
        .value_kind:     by_value
      - .offset:         88
        .size:           4
        .value_kind:     by_value
      - .offset:         92
        .size:           12
        .value_kind:     by_value
      - .offset:         104
        .size:           4
        .value_kind:     by_value
      - .offset:         108
        .size:           4
        .value_kind:     by_value
      - .offset:         112
        .size:           4
        .value_kind:     by_value
      - .offset:         116
        .size:           4
        .value_kind:     by_value
      - .offset:         120
        .size:           4
        .value_kind:     by_value
      - .offset:         124
        .size:           4
        .value_kind:     by_value
      - .offset:         128
        .size:           4
        .value_kind:     by_value
      - .offset:         132
        .size:           4
        .value_kind:     by_value
      - .offset:         136
        .size:           4
        .value_kind:     by_value
      - .offset:         140
        .size:           4
        .value_kind:     by_value
      - .offset:         144
        .size:           4
        .value_kind:     by_value
      - .offset:         152
        .size:           8
        .value_kind:     by_value
      - .offset:         160
        .size:           4
        .value_kind:     by_value
      - .offset:         164
        .size:           4
        .value_kind:     by_value
      - .offset:         168
        .size:           8
        .value_kind:     by_value
      - .offset:         176
        .size:           4
        .value_kind:     by_value
      - .offset:         180
        .size:           4
        .value_kind:     by_value
      - .offset:         184
        .size:           4
        .value_kind:     by_value
      - .offset:         188
        .size:           4
        .value_kind:     by_value
      - .offset:         192
        .size:           4
        .value_kind:     by_value
      - .offset:         200
        .size:           8
        .value_kind:     by_value
      - .offset:         208
        .size:           4
        .value_kind:     hidden_block_count_x
      - .offset:         212
        .size:           4
        .value_kind:     hidden_block_count_y
      - .offset:         216
        .size:           4
        .value_kind:     hidden_block_count_z
      - .offset:         220
        .size:           2
        .value_kind:     hidden_group_size_x
      - .offset:         222
        .size:           2
        .value_kind:     hidden_group_size_y
      - .offset:         224
        .size:           2
        .value_kind:     hidden_group_size_z
      - .offset:         226
        .size:           2
        .value_kind:     hidden_remainder_x
      - .offset:         228
        .size:           2
        .value_kind:     hidden_remainder_y
      - .offset:         230
        .size:           2
        .value_kind:     hidden_remainder_z
      - .offset:         248
        .size:           8
        .value_kind:     hidden_global_offset_x
      - .offset:         256
        .size:           8
        .value_kind:     hidden_global_offset_y
      - .offset:         264
        .size:           8
        .value_kind:     hidden_global_offset_z
      - .offset:         272
        .size:           2
        .value_kind:     hidden_grid_dims
    .group_segment_fixed_size: 13376
    .kernarg_segment_align: 8
    .kernarg_segment_size: 464
    .language:       OpenCL C
    .language_version:
      - 2
      - 0
    .max_flat_workgroup_size: 256
    .name:           _ZL15flash_attn_tileILi112ELi112ELi4ELi8ELb0EEvPKcS1_S1_S1_S1_PKiPfP15HIP_vector_typeIfLj2EEffffjfiS5_IjLj3EEiiiiiiiiiiiliiliiiiil
    .private_segment_fixed_size: 132
    .sgpr_count:     72
    .sgpr_spill_count: 0
    .symbol:         _ZL15flash_attn_tileILi112ELi112ELi4ELi8ELb0EEvPKcS1_S1_S1_S1_PKiPfP15HIP_vector_typeIfLj2EEffffjfiS5_IjLj3EEiiiiiiiiiiiliiliiiiil.kd
    .uniform_work_group_size: 1
    .uses_dynamic_stack: false
    .vgpr_count:     128
    .vgpr_spill_count: 34
    .wavefront_size: 64
  - .args:
      - .actual_access:  read_only
        .address_space:  global
        .offset:         0
        .size:           8
        .value_kind:     global_buffer
      - .actual_access:  write_only
        .address_space:  global
        .offset:         8
        .size:           8
        .value_kind:     global_buffer
      - .offset:         16
        .size:           4
        .value_kind:     by_value
      - .offset:         20
        .size:           4
        .value_kind:     by_value
      - .offset:         24
        .size:           4
        .value_kind:     by_value
      - .offset:         32
        .size:           4
        .value_kind:     hidden_block_count_x
      - .offset:         36
        .size:           4
        .value_kind:     hidden_block_count_y
      - .offset:         40
        .size:           4
        .value_kind:     hidden_block_count_z
      - .offset:         44
        .size:           2
        .value_kind:     hidden_group_size_x
      - .offset:         46
        .size:           2
        .value_kind:     hidden_group_size_y
      - .offset:         48
        .size:           2
        .value_kind:     hidden_group_size_z
      - .offset:         50
        .size:           2
        .value_kind:     hidden_remainder_x
      - .offset:         52
        .size:           2
        .value_kind:     hidden_remainder_y
      - .offset:         54
        .size:           2
        .value_kind:     hidden_remainder_z
      - .offset:         72
        .size:           8
        .value_kind:     hidden_global_offset_x
      - .offset:         80
        .size:           8
        .value_kind:     hidden_global_offset_y
      - .offset:         88
        .size:           8
        .value_kind:     hidden_global_offset_z
      - .offset:         96
        .size:           2
        .value_kind:     hidden_grid_dims
    .group_segment_fixed_size: 128
    .kernarg_segment_align: 8
    .kernarg_segment_size: 288
    .language:       OpenCL C
    .language_version:
      - 2
      - 0
    .max_flat_workgroup_size: 128
    .name:           _ZL25flash_attn_mask_to_KV_maxILi4EEvPK7__half2Piiii
    .private_segment_fixed_size: 0
    .sgpr_count:     34
    .sgpr_spill_count: 0
    .symbol:         _ZL25flash_attn_mask_to_KV_maxILi4EEvPK7__half2Piiii.kd
    .uniform_work_group_size: 1
    .uses_dynamic_stack: false
    .vgpr_count:     12
    .vgpr_spill_count: 0
    .wavefront_size: 64
  - .args:
      - .address_space:  global
        .offset:         0
        .size:           8
        .value_kind:     global_buffer
      - .address_space:  global
        .offset:         8
        .size:           8
        .value_kind:     global_buffer
      - .offset:         16
        .size:           4
        .value_kind:     by_value
      - .offset:         20
        .size:           4
        .value_kind:     by_value
      - .offset:         24
        .size:           4
        .value_kind:     by_value
      - .offset:         28
        .size:           4
        .value_kind:     by_value
      - .offset:         32
        .size:           4
        .value_kind:     by_value
      - .offset:         36
        .size:           4
        .value_kind:     by_value
      - .offset:         40
        .size:           12
        .value_kind:     by_value
      - .offset:         52
        .size:           12
        .value_kind:     by_value
      - .offset:         64
        .size:           12
        .value_kind:     by_value
    .group_segment_fixed_size: 0
    .kernarg_segment_align: 8
    .kernarg_segment_size: 76
    .language:       OpenCL C
    .language_version:
      - 2
      - 0
    .max_flat_workgroup_size: 112
    .name:           _ZL33flash_attn_stream_k_fixup_uniformILi112ELi4ELi8EEvPfPK15HIP_vector_typeIfLj2EEiiiiiiS1_IjLj3EES5_S5_
    .private_segment_fixed_size: 0
    .sgpr_count:     24
    .sgpr_spill_count: 0
    .symbol:         _ZL33flash_attn_stream_k_fixup_uniformILi112ELi4ELi8EEvPfPK15HIP_vector_typeIfLj2EEiiiiiiS1_IjLj3EES5_S5_.kd
    .uniform_work_group_size: 1
    .uses_dynamic_stack: false
    .vgpr_count:     17
    .vgpr_spill_count: 0
    .wavefront_size: 64
  - .args:
      - .address_space:  global
        .offset:         0
        .size:           8
        .value_kind:     global_buffer
      - .address_space:  global
        .offset:         8
        .size:           8
        .value_kind:     global_buffer
      - .offset:         16
        .size:           4
        .value_kind:     by_value
      - .offset:         20
        .size:           4
        .value_kind:     by_value
      - .offset:         24
        .size:           4
        .value_kind:     by_value
      - .offset:         28
        .size:           4
        .value_kind:     by_value
      - .offset:         32
        .size:           12
        .value_kind:     by_value
      - .offset:         44
        .size:           12
        .value_kind:     by_value
      - .offset:         56
        .size:           12
        .value_kind:     by_value
      - .offset:         68
        .size:           12
        .value_kind:     by_value
      - .offset:         80
        .size:           4
        .value_kind:     hidden_block_count_x
      - .offset:         84
        .size:           4
        .value_kind:     hidden_block_count_y
      - .offset:         88
        .size:           4
        .value_kind:     hidden_block_count_z
      - .offset:         92
        .size:           2
        .value_kind:     hidden_group_size_x
      - .offset:         94
        .size:           2
        .value_kind:     hidden_group_size_y
      - .offset:         96
        .size:           2
        .value_kind:     hidden_group_size_z
      - .offset:         98
        .size:           2
        .value_kind:     hidden_remainder_x
      - .offset:         100
        .size:           2
        .value_kind:     hidden_remainder_y
      - .offset:         102
        .size:           2
        .value_kind:     hidden_remainder_z
      - .offset:         120
        .size:           8
        .value_kind:     hidden_global_offset_x
      - .offset:         128
        .size:           8
        .value_kind:     hidden_global_offset_y
      - .offset:         136
        .size:           8
        .value_kind:     hidden_global_offset_z
      - .offset:         144
        .size:           2
        .value_kind:     hidden_grid_dims
    .group_segment_fixed_size: 0
    .kernarg_segment_align: 8
    .kernarg_segment_size: 336
    .language:       OpenCL C
    .language_version:
      - 2
      - 0
    .max_flat_workgroup_size: 112
    .name:           _ZL33flash_attn_stream_k_fixup_generalILi112ELi4ELi8EEvPfPK15HIP_vector_typeIfLj2EEiiiiS1_IjLj3EES5_S5_S5_
    .private_segment_fixed_size: 0
    .sgpr_count:     40
    .sgpr_spill_count: 0
    .symbol:         _ZL33flash_attn_stream_k_fixup_generalILi112ELi4ELi8EEvPfPK15HIP_vector_typeIfLj2EEiiiiS1_IjLj3EES5_S5_S5_.kd
    .uniform_work_group_size: 1
    .uses_dynamic_stack: false
    .vgpr_count:     18
    .vgpr_spill_count: 0
    .wavefront_size: 64
  - .args:
      - .address_space:  global
        .offset:         0
        .size:           8
        .value_kind:     global_buffer
      - .address_space:  global
        .offset:         8
        .size:           8
        .value_kind:     global_buffer
      - .address_space:  global
        .offset:         16
        .size:           8
        .value_kind:     global_buffer
      - .address_space:  global
        .offset:         24
        .size:           8
        .value_kind:     global_buffer
      - .address_space:  global
        .offset:         32
        .size:           8
        .value_kind:     global_buffer
      - .address_space:  global
        .offset:         40
        .size:           8
        .value_kind:     global_buffer
      - .address_space:  global
        .offset:         48
        .size:           8
        .value_kind:     global_buffer
      - .address_space:  global
        .offset:         56
        .size:           8
        .value_kind:     global_buffer
      - .offset:         64
        .size:           4
        .value_kind:     by_value
      - .offset:         68
        .size:           4
        .value_kind:     by_value
      - .offset:         72
        .size:           4
        .value_kind:     by_value
      - .offset:         76
        .size:           4
        .value_kind:     by_value
      - .offset:         80
        .size:           4
        .value_kind:     by_value
      - .offset:         84
        .size:           4
        .value_kind:     by_value
      - .offset:         88
        .size:           4
        .value_kind:     by_value
      - .offset:         92
        .size:           12
        .value_kind:     by_value
      - .offset:         104
        .size:           4
        .value_kind:     by_value
      - .offset:         108
        .size:           4
        .value_kind:     by_value
      - .offset:         112
        .size:           4
        .value_kind:     by_value
      - .offset:         116
        .size:           4
        .value_kind:     by_value
      - .offset:         120
        .size:           4
        .value_kind:     by_value
      - .offset:         124
        .size:           4
        .value_kind:     by_value
      - .offset:         128
        .size:           4
        .value_kind:     by_value
      - .offset:         132
        .size:           4
        .value_kind:     by_value
      - .offset:         136
        .size:           4
        .value_kind:     by_value
      - .offset:         140
        .size:           4
        .value_kind:     by_value
      - .offset:         144
        .size:           4
        .value_kind:     by_value
      - .offset:         152
        .size:           8
        .value_kind:     by_value
      - .offset:         160
        .size:           4
        .value_kind:     by_value
      - .offset:         164
        .size:           4
        .value_kind:     by_value
      - .offset:         168
        .size:           8
        .value_kind:     by_value
      - .offset:         176
        .size:           4
        .value_kind:     by_value
      - .offset:         180
        .size:           4
        .value_kind:     by_value
      - .offset:         184
        .size:           4
        .value_kind:     by_value
      - .offset:         188
        .size:           4
        .value_kind:     by_value
      - .offset:         192
        .size:           4
        .value_kind:     by_value
      - .offset:         200
        .size:           8
        .value_kind:     by_value
      - .offset:         208
        .size:           4
        .value_kind:     hidden_block_count_x
      - .offset:         212
        .size:           4
        .value_kind:     hidden_block_count_y
      - .offset:         216
        .size:           4
        .value_kind:     hidden_block_count_z
      - .offset:         220
        .size:           2
        .value_kind:     hidden_group_size_x
      - .offset:         222
        .size:           2
        .value_kind:     hidden_group_size_y
      - .offset:         224
        .size:           2
        .value_kind:     hidden_group_size_z
      - .offset:         226
        .size:           2
        .value_kind:     hidden_remainder_x
      - .offset:         228
        .size:           2
        .value_kind:     hidden_remainder_y
      - .offset:         230
        .size:           2
        .value_kind:     hidden_remainder_z
      - .offset:         248
        .size:           8
        .value_kind:     hidden_global_offset_x
      - .offset:         256
        .size:           8
        .value_kind:     hidden_global_offset_y
      - .offset:         264
        .size:           8
        .value_kind:     hidden_global_offset_z
      - .offset:         272
        .size:           2
        .value_kind:     hidden_grid_dims
    .group_segment_fixed_size: 8768
    .kernarg_segment_align: 8
    .kernarg_segment_size: 464
    .language:       OpenCL C
    .language_version:
      - 2
      - 0
    .max_flat_workgroup_size: 256
    .name:           _ZL15flash_attn_tileILi112ELi112ELi2ELi8ELb0EEvPKcS1_S1_S1_S1_PKiPfP15HIP_vector_typeIfLj2EEffffjfiS5_IjLj3EEiiiiiiiiiiiliiliiiiil
    .private_segment_fixed_size: 0
    .sgpr_count:     60
    .sgpr_spill_count: 0
    .symbol:         _ZL15flash_attn_tileILi112ELi112ELi2ELi8ELb0EEvPKcS1_S1_S1_S1_PKiPfP15HIP_vector_typeIfLj2EEffffjfiS5_IjLj3EEiiiiiiiiiiiliiliiiiil.kd
    .uniform_work_group_size: 1
    .uses_dynamic_stack: false
    .vgpr_count:     114
    .vgpr_spill_count: 0
    .wavefront_size: 64
  - .args:
      - .actual_access:  read_only
        .address_space:  global
        .offset:         0
        .size:           8
        .value_kind:     global_buffer
      - .actual_access:  write_only
        .address_space:  global
        .offset:         8
        .size:           8
        .value_kind:     global_buffer
      - .offset:         16
        .size:           4
        .value_kind:     by_value
      - .offset:         20
        .size:           4
        .value_kind:     by_value
      - .offset:         24
        .size:           4
        .value_kind:     by_value
      - .offset:         32
        .size:           4
        .value_kind:     hidden_block_count_x
      - .offset:         36
        .size:           4
        .value_kind:     hidden_block_count_y
      - .offset:         40
        .size:           4
        .value_kind:     hidden_block_count_z
      - .offset:         44
        .size:           2
        .value_kind:     hidden_group_size_x
      - .offset:         46
        .size:           2
        .value_kind:     hidden_group_size_y
      - .offset:         48
        .size:           2
        .value_kind:     hidden_group_size_z
      - .offset:         50
        .size:           2
        .value_kind:     hidden_remainder_x
      - .offset:         52
        .size:           2
        .value_kind:     hidden_remainder_y
      - .offset:         54
        .size:           2
        .value_kind:     hidden_remainder_z
      - .offset:         72
        .size:           8
        .value_kind:     hidden_global_offset_x
      - .offset:         80
        .size:           8
        .value_kind:     hidden_global_offset_y
      - .offset:         88
        .size:           8
        .value_kind:     hidden_global_offset_z
      - .offset:         96
        .size:           2
        .value_kind:     hidden_grid_dims
    .group_segment_fixed_size: 128
    .kernarg_segment_align: 8
    .kernarg_segment_size: 288
    .language:       OpenCL C
    .language_version:
      - 2
      - 0
    .max_flat_workgroup_size: 128
    .name:           _ZL25flash_attn_mask_to_KV_maxILi2EEvPK7__half2Piiii
    .private_segment_fixed_size: 0
    .sgpr_count:     26
    .sgpr_spill_count: 0
    .symbol:         _ZL25flash_attn_mask_to_KV_maxILi2EEvPK7__half2Piiii.kd
    .uniform_work_group_size: 1
    .uses_dynamic_stack: false
    .vgpr_count:     17
    .vgpr_spill_count: 0
    .wavefront_size: 64
  - .args:
      - .address_space:  global
        .offset:         0
        .size:           8
        .value_kind:     global_buffer
      - .address_space:  global
        .offset:         8
        .size:           8
        .value_kind:     global_buffer
      - .offset:         16
        .size:           4
        .value_kind:     by_value
      - .offset:         20
        .size:           4
        .value_kind:     by_value
      - .offset:         24
        .size:           4
        .value_kind:     by_value
      - .offset:         28
        .size:           4
        .value_kind:     by_value
      - .offset:         32
        .size:           4
        .value_kind:     by_value
      - .offset:         36
        .size:           4
        .value_kind:     by_value
      - .offset:         40
        .size:           12
        .value_kind:     by_value
      - .offset:         52
        .size:           12
        .value_kind:     by_value
      - .offset:         64
        .size:           12
        .value_kind:     by_value
    .group_segment_fixed_size: 0
    .kernarg_segment_align: 8
    .kernarg_segment_size: 76
    .language:       OpenCL C
    .language_version:
      - 2
      - 0
    .max_flat_workgroup_size: 112
    .name:           _ZL33flash_attn_stream_k_fixup_uniformILi112ELi2ELi8EEvPfPK15HIP_vector_typeIfLj2EEiiiiiiS1_IjLj3EES5_S5_
    .private_segment_fixed_size: 0
    .sgpr_count:     24
    .sgpr_spill_count: 0
    .symbol:         _ZL33flash_attn_stream_k_fixup_uniformILi112ELi2ELi8EEvPfPK15HIP_vector_typeIfLj2EEiiiiiiS1_IjLj3EES5_S5_.kd
    .uniform_work_group_size: 1
    .uses_dynamic_stack: false
    .vgpr_count:     17
    .vgpr_spill_count: 0
    .wavefront_size: 64
  - .args:
      - .address_space:  global
        .offset:         0
        .size:           8
        .value_kind:     global_buffer
      - .address_space:  global
        .offset:         8
        .size:           8
        .value_kind:     global_buffer
      - .offset:         16
        .size:           4
        .value_kind:     by_value
      - .offset:         20
        .size:           4
        .value_kind:     by_value
      - .offset:         24
        .size:           4
        .value_kind:     by_value
      - .offset:         28
        .size:           4
        .value_kind:     by_value
      - .offset:         32
        .size:           12
        .value_kind:     by_value
      - .offset:         44
        .size:           12
        .value_kind:     by_value
      - .offset:         56
        .size:           12
        .value_kind:     by_value
      - .offset:         68
        .size:           12
        .value_kind:     by_value
      - .offset:         80
        .size:           4
        .value_kind:     hidden_block_count_x
      - .offset:         84
        .size:           4
        .value_kind:     hidden_block_count_y
      - .offset:         88
        .size:           4
        .value_kind:     hidden_block_count_z
      - .offset:         92
        .size:           2
        .value_kind:     hidden_group_size_x
      - .offset:         94
        .size:           2
        .value_kind:     hidden_group_size_y
      - .offset:         96
        .size:           2
        .value_kind:     hidden_group_size_z
      - .offset:         98
        .size:           2
        .value_kind:     hidden_remainder_x
      - .offset:         100
        .size:           2
        .value_kind:     hidden_remainder_y
      - .offset:         102
        .size:           2
        .value_kind:     hidden_remainder_z
      - .offset:         120
        .size:           8
        .value_kind:     hidden_global_offset_x
      - .offset:         128
        .size:           8
        .value_kind:     hidden_global_offset_y
      - .offset:         136
        .size:           8
        .value_kind:     hidden_global_offset_z
      - .offset:         144
        .size:           2
        .value_kind:     hidden_grid_dims
    .group_segment_fixed_size: 0
    .kernarg_segment_align: 8
    .kernarg_segment_size: 336
    .language:       OpenCL C
    .language_version:
      - 2
      - 0
    .max_flat_workgroup_size: 112
    .name:           _ZL33flash_attn_stream_k_fixup_generalILi112ELi2ELi8EEvPfPK15HIP_vector_typeIfLj2EEiiiiS1_IjLj3EES5_S5_S5_
    .private_segment_fixed_size: 0
    .sgpr_count:     40
    .sgpr_spill_count: 0
    .symbol:         _ZL33flash_attn_stream_k_fixup_generalILi112ELi2ELi8EEvPfPK15HIP_vector_typeIfLj2EEiiiiS1_IjLj3EES5_S5_S5_.kd
    .uniform_work_group_size: 1
    .uses_dynamic_stack: false
    .vgpr_count:     18
    .vgpr_spill_count: 0
    .wavefront_size: 64
  - .args:
      - .address_space:  global
        .offset:         0
        .size:           8
        .value_kind:     global_buffer
      - .address_space:  global
        .offset:         8
        .size:           8
        .value_kind:     global_buffer
      - .address_space:  global
        .offset:         16
        .size:           8
        .value_kind:     global_buffer
      - .address_space:  global
        .offset:         24
        .size:           8
        .value_kind:     global_buffer
      - .address_space:  global
        .offset:         32
        .size:           8
        .value_kind:     global_buffer
      - .address_space:  global
        .offset:         40
        .size:           8
        .value_kind:     global_buffer
      - .address_space:  global
        .offset:         48
        .size:           8
        .value_kind:     global_buffer
      - .address_space:  global
        .offset:         56
        .size:           8
        .value_kind:     global_buffer
      - .offset:         64
        .size:           4
        .value_kind:     by_value
      - .offset:         68
        .size:           4
        .value_kind:     by_value
      - .offset:         72
        .size:           4
        .value_kind:     by_value
      - .offset:         76
        .size:           4
        .value_kind:     by_value
      - .offset:         80
        .size:           4
        .value_kind:     by_value
      - .offset:         84
        .size:           4
        .value_kind:     by_value
      - .offset:         88
        .size:           4
        .value_kind:     by_value
      - .offset:         92
        .size:           12
        .value_kind:     by_value
      - .offset:         104
        .size:           4
        .value_kind:     by_value
      - .offset:         108
        .size:           4
        .value_kind:     by_value
      - .offset:         112
        .size:           4
        .value_kind:     by_value
      - .offset:         116
        .size:           4
        .value_kind:     by_value
      - .offset:         120
        .size:           4
        .value_kind:     by_value
      - .offset:         124
        .size:           4
        .value_kind:     by_value
      - .offset:         128
        .size:           4
        .value_kind:     by_value
      - .offset:         132
        .size:           4
        .value_kind:     by_value
      - .offset:         136
        .size:           4
        .value_kind:     by_value
      - .offset:         140
        .size:           4
        .value_kind:     by_value
      - .offset:         144
        .size:           4
        .value_kind:     by_value
      - .offset:         152
        .size:           8
        .value_kind:     by_value
      - .offset:         160
        .size:           4
        .value_kind:     by_value
      - .offset:         164
        .size:           4
        .value_kind:     by_value
      - .offset:         168
        .size:           8
        .value_kind:     by_value
      - .offset:         176
        .size:           4
        .value_kind:     by_value
      - .offset:         180
        .size:           4
        .value_kind:     by_value
      - .offset:         184
        .size:           4
        .value_kind:     by_value
      - .offset:         188
        .size:           4
        .value_kind:     by_value
      - .offset:         192
        .size:           4
        .value_kind:     by_value
      - .offset:         200
        .size:           8
        .value_kind:     by_value
      - .offset:         208
        .size:           4
        .value_kind:     hidden_block_count_x
      - .offset:         212
        .size:           4
        .value_kind:     hidden_block_count_y
      - .offset:         216
        .size:           4
        .value_kind:     hidden_block_count_z
      - .offset:         220
        .size:           2
        .value_kind:     hidden_group_size_x
      - .offset:         222
        .size:           2
        .value_kind:     hidden_group_size_y
      - .offset:         224
        .size:           2
        .value_kind:     hidden_group_size_z
      - .offset:         226
        .size:           2
        .value_kind:     hidden_remainder_x
      - .offset:         228
        .size:           2
        .value_kind:     hidden_remainder_y
      - .offset:         230
        .size:           2
        .value_kind:     hidden_remainder_z
      - .offset:         248
        .size:           8
        .value_kind:     hidden_global_offset_x
      - .offset:         256
        .size:           8
        .value_kind:     hidden_global_offset_y
      - .offset:         264
        .size:           8
        .value_kind:     hidden_global_offset_z
      - .offset:         272
        .size:           2
        .value_kind:     hidden_grid_dims
    .group_segment_fixed_size: 6464
    .kernarg_segment_align: 8
    .kernarg_segment_size: 464
    .language:       OpenCL C
    .language_version:
      - 2
      - 0
    .max_flat_workgroup_size: 256
    .name:           _ZL15flash_attn_tileILi112ELi112ELi1ELi8ELb0EEvPKcS1_S1_S1_S1_PKiPfP15HIP_vector_typeIfLj2EEffffjfiS5_IjLj3EEiiiiiiiiiiiliiliiiiil
    .private_segment_fixed_size: 0
    .sgpr_count:     57
    .sgpr_spill_count: 0
    .symbol:         _ZL15flash_attn_tileILi112ELi112ELi1ELi8ELb0EEvPKcS1_S1_S1_S1_PKiPfP15HIP_vector_typeIfLj2EEffffjfiS5_IjLj3EEiiiiiiiiiiiliiliiiiil.kd
    .uniform_work_group_size: 1
    .uses_dynamic_stack: false
    .vgpr_count:     94
    .vgpr_spill_count: 0
    .wavefront_size: 64
  - .args:
      - .actual_access:  read_only
        .address_space:  global
        .offset:         0
        .size:           8
        .value_kind:     global_buffer
      - .actual_access:  write_only
        .address_space:  global
        .offset:         8
        .size:           8
        .value_kind:     global_buffer
      - .offset:         16
        .size:           4
        .value_kind:     by_value
      - .offset:         20
        .size:           4
        .value_kind:     by_value
      - .offset:         24
        .size:           4
        .value_kind:     by_value
      - .offset:         32
        .size:           4
        .value_kind:     hidden_block_count_x
      - .offset:         36
        .size:           4
        .value_kind:     hidden_block_count_y
      - .offset:         40
        .size:           4
        .value_kind:     hidden_block_count_z
      - .offset:         44
        .size:           2
        .value_kind:     hidden_group_size_x
      - .offset:         46
        .size:           2
        .value_kind:     hidden_group_size_y
      - .offset:         48
        .size:           2
        .value_kind:     hidden_group_size_z
      - .offset:         50
        .size:           2
        .value_kind:     hidden_remainder_x
      - .offset:         52
        .size:           2
        .value_kind:     hidden_remainder_y
      - .offset:         54
        .size:           2
        .value_kind:     hidden_remainder_z
      - .offset:         72
        .size:           8
        .value_kind:     hidden_global_offset_x
      - .offset:         80
        .size:           8
        .value_kind:     hidden_global_offset_y
      - .offset:         88
        .size:           8
        .value_kind:     hidden_global_offset_z
      - .offset:         96
        .size:           2
        .value_kind:     hidden_grid_dims
    .group_segment_fixed_size: 128
    .kernarg_segment_align: 8
    .kernarg_segment_size: 288
    .language:       OpenCL C
    .language_version:
      - 2
      - 0
    .max_flat_workgroup_size: 128
    .name:           _ZL25flash_attn_mask_to_KV_maxILi1EEvPK7__half2Piiii
    .private_segment_fixed_size: 0
    .sgpr_count:     22
    .sgpr_spill_count: 0
    .symbol:         _ZL25flash_attn_mask_to_KV_maxILi1EEvPK7__half2Piiii.kd
    .uniform_work_group_size: 1
    .uses_dynamic_stack: false
    .vgpr_count:     17
    .vgpr_spill_count: 0
    .wavefront_size: 64
  - .args:
      - .address_space:  global
        .offset:         0
        .size:           8
        .value_kind:     global_buffer
      - .address_space:  global
        .offset:         8
        .size:           8
        .value_kind:     global_buffer
      - .offset:         16
        .size:           4
        .value_kind:     by_value
      - .offset:         20
        .size:           4
        .value_kind:     by_value
      - .offset:         24
        .size:           4
        .value_kind:     by_value
      - .offset:         28
        .size:           4
        .value_kind:     by_value
      - .offset:         32
        .size:           4
        .value_kind:     by_value
      - .offset:         36
        .size:           4
        .value_kind:     by_value
      - .offset:         40
        .size:           12
        .value_kind:     by_value
      - .offset:         52
        .size:           12
        .value_kind:     by_value
      - .offset:         64
        .size:           12
        .value_kind:     by_value
    .group_segment_fixed_size: 0
    .kernarg_segment_align: 8
    .kernarg_segment_size: 76
    .language:       OpenCL C
    .language_version:
      - 2
      - 0
    .max_flat_workgroup_size: 112
    .name:           _ZL33flash_attn_stream_k_fixup_uniformILi112ELi1ELi8EEvPfPK15HIP_vector_typeIfLj2EEiiiiiiS1_IjLj3EES5_S5_
    .private_segment_fixed_size: 0
    .sgpr_count:     24
    .sgpr_spill_count: 0
    .symbol:         _ZL33flash_attn_stream_k_fixup_uniformILi112ELi1ELi8EEvPfPK15HIP_vector_typeIfLj2EEiiiiiiS1_IjLj3EES5_S5_.kd
    .uniform_work_group_size: 1
    .uses_dynamic_stack: false
    .vgpr_count:     17
    .vgpr_spill_count: 0
    .wavefront_size: 64
  - .args:
      - .address_space:  global
        .offset:         0
        .size:           8
        .value_kind:     global_buffer
      - .address_space:  global
        .offset:         8
        .size:           8
        .value_kind:     global_buffer
      - .offset:         16
        .size:           4
        .value_kind:     by_value
      - .offset:         20
        .size:           4
        .value_kind:     by_value
      - .offset:         24
        .size:           4
        .value_kind:     by_value
      - .offset:         28
        .size:           4
        .value_kind:     by_value
      - .offset:         32
        .size:           12
        .value_kind:     by_value
      - .offset:         44
        .size:           12
        .value_kind:     by_value
      - .offset:         56
        .size:           12
        .value_kind:     by_value
      - .offset:         68
        .size:           12
        .value_kind:     by_value
      - .offset:         80
        .size:           4
        .value_kind:     hidden_block_count_x
      - .offset:         84
        .size:           4
        .value_kind:     hidden_block_count_y
      - .offset:         88
        .size:           4
        .value_kind:     hidden_block_count_z
      - .offset:         92
        .size:           2
        .value_kind:     hidden_group_size_x
      - .offset:         94
        .size:           2
        .value_kind:     hidden_group_size_y
      - .offset:         96
        .size:           2
        .value_kind:     hidden_group_size_z
      - .offset:         98
        .size:           2
        .value_kind:     hidden_remainder_x
      - .offset:         100
        .size:           2
        .value_kind:     hidden_remainder_y
      - .offset:         102
        .size:           2
        .value_kind:     hidden_remainder_z
      - .offset:         120
        .size:           8
        .value_kind:     hidden_global_offset_x
      - .offset:         128
        .size:           8
        .value_kind:     hidden_global_offset_y
      - .offset:         136
        .size:           8
        .value_kind:     hidden_global_offset_z
      - .offset:         144
        .size:           2
        .value_kind:     hidden_grid_dims
    .group_segment_fixed_size: 0
    .kernarg_segment_align: 8
    .kernarg_segment_size: 336
    .language:       OpenCL C
    .language_version:
      - 2
      - 0
    .max_flat_workgroup_size: 112
    .name:           _ZL33flash_attn_stream_k_fixup_generalILi112ELi1ELi8EEvPfPK15HIP_vector_typeIfLj2EEiiiiS1_IjLj3EES5_S5_S5_
    .private_segment_fixed_size: 0
    .sgpr_count:     41
    .sgpr_spill_count: 0
    .symbol:         _ZL33flash_attn_stream_k_fixup_generalILi112ELi1ELi8EEvPfPK15HIP_vector_typeIfLj2EEiiiiS1_IjLj3EES5_S5_S5_.kd
    .uniform_work_group_size: 1
    .uses_dynamic_stack: false
    .vgpr_count:     18
    .vgpr_spill_count: 0
    .wavefront_size: 64
  - .args:
      - .address_space:  global
        .offset:         0
        .size:           8
        .value_kind:     global_buffer
      - .address_space:  global
        .offset:         8
        .size:           8
        .value_kind:     global_buffer
      - .address_space:  global
        .offset:         16
        .size:           8
        .value_kind:     global_buffer
      - .address_space:  global
        .offset:         24
        .size:           8
        .value_kind:     global_buffer
      - .address_space:  global
        .offset:         32
        .size:           8
        .value_kind:     global_buffer
      - .address_space:  global
        .offset:         40
        .size:           8
        .value_kind:     global_buffer
      - .address_space:  global
        .offset:         48
        .size:           8
        .value_kind:     global_buffer
      - .address_space:  global
        .offset:         56
        .size:           8
        .value_kind:     global_buffer
      - .offset:         64
        .size:           4
        .value_kind:     by_value
      - .offset:         68
        .size:           4
        .value_kind:     by_value
      - .offset:         72
        .size:           4
        .value_kind:     by_value
      - .offset:         76
        .size:           4
        .value_kind:     by_value
      - .offset:         80
        .size:           4
        .value_kind:     by_value
      - .offset:         84
        .size:           4
        .value_kind:     by_value
      - .offset:         88
        .size:           4
        .value_kind:     by_value
      - .offset:         92
        .size:           12
        .value_kind:     by_value
      - .offset:         104
        .size:           4
        .value_kind:     by_value
      - .offset:         108
        .size:           4
        .value_kind:     by_value
      - .offset:         112
        .size:           4
        .value_kind:     by_value
      - .offset:         116
        .size:           4
        .value_kind:     by_value
      - .offset:         120
        .size:           4
        .value_kind:     by_value
      - .offset:         124
        .size:           4
        .value_kind:     by_value
      - .offset:         128
        .size:           4
        .value_kind:     by_value
      - .offset:         132
        .size:           4
        .value_kind:     by_value
      - .offset:         136
        .size:           4
        .value_kind:     by_value
      - .offset:         140
        .size:           4
        .value_kind:     by_value
      - .offset:         144
        .size:           4
        .value_kind:     by_value
      - .offset:         152
        .size:           8
        .value_kind:     by_value
      - .offset:         160
        .size:           4
        .value_kind:     by_value
      - .offset:         164
        .size:           4
        .value_kind:     by_value
      - .offset:         168
        .size:           8
        .value_kind:     by_value
      - .offset:         176
        .size:           4
        .value_kind:     by_value
      - .offset:         180
        .size:           4
        .value_kind:     by_value
      - .offset:         184
        .size:           4
        .value_kind:     by_value
      - .offset:         188
        .size:           4
        .value_kind:     by_value
      - .offset:         192
        .size:           4
        .value_kind:     by_value
      - .offset:         200
        .size:           8
        .value_kind:     by_value
      - .offset:         208
        .size:           4
        .value_kind:     hidden_block_count_x
      - .offset:         212
        .size:           4
        .value_kind:     hidden_block_count_y
      - .offset:         216
        .size:           4
        .value_kind:     hidden_block_count_z
      - .offset:         220
        .size:           2
        .value_kind:     hidden_group_size_x
      - .offset:         222
        .size:           2
        .value_kind:     hidden_group_size_y
      - .offset:         224
        .size:           2
        .value_kind:     hidden_group_size_z
      - .offset:         226
        .size:           2
        .value_kind:     hidden_remainder_x
      - .offset:         228
        .size:           2
        .value_kind:     hidden_remainder_y
      - .offset:         230
        .size:           2
        .value_kind:     hidden_remainder_z
      - .offset:         248
        .size:           8
        .value_kind:     hidden_global_offset_x
      - .offset:         256
        .size:           8
        .value_kind:     hidden_global_offset_y
      - .offset:         264
        .size:           8
        .value_kind:     hidden_global_offset_z
      - .offset:         272
        .size:           2
        .value_kind:     hidden_grid_dims
    .group_segment_fixed_size: 22592
    .kernarg_segment_align: 8
    .kernarg_segment_size: 464
    .language:       OpenCL C
    .language_version:
      - 2
      - 0
    .max_flat_workgroup_size: 256
    .name:           _ZL15flash_attn_tileILi112ELi112ELi16ELi4ELb0EEvPKcS1_S1_S1_S1_PKiPfP15HIP_vector_typeIfLj2EEffffjfiS5_IjLj3EEiiiiiiiiiiiliiliiiiil
    .private_segment_fixed_size: 332
    .sgpr_count:     92
    .sgpr_spill_count: 0
    .symbol:         _ZL15flash_attn_tileILi112ELi112ELi16ELi4ELb0EEvPKcS1_S1_S1_S1_PKiPfP15HIP_vector_typeIfLj2EEffffjfiS5_IjLj3EEiiiiiiiiiiiliiliiiiil.kd
    .uniform_work_group_size: 1
    .uses_dynamic_stack: false
    .vgpr_count:     128
    .vgpr_spill_count: 97
    .wavefront_size: 64
  - .args:
      - .actual_access:  read_only
        .address_space:  global
        .offset:         0
        .size:           8
        .value_kind:     global_buffer
      - .actual_access:  write_only
        .address_space:  global
        .offset:         8
        .size:           8
        .value_kind:     global_buffer
      - .offset:         16
        .size:           4
        .value_kind:     by_value
      - .offset:         20
        .size:           4
        .value_kind:     by_value
      - .offset:         24
        .size:           4
        .value_kind:     by_value
      - .offset:         32
        .size:           4
        .value_kind:     hidden_block_count_x
      - .offset:         36
        .size:           4
        .value_kind:     hidden_block_count_y
      - .offset:         40
        .size:           4
        .value_kind:     hidden_block_count_z
      - .offset:         44
        .size:           2
        .value_kind:     hidden_group_size_x
      - .offset:         46
        .size:           2
        .value_kind:     hidden_group_size_y
      - .offset:         48
        .size:           2
        .value_kind:     hidden_group_size_z
      - .offset:         50
        .size:           2
        .value_kind:     hidden_remainder_x
      - .offset:         52
        .size:           2
        .value_kind:     hidden_remainder_y
      - .offset:         54
        .size:           2
        .value_kind:     hidden_remainder_z
      - .offset:         72
        .size:           8
        .value_kind:     hidden_global_offset_x
      - .offset:         80
        .size:           8
        .value_kind:     hidden_global_offset_y
      - .offset:         88
        .size:           8
        .value_kind:     hidden_global_offset_z
      - .offset:         96
        .size:           2
        .value_kind:     hidden_grid_dims
    .group_segment_fixed_size: 128
    .kernarg_segment_align: 8
    .kernarg_segment_size: 288
    .language:       OpenCL C
    .language_version:
      - 2
      - 0
    .max_flat_workgroup_size: 128
    .name:           _ZL25flash_attn_mask_to_KV_maxILi16EEvPK7__half2Piiii
    .private_segment_fixed_size: 0
    .sgpr_count:     82
    .sgpr_spill_count: 0
    .symbol:         _ZL25flash_attn_mask_to_KV_maxILi16EEvPK7__half2Piiii.kd
    .uniform_work_group_size: 1
    .uses_dynamic_stack: false
    .vgpr_count:     12
    .vgpr_spill_count: 0
    .wavefront_size: 64
  - .args:
      - .address_space:  global
        .offset:         0
        .size:           8
        .value_kind:     global_buffer
      - .address_space:  global
        .offset:         8
        .size:           8
        .value_kind:     global_buffer
      - .offset:         16
        .size:           4
        .value_kind:     by_value
      - .offset:         20
        .size:           4
        .value_kind:     by_value
      - .offset:         24
        .size:           4
        .value_kind:     by_value
      - .offset:         28
        .size:           4
        .value_kind:     by_value
      - .offset:         32
        .size:           4
        .value_kind:     by_value
      - .offset:         36
        .size:           4
        .value_kind:     by_value
      - .offset:         40
        .size:           12
        .value_kind:     by_value
      - .offset:         52
        .size:           12
        .value_kind:     by_value
      - .offset:         64
        .size:           12
        .value_kind:     by_value
    .group_segment_fixed_size: 0
    .kernarg_segment_align: 8
    .kernarg_segment_size: 76
    .language:       OpenCL C
    .language_version:
      - 2
      - 0
    .max_flat_workgroup_size: 112
    .name:           _ZL33flash_attn_stream_k_fixup_uniformILi112ELi16ELi4EEvPfPK15HIP_vector_typeIfLj2EEiiiiiiS1_IjLj3EES5_S5_
    .private_segment_fixed_size: 0
    .sgpr_count:     24
    .sgpr_spill_count: 0
    .symbol:         _ZL33flash_attn_stream_k_fixup_uniformILi112ELi16ELi4EEvPfPK15HIP_vector_typeIfLj2EEiiiiiiS1_IjLj3EES5_S5_.kd
    .uniform_work_group_size: 1
    .uses_dynamic_stack: false
    .vgpr_count:     17
    .vgpr_spill_count: 0
    .wavefront_size: 64
  - .args:
      - .address_space:  global
        .offset:         0
        .size:           8
        .value_kind:     global_buffer
      - .address_space:  global
        .offset:         8
        .size:           8
        .value_kind:     global_buffer
      - .offset:         16
        .size:           4
        .value_kind:     by_value
      - .offset:         20
        .size:           4
        .value_kind:     by_value
      - .offset:         24
        .size:           4
        .value_kind:     by_value
      - .offset:         28
        .size:           4
        .value_kind:     by_value
      - .offset:         32
        .size:           12
        .value_kind:     by_value
      - .offset:         44
        .size:           12
        .value_kind:     by_value
      - .offset:         56
        .size:           12
        .value_kind:     by_value
      - .offset:         68
        .size:           12
        .value_kind:     by_value
      - .offset:         80
        .size:           4
        .value_kind:     hidden_block_count_x
      - .offset:         84
        .size:           4
        .value_kind:     hidden_block_count_y
      - .offset:         88
        .size:           4
        .value_kind:     hidden_block_count_z
      - .offset:         92
        .size:           2
        .value_kind:     hidden_group_size_x
      - .offset:         94
        .size:           2
        .value_kind:     hidden_group_size_y
      - .offset:         96
        .size:           2
        .value_kind:     hidden_group_size_z
      - .offset:         98
        .size:           2
        .value_kind:     hidden_remainder_x
      - .offset:         100
        .size:           2
        .value_kind:     hidden_remainder_y
      - .offset:         102
        .size:           2
        .value_kind:     hidden_remainder_z
      - .offset:         120
        .size:           8
        .value_kind:     hidden_global_offset_x
      - .offset:         128
        .size:           8
        .value_kind:     hidden_global_offset_y
      - .offset:         136
        .size:           8
        .value_kind:     hidden_global_offset_z
      - .offset:         144
        .size:           2
        .value_kind:     hidden_grid_dims
    .group_segment_fixed_size: 0
    .kernarg_segment_align: 8
    .kernarg_segment_size: 336
    .language:       OpenCL C
    .language_version:
      - 2
      - 0
    .max_flat_workgroup_size: 112
    .name:           _ZL33flash_attn_stream_k_fixup_generalILi112ELi16ELi4EEvPfPK15HIP_vector_typeIfLj2EEiiiiS1_IjLj3EES5_S5_S5_
    .private_segment_fixed_size: 0
    .sgpr_count:     40
    .sgpr_spill_count: 0
    .symbol:         _ZL33flash_attn_stream_k_fixup_generalILi112ELi16ELi4EEvPfPK15HIP_vector_typeIfLj2EEiiiiS1_IjLj3EES5_S5_S5_.kd
    .uniform_work_group_size: 1
    .uses_dynamic_stack: false
    .vgpr_count:     18
    .vgpr_spill_count: 0
    .wavefront_size: 64
  - .args:
      - .address_space:  global
        .offset:         0
        .size:           8
        .value_kind:     global_buffer
      - .address_space:  global
        .offset:         8
        .size:           8
        .value_kind:     global_buffer
      - .address_space:  global
        .offset:         16
        .size:           8
        .value_kind:     global_buffer
      - .address_space:  global
        .offset:         24
        .size:           8
        .value_kind:     global_buffer
      - .address_space:  global
        .offset:         32
        .size:           8
        .value_kind:     global_buffer
      - .address_space:  global
        .offset:         40
        .size:           8
        .value_kind:     global_buffer
      - .address_space:  global
        .offset:         48
        .size:           8
        .value_kind:     global_buffer
      - .address_space:  global
        .offset:         56
        .size:           8
        .value_kind:     global_buffer
      - .offset:         64
        .size:           4
        .value_kind:     by_value
      - .offset:         68
        .size:           4
        .value_kind:     by_value
      - .offset:         72
        .size:           4
        .value_kind:     by_value
      - .offset:         76
        .size:           4
        .value_kind:     by_value
      - .offset:         80
        .size:           4
        .value_kind:     by_value
      - .offset:         84
        .size:           4
        .value_kind:     by_value
      - .offset:         88
        .size:           4
        .value_kind:     by_value
      - .offset:         92
        .size:           12
        .value_kind:     by_value
      - .offset:         104
        .size:           4
        .value_kind:     by_value
      - .offset:         108
        .size:           4
        .value_kind:     by_value
      - .offset:         112
        .size:           4
        .value_kind:     by_value
      - .offset:         116
        .size:           4
        .value_kind:     by_value
      - .offset:         120
        .size:           4
        .value_kind:     by_value
      - .offset:         124
        .size:           4
        .value_kind:     by_value
      - .offset:         128
        .size:           4
        .value_kind:     by_value
      - .offset:         132
        .size:           4
        .value_kind:     by_value
      - .offset:         136
        .size:           4
        .value_kind:     by_value
      - .offset:         140
        .size:           4
        .value_kind:     by_value
      - .offset:         144
        .size:           4
        .value_kind:     by_value
      - .offset:         152
        .size:           8
        .value_kind:     by_value
      - .offset:         160
        .size:           4
        .value_kind:     by_value
      - .offset:         164
        .size:           4
        .value_kind:     by_value
      - .offset:         168
        .size:           8
        .value_kind:     by_value
      - .offset:         176
        .size:           4
        .value_kind:     by_value
      - .offset:         180
        .size:           4
        .value_kind:     by_value
      - .offset:         184
        .size:           4
        .value_kind:     by_value
      - .offset:         188
        .size:           4
        .value_kind:     by_value
      - .offset:         192
        .size:           4
        .value_kind:     by_value
      - .offset:         200
        .size:           8
        .value_kind:     by_value
      - .offset:         208
        .size:           4
        .value_kind:     hidden_block_count_x
      - .offset:         212
        .size:           4
        .value_kind:     hidden_block_count_y
      - .offset:         216
        .size:           4
        .value_kind:     hidden_block_count_z
      - .offset:         220
        .size:           2
        .value_kind:     hidden_group_size_x
      - .offset:         222
        .size:           2
        .value_kind:     hidden_group_size_y
      - .offset:         224
        .size:           2
        .value_kind:     hidden_group_size_z
      - .offset:         226
        .size:           2
        .value_kind:     hidden_remainder_x
      - .offset:         228
        .size:           2
        .value_kind:     hidden_remainder_y
      - .offset:         230
        .size:           2
        .value_kind:     hidden_remainder_z
      - .offset:         248
        .size:           8
        .value_kind:     hidden_global_offset_x
      - .offset:         256
        .size:           8
        .value_kind:     hidden_global_offset_y
      - .offset:         264
        .size:           8
        .value_kind:     hidden_global_offset_z
      - .offset:         272
        .size:           2
        .value_kind:     hidden_grid_dims
    .group_segment_fixed_size: 13376
    .kernarg_segment_align: 8
    .kernarg_segment_size: 464
    .language:       OpenCL C
    .language_version:
      - 2
      - 0
    .max_flat_workgroup_size: 256
    .name:           _ZL15flash_attn_tileILi112ELi112ELi8ELi4ELb0EEvPKcS1_S1_S1_S1_PKiPfP15HIP_vector_typeIfLj2EEffffjfiS5_IjLj3EEiiiiiiiiiiiliiliiiiil
    .private_segment_fixed_size: 128
    .sgpr_count:     72
    .sgpr_spill_count: 0
    .symbol:         _ZL15flash_attn_tileILi112ELi112ELi8ELi4ELb0EEvPKcS1_S1_S1_S1_PKiPfP15HIP_vector_typeIfLj2EEffffjfiS5_IjLj3EEiiiiiiiiiiiliiliiiiil.kd
    .uniform_work_group_size: 1
    .uses_dynamic_stack: false
    .vgpr_count:     128
    .vgpr_spill_count: 33
    .wavefront_size: 64
  - .args:
      - .address_space:  global
        .offset:         0
        .size:           8
        .value_kind:     global_buffer
      - .address_space:  global
        .offset:         8
        .size:           8
        .value_kind:     global_buffer
      - .offset:         16
        .size:           4
        .value_kind:     by_value
      - .offset:         20
        .size:           4
        .value_kind:     by_value
      - .offset:         24
        .size:           4
        .value_kind:     by_value
      - .offset:         28
        .size:           4
        .value_kind:     by_value
      - .offset:         32
        .size:           4
        .value_kind:     by_value
      - .offset:         36
        .size:           4
        .value_kind:     by_value
      - .offset:         40
        .size:           12
        .value_kind:     by_value
      - .offset:         52
        .size:           12
        .value_kind:     by_value
      - .offset:         64
        .size:           12
        .value_kind:     by_value
    .group_segment_fixed_size: 0
    .kernarg_segment_align: 8
    .kernarg_segment_size: 76
    .language:       OpenCL C
    .language_version:
      - 2
      - 0
    .max_flat_workgroup_size: 112
    .name:           _ZL33flash_attn_stream_k_fixup_uniformILi112ELi8ELi4EEvPfPK15HIP_vector_typeIfLj2EEiiiiiiS1_IjLj3EES5_S5_
    .private_segment_fixed_size: 0
    .sgpr_count:     24
    .sgpr_spill_count: 0
    .symbol:         _ZL33flash_attn_stream_k_fixup_uniformILi112ELi8ELi4EEvPfPK15HIP_vector_typeIfLj2EEiiiiiiS1_IjLj3EES5_S5_.kd
    .uniform_work_group_size: 1
    .uses_dynamic_stack: false
    .vgpr_count:     17
    .vgpr_spill_count: 0
    .wavefront_size: 64
  - .args:
      - .address_space:  global
        .offset:         0
        .size:           8
        .value_kind:     global_buffer
      - .address_space:  global
        .offset:         8
        .size:           8
        .value_kind:     global_buffer
      - .offset:         16
        .size:           4
        .value_kind:     by_value
      - .offset:         20
        .size:           4
        .value_kind:     by_value
      - .offset:         24
        .size:           4
        .value_kind:     by_value
      - .offset:         28
        .size:           4
        .value_kind:     by_value
      - .offset:         32
        .size:           12
        .value_kind:     by_value
      - .offset:         44
        .size:           12
        .value_kind:     by_value
      - .offset:         56
        .size:           12
        .value_kind:     by_value
      - .offset:         68
        .size:           12
        .value_kind:     by_value
      - .offset:         80
        .size:           4
        .value_kind:     hidden_block_count_x
      - .offset:         84
        .size:           4
        .value_kind:     hidden_block_count_y
      - .offset:         88
        .size:           4
        .value_kind:     hidden_block_count_z
      - .offset:         92
        .size:           2
        .value_kind:     hidden_group_size_x
      - .offset:         94
        .size:           2
        .value_kind:     hidden_group_size_y
      - .offset:         96
        .size:           2
        .value_kind:     hidden_group_size_z
      - .offset:         98
        .size:           2
        .value_kind:     hidden_remainder_x
      - .offset:         100
        .size:           2
        .value_kind:     hidden_remainder_y
      - .offset:         102
        .size:           2
        .value_kind:     hidden_remainder_z
      - .offset:         120
        .size:           8
        .value_kind:     hidden_global_offset_x
      - .offset:         128
        .size:           8
        .value_kind:     hidden_global_offset_y
      - .offset:         136
        .size:           8
        .value_kind:     hidden_global_offset_z
      - .offset:         144
        .size:           2
        .value_kind:     hidden_grid_dims
    .group_segment_fixed_size: 0
    .kernarg_segment_align: 8
    .kernarg_segment_size: 336
    .language:       OpenCL C
    .language_version:
      - 2
      - 0
    .max_flat_workgroup_size: 112
    .name:           _ZL33flash_attn_stream_k_fixup_generalILi112ELi8ELi4EEvPfPK15HIP_vector_typeIfLj2EEiiiiS1_IjLj3EES5_S5_S5_
    .private_segment_fixed_size: 0
    .sgpr_count:     40
    .sgpr_spill_count: 0
    .symbol:         _ZL33flash_attn_stream_k_fixup_generalILi112ELi8ELi4EEvPfPK15HIP_vector_typeIfLj2EEiiiiS1_IjLj3EES5_S5_S5_.kd
    .uniform_work_group_size: 1
    .uses_dynamic_stack: false
    .vgpr_count:     18
    .vgpr_spill_count: 0
    .wavefront_size: 64
  - .args:
      - .address_space:  global
        .offset:         0
        .size:           8
        .value_kind:     global_buffer
      - .address_space:  global
        .offset:         8
        .size:           8
        .value_kind:     global_buffer
      - .address_space:  global
        .offset:         16
        .size:           8
        .value_kind:     global_buffer
      - .address_space:  global
        .offset:         24
        .size:           8
        .value_kind:     global_buffer
      - .address_space:  global
        .offset:         32
        .size:           8
        .value_kind:     global_buffer
      - .address_space:  global
        .offset:         40
        .size:           8
        .value_kind:     global_buffer
      - .address_space:  global
        .offset:         48
        .size:           8
        .value_kind:     global_buffer
      - .address_space:  global
        .offset:         56
        .size:           8
        .value_kind:     global_buffer
      - .offset:         64
        .size:           4
        .value_kind:     by_value
      - .offset:         68
        .size:           4
        .value_kind:     by_value
      - .offset:         72
        .size:           4
        .value_kind:     by_value
      - .offset:         76
        .size:           4
        .value_kind:     by_value
      - .offset:         80
        .size:           4
        .value_kind:     by_value
      - .offset:         84
        .size:           4
        .value_kind:     by_value
      - .offset:         88
        .size:           4
        .value_kind:     by_value
      - .offset:         92
        .size:           12
        .value_kind:     by_value
      - .offset:         104
        .size:           4
        .value_kind:     by_value
      - .offset:         108
        .size:           4
        .value_kind:     by_value
      - .offset:         112
        .size:           4
        .value_kind:     by_value
      - .offset:         116
        .size:           4
        .value_kind:     by_value
      - .offset:         120
        .size:           4
        .value_kind:     by_value
      - .offset:         124
        .size:           4
        .value_kind:     by_value
      - .offset:         128
        .size:           4
        .value_kind:     by_value
      - .offset:         132
        .size:           4
        .value_kind:     by_value
      - .offset:         136
        .size:           4
        .value_kind:     by_value
      - .offset:         140
        .size:           4
        .value_kind:     by_value
      - .offset:         144
        .size:           4
        .value_kind:     by_value
      - .offset:         152
        .size:           8
        .value_kind:     by_value
      - .offset:         160
        .size:           4
        .value_kind:     by_value
      - .offset:         164
        .size:           4
        .value_kind:     by_value
      - .offset:         168
        .size:           8
        .value_kind:     by_value
      - .offset:         176
        .size:           4
        .value_kind:     by_value
      - .offset:         180
        .size:           4
        .value_kind:     by_value
      - .offset:         184
        .size:           4
        .value_kind:     by_value
      - .offset:         188
        .size:           4
        .value_kind:     by_value
      - .offset:         192
        .size:           4
        .value_kind:     by_value
      - .offset:         200
        .size:           8
        .value_kind:     by_value
      - .offset:         208
        .size:           4
        .value_kind:     hidden_block_count_x
      - .offset:         212
        .size:           4
        .value_kind:     hidden_block_count_y
      - .offset:         216
        .size:           4
        .value_kind:     hidden_block_count_z
      - .offset:         220
        .size:           2
        .value_kind:     hidden_group_size_x
      - .offset:         222
        .size:           2
        .value_kind:     hidden_group_size_y
      - .offset:         224
        .size:           2
        .value_kind:     hidden_group_size_z
      - .offset:         226
        .size:           2
        .value_kind:     hidden_remainder_x
      - .offset:         228
        .size:           2
        .value_kind:     hidden_remainder_y
      - .offset:         230
        .size:           2
        .value_kind:     hidden_remainder_z
      - .offset:         248
        .size:           8
        .value_kind:     hidden_global_offset_x
      - .offset:         256
        .size:           8
        .value_kind:     hidden_global_offset_y
      - .offset:         264
        .size:           8
        .value_kind:     hidden_global_offset_z
      - .offset:         272
        .size:           2
        .value_kind:     hidden_grid_dims
    .group_segment_fixed_size: 8768
    .kernarg_segment_align: 8
    .kernarg_segment_size: 464
    .language:       OpenCL C
    .language_version:
      - 2
      - 0
    .max_flat_workgroup_size: 256
    .name:           _ZL15flash_attn_tileILi112ELi112ELi4ELi4ELb0EEvPKcS1_S1_S1_S1_PKiPfP15HIP_vector_typeIfLj2EEffffjfiS5_IjLj3EEiiiiiiiiiiiliiliiiiil
    .private_segment_fixed_size: 0
    .sgpr_count:     60
    .sgpr_spill_count: 0
    .symbol:         _ZL15flash_attn_tileILi112ELi112ELi4ELi4ELb0EEvPKcS1_S1_S1_S1_PKiPfP15HIP_vector_typeIfLj2EEffffjfiS5_IjLj3EEiiiiiiiiiiiliiliiiiil.kd
    .uniform_work_group_size: 1
    .uses_dynamic_stack: false
    .vgpr_count:     114
    .vgpr_spill_count: 0
    .wavefront_size: 64
  - .args:
      - .address_space:  global
        .offset:         0
        .size:           8
        .value_kind:     global_buffer
      - .address_space:  global
        .offset:         8
        .size:           8
        .value_kind:     global_buffer
      - .offset:         16
        .size:           4
        .value_kind:     by_value
      - .offset:         20
        .size:           4
        .value_kind:     by_value
      - .offset:         24
        .size:           4
        .value_kind:     by_value
      - .offset:         28
        .size:           4
        .value_kind:     by_value
      - .offset:         32
        .size:           4
        .value_kind:     by_value
      - .offset:         36
        .size:           4
        .value_kind:     by_value
      - .offset:         40
        .size:           12
        .value_kind:     by_value
      - .offset:         52
        .size:           12
        .value_kind:     by_value
      - .offset:         64
        .size:           12
        .value_kind:     by_value
    .group_segment_fixed_size: 0
    .kernarg_segment_align: 8
    .kernarg_segment_size: 76
    .language:       OpenCL C
    .language_version:
      - 2
      - 0
    .max_flat_workgroup_size: 112
    .name:           _ZL33flash_attn_stream_k_fixup_uniformILi112ELi4ELi4EEvPfPK15HIP_vector_typeIfLj2EEiiiiiiS1_IjLj3EES5_S5_
    .private_segment_fixed_size: 0
    .sgpr_count:     24
    .sgpr_spill_count: 0
    .symbol:         _ZL33flash_attn_stream_k_fixup_uniformILi112ELi4ELi4EEvPfPK15HIP_vector_typeIfLj2EEiiiiiiS1_IjLj3EES5_S5_.kd
    .uniform_work_group_size: 1
    .uses_dynamic_stack: false
    .vgpr_count:     17
    .vgpr_spill_count: 0
    .wavefront_size: 64
  - .args:
      - .address_space:  global
        .offset:         0
        .size:           8
        .value_kind:     global_buffer
      - .address_space:  global
        .offset:         8
        .size:           8
        .value_kind:     global_buffer
      - .offset:         16
        .size:           4
        .value_kind:     by_value
      - .offset:         20
        .size:           4
        .value_kind:     by_value
      - .offset:         24
        .size:           4
        .value_kind:     by_value
      - .offset:         28
        .size:           4
        .value_kind:     by_value
      - .offset:         32
        .size:           12
        .value_kind:     by_value
      - .offset:         44
        .size:           12
        .value_kind:     by_value
      - .offset:         56
        .size:           12
        .value_kind:     by_value
      - .offset:         68
        .size:           12
        .value_kind:     by_value
      - .offset:         80
        .size:           4
        .value_kind:     hidden_block_count_x
      - .offset:         84
        .size:           4
        .value_kind:     hidden_block_count_y
      - .offset:         88
        .size:           4
        .value_kind:     hidden_block_count_z
      - .offset:         92
        .size:           2
        .value_kind:     hidden_group_size_x
      - .offset:         94
        .size:           2
        .value_kind:     hidden_group_size_y
      - .offset:         96
        .size:           2
        .value_kind:     hidden_group_size_z
      - .offset:         98
        .size:           2
        .value_kind:     hidden_remainder_x
      - .offset:         100
        .size:           2
        .value_kind:     hidden_remainder_y
      - .offset:         102
        .size:           2
        .value_kind:     hidden_remainder_z
      - .offset:         120
        .size:           8
        .value_kind:     hidden_global_offset_x
      - .offset:         128
        .size:           8
        .value_kind:     hidden_global_offset_y
      - .offset:         136
        .size:           8
        .value_kind:     hidden_global_offset_z
      - .offset:         144
        .size:           2
        .value_kind:     hidden_grid_dims
    .group_segment_fixed_size: 0
    .kernarg_segment_align: 8
    .kernarg_segment_size: 336
    .language:       OpenCL C
    .language_version:
      - 2
      - 0
    .max_flat_workgroup_size: 112
    .name:           _ZL33flash_attn_stream_k_fixup_generalILi112ELi4ELi4EEvPfPK15HIP_vector_typeIfLj2EEiiiiS1_IjLj3EES5_S5_S5_
    .private_segment_fixed_size: 0
    .sgpr_count:     40
    .sgpr_spill_count: 0
    .symbol:         _ZL33flash_attn_stream_k_fixup_generalILi112ELi4ELi4EEvPfPK15HIP_vector_typeIfLj2EEiiiiS1_IjLj3EES5_S5_S5_.kd
    .uniform_work_group_size: 1
    .uses_dynamic_stack: false
    .vgpr_count:     18
    .vgpr_spill_count: 0
    .wavefront_size: 64
  - .args:
      - .address_space:  global
        .offset:         0
        .size:           8
        .value_kind:     global_buffer
      - .address_space:  global
        .offset:         8
        .size:           8
        .value_kind:     global_buffer
      - .address_space:  global
        .offset:         16
        .size:           8
        .value_kind:     global_buffer
      - .address_space:  global
        .offset:         24
        .size:           8
        .value_kind:     global_buffer
      - .address_space:  global
        .offset:         32
        .size:           8
        .value_kind:     global_buffer
      - .address_space:  global
        .offset:         40
        .size:           8
        .value_kind:     global_buffer
      - .address_space:  global
        .offset:         48
        .size:           8
        .value_kind:     global_buffer
      - .address_space:  global
        .offset:         56
        .size:           8
        .value_kind:     global_buffer
      - .offset:         64
        .size:           4
        .value_kind:     by_value
      - .offset:         68
        .size:           4
        .value_kind:     by_value
      - .offset:         72
        .size:           4
        .value_kind:     by_value
      - .offset:         76
        .size:           4
        .value_kind:     by_value
      - .offset:         80
        .size:           4
        .value_kind:     by_value
      - .offset:         84
        .size:           4
        .value_kind:     by_value
      - .offset:         88
        .size:           4
        .value_kind:     by_value
      - .offset:         92
        .size:           12
        .value_kind:     by_value
      - .offset:         104
        .size:           4
        .value_kind:     by_value
      - .offset:         108
        .size:           4
        .value_kind:     by_value
      - .offset:         112
        .size:           4
        .value_kind:     by_value
      - .offset:         116
        .size:           4
        .value_kind:     by_value
      - .offset:         120
        .size:           4
        .value_kind:     by_value
      - .offset:         124
        .size:           4
        .value_kind:     by_value
      - .offset:         128
        .size:           4
        .value_kind:     by_value
      - .offset:         132
        .size:           4
        .value_kind:     by_value
      - .offset:         136
        .size:           4
        .value_kind:     by_value
      - .offset:         140
        .size:           4
        .value_kind:     by_value
      - .offset:         144
        .size:           4
        .value_kind:     by_value
      - .offset:         152
        .size:           8
        .value_kind:     by_value
      - .offset:         160
        .size:           4
        .value_kind:     by_value
      - .offset:         164
        .size:           4
        .value_kind:     by_value
      - .offset:         168
        .size:           8
        .value_kind:     by_value
      - .offset:         176
        .size:           4
        .value_kind:     by_value
      - .offset:         180
        .size:           4
        .value_kind:     by_value
      - .offset:         184
        .size:           4
        .value_kind:     by_value
      - .offset:         188
        .size:           4
        .value_kind:     by_value
      - .offset:         192
        .size:           4
        .value_kind:     by_value
      - .offset:         200
        .size:           8
        .value_kind:     by_value
      - .offset:         208
        .size:           4
        .value_kind:     hidden_block_count_x
      - .offset:         212
        .size:           4
        .value_kind:     hidden_block_count_y
      - .offset:         216
        .size:           4
        .value_kind:     hidden_block_count_z
      - .offset:         220
        .size:           2
        .value_kind:     hidden_group_size_x
      - .offset:         222
        .size:           2
        .value_kind:     hidden_group_size_y
      - .offset:         224
        .size:           2
        .value_kind:     hidden_group_size_z
      - .offset:         226
        .size:           2
        .value_kind:     hidden_remainder_x
      - .offset:         228
        .size:           2
        .value_kind:     hidden_remainder_y
      - .offset:         230
        .size:           2
        .value_kind:     hidden_remainder_z
      - .offset:         248
        .size:           8
        .value_kind:     hidden_global_offset_x
      - .offset:         256
        .size:           8
        .value_kind:     hidden_global_offset_y
      - .offset:         264
        .size:           8
        .value_kind:     hidden_global_offset_z
      - .offset:         272
        .size:           2
        .value_kind:     hidden_grid_dims
    .group_segment_fixed_size: 6464
    .kernarg_segment_align: 8
    .kernarg_segment_size: 464
    .language:       OpenCL C
    .language_version:
      - 2
      - 0
    .max_flat_workgroup_size: 256
    .name:           _ZL15flash_attn_tileILi112ELi112ELi2ELi4ELb0EEvPKcS1_S1_S1_S1_PKiPfP15HIP_vector_typeIfLj2EEffffjfiS5_IjLj3EEiiiiiiiiiiiliiliiiiil
    .private_segment_fixed_size: 0
    .sgpr_count:     57
    .sgpr_spill_count: 0
    .symbol:         _ZL15flash_attn_tileILi112ELi112ELi2ELi4ELb0EEvPKcS1_S1_S1_S1_PKiPfP15HIP_vector_typeIfLj2EEffffjfiS5_IjLj3EEiiiiiiiiiiiliiliiiiil.kd
    .uniform_work_group_size: 1
    .uses_dynamic_stack: false
    .vgpr_count:     94
    .vgpr_spill_count: 0
    .wavefront_size: 64
  - .args:
      - .address_space:  global
        .offset:         0
        .size:           8
        .value_kind:     global_buffer
      - .address_space:  global
        .offset:         8
        .size:           8
        .value_kind:     global_buffer
      - .offset:         16
        .size:           4
        .value_kind:     by_value
      - .offset:         20
        .size:           4
        .value_kind:     by_value
      - .offset:         24
        .size:           4
        .value_kind:     by_value
      - .offset:         28
        .size:           4
        .value_kind:     by_value
      - .offset:         32
        .size:           4
        .value_kind:     by_value
      - .offset:         36
        .size:           4
        .value_kind:     by_value
      - .offset:         40
        .size:           12
        .value_kind:     by_value
      - .offset:         52
        .size:           12
        .value_kind:     by_value
      - .offset:         64
        .size:           12
        .value_kind:     by_value
    .group_segment_fixed_size: 0
    .kernarg_segment_align: 8
    .kernarg_segment_size: 76
    .language:       OpenCL C
    .language_version:
      - 2
      - 0
    .max_flat_workgroup_size: 112
    .name:           _ZL33flash_attn_stream_k_fixup_uniformILi112ELi2ELi4EEvPfPK15HIP_vector_typeIfLj2EEiiiiiiS1_IjLj3EES5_S5_
    .private_segment_fixed_size: 0
    .sgpr_count:     24
    .sgpr_spill_count: 0
    .symbol:         _ZL33flash_attn_stream_k_fixup_uniformILi112ELi2ELi4EEvPfPK15HIP_vector_typeIfLj2EEiiiiiiS1_IjLj3EES5_S5_.kd
    .uniform_work_group_size: 1
    .uses_dynamic_stack: false
    .vgpr_count:     17
    .vgpr_spill_count: 0
    .wavefront_size: 64
  - .args:
      - .address_space:  global
        .offset:         0
        .size:           8
        .value_kind:     global_buffer
      - .address_space:  global
        .offset:         8
        .size:           8
        .value_kind:     global_buffer
      - .offset:         16
        .size:           4
        .value_kind:     by_value
      - .offset:         20
        .size:           4
        .value_kind:     by_value
      - .offset:         24
        .size:           4
        .value_kind:     by_value
      - .offset:         28
        .size:           4
        .value_kind:     by_value
      - .offset:         32
        .size:           12
        .value_kind:     by_value
      - .offset:         44
        .size:           12
        .value_kind:     by_value
      - .offset:         56
        .size:           12
        .value_kind:     by_value
      - .offset:         68
        .size:           12
        .value_kind:     by_value
      - .offset:         80
        .size:           4
        .value_kind:     hidden_block_count_x
      - .offset:         84
        .size:           4
        .value_kind:     hidden_block_count_y
      - .offset:         88
        .size:           4
        .value_kind:     hidden_block_count_z
      - .offset:         92
        .size:           2
        .value_kind:     hidden_group_size_x
      - .offset:         94
        .size:           2
        .value_kind:     hidden_group_size_y
      - .offset:         96
        .size:           2
        .value_kind:     hidden_group_size_z
      - .offset:         98
        .size:           2
        .value_kind:     hidden_remainder_x
      - .offset:         100
        .size:           2
        .value_kind:     hidden_remainder_y
      - .offset:         102
        .size:           2
        .value_kind:     hidden_remainder_z
      - .offset:         120
        .size:           8
        .value_kind:     hidden_global_offset_x
      - .offset:         128
        .size:           8
        .value_kind:     hidden_global_offset_y
      - .offset:         136
        .size:           8
        .value_kind:     hidden_global_offset_z
      - .offset:         144
        .size:           2
        .value_kind:     hidden_grid_dims
    .group_segment_fixed_size: 0
    .kernarg_segment_align: 8
    .kernarg_segment_size: 336
    .language:       OpenCL C
    .language_version:
      - 2
      - 0
    .max_flat_workgroup_size: 112
    .name:           _ZL33flash_attn_stream_k_fixup_generalILi112ELi2ELi4EEvPfPK15HIP_vector_typeIfLj2EEiiiiS1_IjLj3EES5_S5_S5_
    .private_segment_fixed_size: 0
    .sgpr_count:     40
    .sgpr_spill_count: 0
    .symbol:         _ZL33flash_attn_stream_k_fixup_generalILi112ELi2ELi4EEvPfPK15HIP_vector_typeIfLj2EEiiiiS1_IjLj3EES5_S5_S5_.kd
    .uniform_work_group_size: 1
    .uses_dynamic_stack: false
    .vgpr_count:     18
    .vgpr_spill_count: 0
    .wavefront_size: 64
  - .args:
      - .address_space:  global
        .offset:         0
        .size:           8
        .value_kind:     global_buffer
      - .address_space:  global
        .offset:         8
        .size:           8
        .value_kind:     global_buffer
      - .address_space:  global
        .offset:         16
        .size:           8
        .value_kind:     global_buffer
      - .address_space:  global
        .offset:         24
        .size:           8
        .value_kind:     global_buffer
      - .address_space:  global
        .offset:         32
        .size:           8
        .value_kind:     global_buffer
      - .address_space:  global
        .offset:         40
        .size:           8
        .value_kind:     global_buffer
      - .address_space:  global
        .offset:         48
        .size:           8
        .value_kind:     global_buffer
      - .address_space:  global
        .offset:         56
        .size:           8
        .value_kind:     global_buffer
      - .offset:         64
        .size:           4
        .value_kind:     by_value
      - .offset:         68
        .size:           4
        .value_kind:     by_value
      - .offset:         72
        .size:           4
        .value_kind:     by_value
      - .offset:         76
        .size:           4
        .value_kind:     by_value
      - .offset:         80
        .size:           4
        .value_kind:     by_value
      - .offset:         84
        .size:           4
        .value_kind:     by_value
      - .offset:         88
        .size:           4
        .value_kind:     by_value
      - .offset:         92
        .size:           12
        .value_kind:     by_value
      - .offset:         104
        .size:           4
        .value_kind:     by_value
      - .offset:         108
        .size:           4
        .value_kind:     by_value
      - .offset:         112
        .size:           4
        .value_kind:     by_value
      - .offset:         116
        .size:           4
        .value_kind:     by_value
      - .offset:         120
        .size:           4
        .value_kind:     by_value
      - .offset:         124
        .size:           4
        .value_kind:     by_value
      - .offset:         128
        .size:           4
        .value_kind:     by_value
      - .offset:         132
        .size:           4
        .value_kind:     by_value
      - .offset:         136
        .size:           4
        .value_kind:     by_value
      - .offset:         140
        .size:           4
        .value_kind:     by_value
      - .offset:         144
        .size:           4
        .value_kind:     by_value
      - .offset:         152
        .size:           8
        .value_kind:     by_value
      - .offset:         160
        .size:           4
        .value_kind:     by_value
      - .offset:         164
        .size:           4
        .value_kind:     by_value
      - .offset:         168
        .size:           8
        .value_kind:     by_value
      - .offset:         176
        .size:           4
        .value_kind:     by_value
      - .offset:         180
        .size:           4
        .value_kind:     by_value
      - .offset:         184
        .size:           4
        .value_kind:     by_value
      - .offset:         188
        .size:           4
        .value_kind:     by_value
      - .offset:         192
        .size:           4
        .value_kind:     by_value
      - .offset:         200
        .size:           8
        .value_kind:     by_value
      - .offset:         208
        .size:           4
        .value_kind:     hidden_block_count_x
      - .offset:         212
        .size:           4
        .value_kind:     hidden_block_count_y
      - .offset:         216
        .size:           4
        .value_kind:     hidden_block_count_z
      - .offset:         220
        .size:           2
        .value_kind:     hidden_group_size_x
      - .offset:         222
        .size:           2
        .value_kind:     hidden_group_size_y
      - .offset:         224
        .size:           2
        .value_kind:     hidden_group_size_z
      - .offset:         226
        .size:           2
        .value_kind:     hidden_remainder_x
      - .offset:         228
        .size:           2
        .value_kind:     hidden_remainder_y
      - .offset:         230
        .size:           2
        .value_kind:     hidden_remainder_z
      - .offset:         248
        .size:           8
        .value_kind:     hidden_global_offset_x
      - .offset:         256
        .size:           8
        .value_kind:     hidden_global_offset_y
      - .offset:         264
        .size:           8
        .value_kind:     hidden_global_offset_z
      - .offset:         272
        .size:           2
        .value_kind:     hidden_grid_dims
    .group_segment_fixed_size: 5312
    .kernarg_segment_align: 8
    .kernarg_segment_size: 464
    .language:       OpenCL C
    .language_version:
      - 2
      - 0
    .max_flat_workgroup_size: 128
    .name:           _ZL15flash_attn_tileILi112ELi112ELi1ELi4ELb0EEvPKcS1_S1_S1_S1_PKiPfP15HIP_vector_typeIfLj2EEffffjfiS5_IjLj3EEiiiiiiiiiiiliiliiiiil
    .private_segment_fixed_size: 0
    .sgpr_count:     53
    .sgpr_spill_count: 0
    .symbol:         _ZL15flash_attn_tileILi112ELi112ELi1ELi4ELb0EEvPKcS1_S1_S1_S1_PKiPfP15HIP_vector_typeIfLj2EEffffjfiS5_IjLj3EEiiiiiiiiiiiliiliiiiil.kd
    .uniform_work_group_size: 1
    .uses_dynamic_stack: false
    .vgpr_count:     99
    .vgpr_spill_count: 0
    .wavefront_size: 64
  - .args:
      - .address_space:  global
        .offset:         0
        .size:           8
        .value_kind:     global_buffer
      - .address_space:  global
        .offset:         8
        .size:           8
        .value_kind:     global_buffer
      - .offset:         16
        .size:           4
        .value_kind:     by_value
      - .offset:         20
        .size:           4
        .value_kind:     by_value
      - .offset:         24
        .size:           4
        .value_kind:     by_value
      - .offset:         28
        .size:           4
        .value_kind:     by_value
      - .offset:         32
        .size:           4
        .value_kind:     by_value
      - .offset:         36
        .size:           4
        .value_kind:     by_value
      - .offset:         40
        .size:           12
        .value_kind:     by_value
      - .offset:         52
        .size:           12
        .value_kind:     by_value
      - .offset:         64
        .size:           12
        .value_kind:     by_value
    .group_segment_fixed_size: 0
    .kernarg_segment_align: 8
    .kernarg_segment_size: 76
    .language:       OpenCL C
    .language_version:
      - 2
      - 0
    .max_flat_workgroup_size: 112
    .name:           _ZL33flash_attn_stream_k_fixup_uniformILi112ELi1ELi4EEvPfPK15HIP_vector_typeIfLj2EEiiiiiiS1_IjLj3EES5_S5_
    .private_segment_fixed_size: 0
    .sgpr_count:     24
    .sgpr_spill_count: 0
    .symbol:         _ZL33flash_attn_stream_k_fixup_uniformILi112ELi1ELi4EEvPfPK15HIP_vector_typeIfLj2EEiiiiiiS1_IjLj3EES5_S5_.kd
    .uniform_work_group_size: 1
    .uses_dynamic_stack: false
    .vgpr_count:     17
    .vgpr_spill_count: 0
    .wavefront_size: 64
  - .args:
      - .address_space:  global
        .offset:         0
        .size:           8
        .value_kind:     global_buffer
      - .address_space:  global
        .offset:         8
        .size:           8
        .value_kind:     global_buffer
      - .offset:         16
        .size:           4
        .value_kind:     by_value
      - .offset:         20
        .size:           4
        .value_kind:     by_value
      - .offset:         24
        .size:           4
        .value_kind:     by_value
      - .offset:         28
        .size:           4
        .value_kind:     by_value
      - .offset:         32
        .size:           12
        .value_kind:     by_value
      - .offset:         44
        .size:           12
        .value_kind:     by_value
      - .offset:         56
        .size:           12
        .value_kind:     by_value
      - .offset:         68
        .size:           12
        .value_kind:     by_value
      - .offset:         80
        .size:           4
        .value_kind:     hidden_block_count_x
      - .offset:         84
        .size:           4
        .value_kind:     hidden_block_count_y
      - .offset:         88
        .size:           4
        .value_kind:     hidden_block_count_z
      - .offset:         92
        .size:           2
        .value_kind:     hidden_group_size_x
      - .offset:         94
        .size:           2
        .value_kind:     hidden_group_size_y
      - .offset:         96
        .size:           2
        .value_kind:     hidden_group_size_z
      - .offset:         98
        .size:           2
        .value_kind:     hidden_remainder_x
      - .offset:         100
        .size:           2
        .value_kind:     hidden_remainder_y
      - .offset:         102
        .size:           2
        .value_kind:     hidden_remainder_z
      - .offset:         120
        .size:           8
        .value_kind:     hidden_global_offset_x
      - .offset:         128
        .size:           8
        .value_kind:     hidden_global_offset_y
      - .offset:         136
        .size:           8
        .value_kind:     hidden_global_offset_z
      - .offset:         144
        .size:           2
        .value_kind:     hidden_grid_dims
    .group_segment_fixed_size: 0
    .kernarg_segment_align: 8
    .kernarg_segment_size: 336
    .language:       OpenCL C
    .language_version:
      - 2
      - 0
    .max_flat_workgroup_size: 112
    .name:           _ZL33flash_attn_stream_k_fixup_generalILi112ELi1ELi4EEvPfPK15HIP_vector_typeIfLj2EEiiiiS1_IjLj3EES5_S5_S5_
    .private_segment_fixed_size: 0
    .sgpr_count:     41
    .sgpr_spill_count: 0
    .symbol:         _ZL33flash_attn_stream_k_fixup_generalILi112ELi1ELi4EEvPfPK15HIP_vector_typeIfLj2EEiiiiS1_IjLj3EES5_S5_S5_.kd
    .uniform_work_group_size: 1
    .uses_dynamic_stack: false
    .vgpr_count:     18
    .vgpr_spill_count: 0
    .wavefront_size: 64
  - .args:
      - .address_space:  global
        .offset:         0
        .size:           8
        .value_kind:     global_buffer
      - .address_space:  global
        .offset:         8
        .size:           8
        .value_kind:     global_buffer
      - .address_space:  global
        .offset:         16
        .size:           8
        .value_kind:     global_buffer
      - .address_space:  global
        .offset:         24
        .size:           8
        .value_kind:     global_buffer
      - .address_space:  global
        .offset:         32
        .size:           8
        .value_kind:     global_buffer
      - .address_space:  global
        .offset:         40
        .size:           8
        .value_kind:     global_buffer
      - .address_space:  global
        .offset:         48
        .size:           8
        .value_kind:     global_buffer
      - .address_space:  global
        .offset:         56
        .size:           8
        .value_kind:     global_buffer
      - .offset:         64
        .size:           4
        .value_kind:     by_value
      - .offset:         68
        .size:           4
        .value_kind:     by_value
      - .offset:         72
        .size:           4
        .value_kind:     by_value
      - .offset:         76
        .size:           4
        .value_kind:     by_value
      - .offset:         80
        .size:           4
        .value_kind:     by_value
      - .offset:         84
        .size:           4
        .value_kind:     by_value
      - .offset:         88
        .size:           4
        .value_kind:     by_value
      - .offset:         92
        .size:           12
        .value_kind:     by_value
      - .offset:         104
        .size:           4
        .value_kind:     by_value
      - .offset:         108
        .size:           4
        .value_kind:     by_value
      - .offset:         112
        .size:           4
        .value_kind:     by_value
      - .offset:         116
        .size:           4
        .value_kind:     by_value
      - .offset:         120
        .size:           4
        .value_kind:     by_value
      - .offset:         124
        .size:           4
        .value_kind:     by_value
      - .offset:         128
        .size:           4
        .value_kind:     by_value
      - .offset:         132
        .size:           4
        .value_kind:     by_value
      - .offset:         136
        .size:           4
        .value_kind:     by_value
      - .offset:         140
        .size:           4
        .value_kind:     by_value
      - .offset:         144
        .size:           4
        .value_kind:     by_value
      - .offset:         152
        .size:           8
        .value_kind:     by_value
      - .offset:         160
        .size:           4
        .value_kind:     by_value
      - .offset:         164
        .size:           4
        .value_kind:     by_value
      - .offset:         168
        .size:           8
        .value_kind:     by_value
      - .offset:         176
        .size:           4
        .value_kind:     by_value
      - .offset:         180
        .size:           4
        .value_kind:     by_value
      - .offset:         184
        .size:           4
        .value_kind:     by_value
      - .offset:         188
        .size:           4
        .value_kind:     by_value
      - .offset:         192
        .size:           4
        .value_kind:     by_value
      - .offset:         200
        .size:           8
        .value_kind:     by_value
      - .offset:         208
        .size:           4
        .value_kind:     hidden_block_count_x
      - .offset:         212
        .size:           4
        .value_kind:     hidden_block_count_y
      - .offset:         216
        .size:           4
        .value_kind:     hidden_block_count_z
      - .offset:         220
        .size:           2
        .value_kind:     hidden_group_size_x
      - .offset:         222
        .size:           2
        .value_kind:     hidden_group_size_y
      - .offset:         224
        .size:           2
        .value_kind:     hidden_group_size_z
      - .offset:         226
        .size:           2
        .value_kind:     hidden_remainder_x
      - .offset:         228
        .size:           2
        .value_kind:     hidden_remainder_y
      - .offset:         230
        .size:           2
        .value_kind:     hidden_remainder_z
      - .offset:         248
        .size:           8
        .value_kind:     hidden_global_offset_x
      - .offset:         256
        .size:           8
        .value_kind:     hidden_global_offset_y
      - .offset:         264
        .size:           8
        .value_kind:     hidden_global_offset_z
      - .offset:         272
        .size:           2
        .value_kind:     hidden_grid_dims
    .group_segment_fixed_size: 22592
    .kernarg_segment_align: 8
    .kernarg_segment_size: 464
    .language:       OpenCL C
    .language_version:
      - 2
      - 0
    .max_flat_workgroup_size: 256
    .name:           _ZL15flash_attn_tileILi112ELi112ELi32ELi2ELb0EEvPKcS1_S1_S1_S1_PKiPfP15HIP_vector_typeIfLj2EEffffjfiS5_IjLj3EEiiiiiiiiiiiliiliiiiil
    .private_segment_fixed_size: 344
    .sgpr_count:     92
    .sgpr_spill_count: 0
    .symbol:         _ZL15flash_attn_tileILi112ELi112ELi32ELi2ELb0EEvPKcS1_S1_S1_S1_PKiPfP15HIP_vector_typeIfLj2EEffffjfiS5_IjLj3EEiiiiiiiiiiiliiliiiiil.kd
    .uniform_work_group_size: 1
    .uses_dynamic_stack: false
    .vgpr_count:     128
    .vgpr_spill_count: 100
    .wavefront_size: 64
  - .args:
      - .actual_access:  read_only
        .address_space:  global
        .offset:         0
        .size:           8
        .value_kind:     global_buffer
      - .actual_access:  write_only
        .address_space:  global
        .offset:         8
        .size:           8
        .value_kind:     global_buffer
      - .offset:         16
        .size:           4
        .value_kind:     by_value
      - .offset:         20
        .size:           4
        .value_kind:     by_value
      - .offset:         24
        .size:           4
        .value_kind:     by_value
      - .offset:         32
        .size:           4
        .value_kind:     hidden_block_count_x
      - .offset:         36
        .size:           4
        .value_kind:     hidden_block_count_y
      - .offset:         40
        .size:           4
        .value_kind:     hidden_block_count_z
      - .offset:         44
        .size:           2
        .value_kind:     hidden_group_size_x
      - .offset:         46
        .size:           2
        .value_kind:     hidden_group_size_y
      - .offset:         48
        .size:           2
        .value_kind:     hidden_group_size_z
      - .offset:         50
        .size:           2
        .value_kind:     hidden_remainder_x
      - .offset:         52
        .size:           2
        .value_kind:     hidden_remainder_y
      - .offset:         54
        .size:           2
        .value_kind:     hidden_remainder_z
      - .offset:         72
        .size:           8
        .value_kind:     hidden_global_offset_x
      - .offset:         80
        .size:           8
        .value_kind:     hidden_global_offset_y
      - .offset:         88
        .size:           8
        .value_kind:     hidden_global_offset_z
      - .offset:         96
        .size:           2
        .value_kind:     hidden_grid_dims
    .group_segment_fixed_size: 128
    .kernarg_segment_align: 8
    .kernarg_segment_size: 288
    .language:       OpenCL C
    .language_version:
      - 2
      - 0
    .max_flat_workgroup_size: 128
    .name:           _ZL25flash_attn_mask_to_KV_maxILi32EEvPK7__half2Piiii
    .private_segment_fixed_size: 0
    .sgpr_count:     100
    .sgpr_spill_count: 46
    .symbol:         _ZL25flash_attn_mask_to_KV_maxILi32EEvPK7__half2Piiii.kd
    .uniform_work_group_size: 1
    .uses_dynamic_stack: false
    .vgpr_count:     13
    .vgpr_spill_count: 0
    .wavefront_size: 64
  - .args:
      - .address_space:  global
        .offset:         0
        .size:           8
        .value_kind:     global_buffer
      - .address_space:  global
        .offset:         8
        .size:           8
        .value_kind:     global_buffer
      - .offset:         16
        .size:           4
        .value_kind:     by_value
      - .offset:         20
        .size:           4
        .value_kind:     by_value
      - .offset:         24
        .size:           4
        .value_kind:     by_value
      - .offset:         28
        .size:           4
        .value_kind:     by_value
      - .offset:         32
        .size:           4
        .value_kind:     by_value
      - .offset:         36
        .size:           4
        .value_kind:     by_value
      - .offset:         40
        .size:           12
        .value_kind:     by_value
      - .offset:         52
        .size:           12
        .value_kind:     by_value
      - .offset:         64
        .size:           12
        .value_kind:     by_value
    .group_segment_fixed_size: 0
    .kernarg_segment_align: 8
    .kernarg_segment_size: 76
    .language:       OpenCL C
    .language_version:
      - 2
      - 0
    .max_flat_workgroup_size: 112
    .name:           _ZL33flash_attn_stream_k_fixup_uniformILi112ELi32ELi2EEvPfPK15HIP_vector_typeIfLj2EEiiiiiiS1_IjLj3EES5_S5_
    .private_segment_fixed_size: 0
    .sgpr_count:     24
    .sgpr_spill_count: 0
    .symbol:         _ZL33flash_attn_stream_k_fixup_uniformILi112ELi32ELi2EEvPfPK15HIP_vector_typeIfLj2EEiiiiiiS1_IjLj3EES5_S5_.kd
    .uniform_work_group_size: 1
    .uses_dynamic_stack: false
    .vgpr_count:     17
    .vgpr_spill_count: 0
    .wavefront_size: 64
  - .args:
      - .address_space:  global
        .offset:         0
        .size:           8
        .value_kind:     global_buffer
      - .address_space:  global
        .offset:         8
        .size:           8
        .value_kind:     global_buffer
      - .offset:         16
        .size:           4
        .value_kind:     by_value
      - .offset:         20
        .size:           4
        .value_kind:     by_value
      - .offset:         24
        .size:           4
        .value_kind:     by_value
      - .offset:         28
        .size:           4
        .value_kind:     by_value
      - .offset:         32
        .size:           12
        .value_kind:     by_value
      - .offset:         44
        .size:           12
        .value_kind:     by_value
      - .offset:         56
        .size:           12
        .value_kind:     by_value
      - .offset:         68
        .size:           12
        .value_kind:     by_value
      - .offset:         80
        .size:           4
        .value_kind:     hidden_block_count_x
      - .offset:         84
        .size:           4
        .value_kind:     hidden_block_count_y
      - .offset:         88
        .size:           4
        .value_kind:     hidden_block_count_z
      - .offset:         92
        .size:           2
        .value_kind:     hidden_group_size_x
      - .offset:         94
        .size:           2
        .value_kind:     hidden_group_size_y
      - .offset:         96
        .size:           2
        .value_kind:     hidden_group_size_z
      - .offset:         98
        .size:           2
        .value_kind:     hidden_remainder_x
      - .offset:         100
        .size:           2
        .value_kind:     hidden_remainder_y
      - .offset:         102
        .size:           2
        .value_kind:     hidden_remainder_z
      - .offset:         120
        .size:           8
        .value_kind:     hidden_global_offset_x
      - .offset:         128
        .size:           8
        .value_kind:     hidden_global_offset_y
      - .offset:         136
        .size:           8
        .value_kind:     hidden_global_offset_z
      - .offset:         144
        .size:           2
        .value_kind:     hidden_grid_dims
    .group_segment_fixed_size: 0
    .kernarg_segment_align: 8
    .kernarg_segment_size: 336
    .language:       OpenCL C
    .language_version:
      - 2
      - 0
    .max_flat_workgroup_size: 112
    .name:           _ZL33flash_attn_stream_k_fixup_generalILi112ELi32ELi2EEvPfPK15HIP_vector_typeIfLj2EEiiiiS1_IjLj3EES5_S5_S5_
    .private_segment_fixed_size: 0
    .sgpr_count:     40
    .sgpr_spill_count: 0
    .symbol:         _ZL33flash_attn_stream_k_fixup_generalILi112ELi32ELi2EEvPfPK15HIP_vector_typeIfLj2EEiiiiS1_IjLj3EES5_S5_S5_.kd
    .uniform_work_group_size: 1
    .uses_dynamic_stack: false
    .vgpr_count:     18
    .vgpr_spill_count: 0
    .wavefront_size: 64
  - .args:
      - .address_space:  global
        .offset:         0
        .size:           8
        .value_kind:     global_buffer
      - .address_space:  global
        .offset:         8
        .size:           8
        .value_kind:     global_buffer
      - .address_space:  global
        .offset:         16
        .size:           8
        .value_kind:     global_buffer
      - .address_space:  global
        .offset:         24
        .size:           8
        .value_kind:     global_buffer
      - .address_space:  global
        .offset:         32
        .size:           8
        .value_kind:     global_buffer
      - .address_space:  global
        .offset:         40
        .size:           8
        .value_kind:     global_buffer
      - .address_space:  global
        .offset:         48
        .size:           8
        .value_kind:     global_buffer
      - .address_space:  global
        .offset:         56
        .size:           8
        .value_kind:     global_buffer
      - .offset:         64
        .size:           4
        .value_kind:     by_value
      - .offset:         68
        .size:           4
        .value_kind:     by_value
      - .offset:         72
        .size:           4
        .value_kind:     by_value
      - .offset:         76
        .size:           4
        .value_kind:     by_value
      - .offset:         80
        .size:           4
        .value_kind:     by_value
      - .offset:         84
        .size:           4
        .value_kind:     by_value
      - .offset:         88
        .size:           4
        .value_kind:     by_value
      - .offset:         92
        .size:           12
        .value_kind:     by_value
      - .offset:         104
        .size:           4
        .value_kind:     by_value
      - .offset:         108
        .size:           4
        .value_kind:     by_value
      - .offset:         112
        .size:           4
        .value_kind:     by_value
      - .offset:         116
        .size:           4
        .value_kind:     by_value
      - .offset:         120
        .size:           4
        .value_kind:     by_value
      - .offset:         124
        .size:           4
        .value_kind:     by_value
      - .offset:         128
        .size:           4
        .value_kind:     by_value
      - .offset:         132
        .size:           4
        .value_kind:     by_value
      - .offset:         136
        .size:           4
        .value_kind:     by_value
      - .offset:         140
        .size:           4
        .value_kind:     by_value
      - .offset:         144
        .size:           4
        .value_kind:     by_value
      - .offset:         152
        .size:           8
        .value_kind:     by_value
      - .offset:         160
        .size:           4
        .value_kind:     by_value
      - .offset:         164
        .size:           4
        .value_kind:     by_value
      - .offset:         168
        .size:           8
        .value_kind:     by_value
      - .offset:         176
        .size:           4
        .value_kind:     by_value
      - .offset:         180
        .size:           4
        .value_kind:     by_value
      - .offset:         184
        .size:           4
        .value_kind:     by_value
      - .offset:         188
        .size:           4
        .value_kind:     by_value
      - .offset:         192
        .size:           4
        .value_kind:     by_value
      - .offset:         200
        .size:           8
        .value_kind:     by_value
      - .offset:         208
        .size:           4
        .value_kind:     hidden_block_count_x
      - .offset:         212
        .size:           4
        .value_kind:     hidden_block_count_y
      - .offset:         216
        .size:           4
        .value_kind:     hidden_block_count_z
      - .offset:         220
        .size:           2
        .value_kind:     hidden_group_size_x
      - .offset:         222
        .size:           2
        .value_kind:     hidden_group_size_y
      - .offset:         224
        .size:           2
        .value_kind:     hidden_group_size_z
      - .offset:         226
        .size:           2
        .value_kind:     hidden_remainder_x
      - .offset:         228
        .size:           2
        .value_kind:     hidden_remainder_y
      - .offset:         230
        .size:           2
        .value_kind:     hidden_remainder_z
      - .offset:         248
        .size:           8
        .value_kind:     hidden_global_offset_x
      - .offset:         256
        .size:           8
        .value_kind:     hidden_global_offset_y
      - .offset:         264
        .size:           8
        .value_kind:     hidden_global_offset_z
      - .offset:         272
        .size:           2
        .value_kind:     hidden_grid_dims
    .group_segment_fixed_size: 13376
    .kernarg_segment_align: 8
    .kernarg_segment_size: 464
    .language:       OpenCL C
    .language_version:
      - 2
      - 0
    .max_flat_workgroup_size: 256
    .name:           _ZL15flash_attn_tileILi112ELi112ELi16ELi2ELb0EEvPKcS1_S1_S1_S1_PKiPfP15HIP_vector_typeIfLj2EEffffjfiS5_IjLj3EEiiiiiiiiiiiliiliiiiil
    .private_segment_fixed_size: 132
    .sgpr_count:     76
    .sgpr_spill_count: 0
    .symbol:         _ZL15flash_attn_tileILi112ELi112ELi16ELi2ELb0EEvPKcS1_S1_S1_S1_PKiPfP15HIP_vector_typeIfLj2EEffffjfiS5_IjLj3EEiiiiiiiiiiiliiliiiiil.kd
    .uniform_work_group_size: 1
    .uses_dynamic_stack: false
    .vgpr_count:     128
    .vgpr_spill_count: 34
    .wavefront_size: 64
  - .args:
      - .address_space:  global
        .offset:         0
        .size:           8
        .value_kind:     global_buffer
      - .address_space:  global
        .offset:         8
        .size:           8
        .value_kind:     global_buffer
      - .offset:         16
        .size:           4
        .value_kind:     by_value
      - .offset:         20
        .size:           4
        .value_kind:     by_value
      - .offset:         24
        .size:           4
        .value_kind:     by_value
      - .offset:         28
        .size:           4
        .value_kind:     by_value
      - .offset:         32
        .size:           4
        .value_kind:     by_value
      - .offset:         36
        .size:           4
        .value_kind:     by_value
      - .offset:         40
        .size:           12
        .value_kind:     by_value
      - .offset:         52
        .size:           12
        .value_kind:     by_value
      - .offset:         64
        .size:           12
        .value_kind:     by_value
    .group_segment_fixed_size: 0
    .kernarg_segment_align: 8
    .kernarg_segment_size: 76
    .language:       OpenCL C
    .language_version:
      - 2
      - 0
    .max_flat_workgroup_size: 112
    .name:           _ZL33flash_attn_stream_k_fixup_uniformILi112ELi16ELi2EEvPfPK15HIP_vector_typeIfLj2EEiiiiiiS1_IjLj3EES5_S5_
    .private_segment_fixed_size: 0
    .sgpr_count:     24
    .sgpr_spill_count: 0
    .symbol:         _ZL33flash_attn_stream_k_fixup_uniformILi112ELi16ELi2EEvPfPK15HIP_vector_typeIfLj2EEiiiiiiS1_IjLj3EES5_S5_.kd
    .uniform_work_group_size: 1
    .uses_dynamic_stack: false
    .vgpr_count:     17
    .vgpr_spill_count: 0
    .wavefront_size: 64
  - .args:
      - .address_space:  global
        .offset:         0
        .size:           8
        .value_kind:     global_buffer
      - .address_space:  global
        .offset:         8
        .size:           8
        .value_kind:     global_buffer
      - .offset:         16
        .size:           4
        .value_kind:     by_value
      - .offset:         20
        .size:           4
        .value_kind:     by_value
      - .offset:         24
        .size:           4
        .value_kind:     by_value
      - .offset:         28
        .size:           4
        .value_kind:     by_value
      - .offset:         32
        .size:           12
        .value_kind:     by_value
      - .offset:         44
        .size:           12
        .value_kind:     by_value
      - .offset:         56
        .size:           12
        .value_kind:     by_value
      - .offset:         68
        .size:           12
        .value_kind:     by_value
      - .offset:         80
        .size:           4
        .value_kind:     hidden_block_count_x
      - .offset:         84
        .size:           4
        .value_kind:     hidden_block_count_y
      - .offset:         88
        .size:           4
        .value_kind:     hidden_block_count_z
      - .offset:         92
        .size:           2
        .value_kind:     hidden_group_size_x
      - .offset:         94
        .size:           2
        .value_kind:     hidden_group_size_y
      - .offset:         96
        .size:           2
        .value_kind:     hidden_group_size_z
      - .offset:         98
        .size:           2
        .value_kind:     hidden_remainder_x
      - .offset:         100
        .size:           2
        .value_kind:     hidden_remainder_y
      - .offset:         102
        .size:           2
        .value_kind:     hidden_remainder_z
      - .offset:         120
        .size:           8
        .value_kind:     hidden_global_offset_x
      - .offset:         128
        .size:           8
        .value_kind:     hidden_global_offset_y
      - .offset:         136
        .size:           8
        .value_kind:     hidden_global_offset_z
      - .offset:         144
        .size:           2
        .value_kind:     hidden_grid_dims
    .group_segment_fixed_size: 0
    .kernarg_segment_align: 8
    .kernarg_segment_size: 336
    .language:       OpenCL C
    .language_version:
      - 2
      - 0
    .max_flat_workgroup_size: 112
    .name:           _ZL33flash_attn_stream_k_fixup_generalILi112ELi16ELi2EEvPfPK15HIP_vector_typeIfLj2EEiiiiS1_IjLj3EES5_S5_S5_
    .private_segment_fixed_size: 0
    .sgpr_count:     40
    .sgpr_spill_count: 0
    .symbol:         _ZL33flash_attn_stream_k_fixup_generalILi112ELi16ELi2EEvPfPK15HIP_vector_typeIfLj2EEiiiiS1_IjLj3EES5_S5_S5_.kd
    .uniform_work_group_size: 1
    .uses_dynamic_stack: false
    .vgpr_count:     18
    .vgpr_spill_count: 0
    .wavefront_size: 64
  - .args:
      - .address_space:  global
        .offset:         0
        .size:           8
        .value_kind:     global_buffer
      - .address_space:  global
        .offset:         8
        .size:           8
        .value_kind:     global_buffer
      - .address_space:  global
        .offset:         16
        .size:           8
        .value_kind:     global_buffer
      - .address_space:  global
        .offset:         24
        .size:           8
        .value_kind:     global_buffer
      - .address_space:  global
        .offset:         32
        .size:           8
        .value_kind:     global_buffer
      - .address_space:  global
        .offset:         40
        .size:           8
        .value_kind:     global_buffer
      - .address_space:  global
        .offset:         48
        .size:           8
        .value_kind:     global_buffer
      - .address_space:  global
        .offset:         56
        .size:           8
        .value_kind:     global_buffer
      - .offset:         64
        .size:           4
        .value_kind:     by_value
      - .offset:         68
        .size:           4
        .value_kind:     by_value
      - .offset:         72
        .size:           4
        .value_kind:     by_value
      - .offset:         76
        .size:           4
        .value_kind:     by_value
      - .offset:         80
        .size:           4
        .value_kind:     by_value
      - .offset:         84
        .size:           4
        .value_kind:     by_value
      - .offset:         88
        .size:           4
        .value_kind:     by_value
      - .offset:         92
        .size:           12
        .value_kind:     by_value
      - .offset:         104
        .size:           4
        .value_kind:     by_value
      - .offset:         108
        .size:           4
        .value_kind:     by_value
      - .offset:         112
        .size:           4
        .value_kind:     by_value
      - .offset:         116
        .size:           4
        .value_kind:     by_value
      - .offset:         120
        .size:           4
        .value_kind:     by_value
      - .offset:         124
        .size:           4
        .value_kind:     by_value
      - .offset:         128
        .size:           4
        .value_kind:     by_value
      - .offset:         132
        .size:           4
        .value_kind:     by_value
      - .offset:         136
        .size:           4
        .value_kind:     by_value
      - .offset:         140
        .size:           4
        .value_kind:     by_value
      - .offset:         144
        .size:           4
        .value_kind:     by_value
      - .offset:         152
        .size:           8
        .value_kind:     by_value
      - .offset:         160
        .size:           4
        .value_kind:     by_value
      - .offset:         164
        .size:           4
        .value_kind:     by_value
      - .offset:         168
        .size:           8
        .value_kind:     by_value
      - .offset:         176
        .size:           4
        .value_kind:     by_value
      - .offset:         180
        .size:           4
        .value_kind:     by_value
      - .offset:         184
        .size:           4
        .value_kind:     by_value
      - .offset:         188
        .size:           4
        .value_kind:     by_value
      - .offset:         192
        .size:           4
        .value_kind:     by_value
      - .offset:         200
        .size:           8
        .value_kind:     by_value
      - .offset:         208
        .size:           4
        .value_kind:     hidden_block_count_x
      - .offset:         212
        .size:           4
        .value_kind:     hidden_block_count_y
      - .offset:         216
        .size:           4
        .value_kind:     hidden_block_count_z
      - .offset:         220
        .size:           2
        .value_kind:     hidden_group_size_x
      - .offset:         222
        .size:           2
        .value_kind:     hidden_group_size_y
      - .offset:         224
        .size:           2
        .value_kind:     hidden_group_size_z
      - .offset:         226
        .size:           2
        .value_kind:     hidden_remainder_x
      - .offset:         228
        .size:           2
        .value_kind:     hidden_remainder_y
      - .offset:         230
        .size:           2
        .value_kind:     hidden_remainder_z
      - .offset:         248
        .size:           8
        .value_kind:     hidden_global_offset_x
      - .offset:         256
        .size:           8
        .value_kind:     hidden_global_offset_y
      - .offset:         264
        .size:           8
        .value_kind:     hidden_global_offset_z
      - .offset:         272
        .size:           2
        .value_kind:     hidden_grid_dims
    .group_segment_fixed_size: 8768
    .kernarg_segment_align: 8
    .kernarg_segment_size: 464
    .language:       OpenCL C
    .language_version:
      - 2
      - 0
    .max_flat_workgroup_size: 256
    .name:           _ZL15flash_attn_tileILi112ELi112ELi8ELi2ELb0EEvPKcS1_S1_S1_S1_PKiPfP15HIP_vector_typeIfLj2EEffffjfiS5_IjLj3EEiiiiiiiiiiiliiliiiiil
    .private_segment_fixed_size: 0
    .sgpr_count:     60
    .sgpr_spill_count: 0
    .symbol:         _ZL15flash_attn_tileILi112ELi112ELi8ELi2ELb0EEvPKcS1_S1_S1_S1_PKiPfP15HIP_vector_typeIfLj2EEffffjfiS5_IjLj3EEiiiiiiiiiiiliiliiiiil.kd
    .uniform_work_group_size: 1
    .uses_dynamic_stack: false
    .vgpr_count:     113
    .vgpr_spill_count: 0
    .wavefront_size: 64
  - .args:
      - .address_space:  global
        .offset:         0
        .size:           8
        .value_kind:     global_buffer
      - .address_space:  global
        .offset:         8
        .size:           8
        .value_kind:     global_buffer
      - .offset:         16
        .size:           4
        .value_kind:     by_value
      - .offset:         20
        .size:           4
        .value_kind:     by_value
      - .offset:         24
        .size:           4
        .value_kind:     by_value
      - .offset:         28
        .size:           4
        .value_kind:     by_value
      - .offset:         32
        .size:           4
        .value_kind:     by_value
      - .offset:         36
        .size:           4
        .value_kind:     by_value
      - .offset:         40
        .size:           12
        .value_kind:     by_value
      - .offset:         52
        .size:           12
        .value_kind:     by_value
      - .offset:         64
        .size:           12
        .value_kind:     by_value
    .group_segment_fixed_size: 0
    .kernarg_segment_align: 8
    .kernarg_segment_size: 76
    .language:       OpenCL C
    .language_version:
      - 2
      - 0
    .max_flat_workgroup_size: 112
    .name:           _ZL33flash_attn_stream_k_fixup_uniformILi112ELi8ELi2EEvPfPK15HIP_vector_typeIfLj2EEiiiiiiS1_IjLj3EES5_S5_
    .private_segment_fixed_size: 0
    .sgpr_count:     24
    .sgpr_spill_count: 0
    .symbol:         _ZL33flash_attn_stream_k_fixup_uniformILi112ELi8ELi2EEvPfPK15HIP_vector_typeIfLj2EEiiiiiiS1_IjLj3EES5_S5_.kd
    .uniform_work_group_size: 1
    .uses_dynamic_stack: false
    .vgpr_count:     17
    .vgpr_spill_count: 0
    .wavefront_size: 64
  - .args:
      - .address_space:  global
        .offset:         0
        .size:           8
        .value_kind:     global_buffer
      - .address_space:  global
        .offset:         8
        .size:           8
        .value_kind:     global_buffer
      - .offset:         16
        .size:           4
        .value_kind:     by_value
      - .offset:         20
        .size:           4
        .value_kind:     by_value
      - .offset:         24
        .size:           4
        .value_kind:     by_value
      - .offset:         28
        .size:           4
        .value_kind:     by_value
      - .offset:         32
        .size:           12
        .value_kind:     by_value
      - .offset:         44
        .size:           12
        .value_kind:     by_value
      - .offset:         56
        .size:           12
        .value_kind:     by_value
      - .offset:         68
        .size:           12
        .value_kind:     by_value
      - .offset:         80
        .size:           4
        .value_kind:     hidden_block_count_x
      - .offset:         84
        .size:           4
        .value_kind:     hidden_block_count_y
      - .offset:         88
        .size:           4
        .value_kind:     hidden_block_count_z
      - .offset:         92
        .size:           2
        .value_kind:     hidden_group_size_x
      - .offset:         94
        .size:           2
        .value_kind:     hidden_group_size_y
      - .offset:         96
        .size:           2
        .value_kind:     hidden_group_size_z
      - .offset:         98
        .size:           2
        .value_kind:     hidden_remainder_x
      - .offset:         100
        .size:           2
        .value_kind:     hidden_remainder_y
      - .offset:         102
        .size:           2
        .value_kind:     hidden_remainder_z
      - .offset:         120
        .size:           8
        .value_kind:     hidden_global_offset_x
      - .offset:         128
        .size:           8
        .value_kind:     hidden_global_offset_y
      - .offset:         136
        .size:           8
        .value_kind:     hidden_global_offset_z
      - .offset:         144
        .size:           2
        .value_kind:     hidden_grid_dims
    .group_segment_fixed_size: 0
    .kernarg_segment_align: 8
    .kernarg_segment_size: 336
    .language:       OpenCL C
    .language_version:
      - 2
      - 0
    .max_flat_workgroup_size: 112
    .name:           _ZL33flash_attn_stream_k_fixup_generalILi112ELi8ELi2EEvPfPK15HIP_vector_typeIfLj2EEiiiiS1_IjLj3EES5_S5_S5_
    .private_segment_fixed_size: 0
    .sgpr_count:     40
    .sgpr_spill_count: 0
    .symbol:         _ZL33flash_attn_stream_k_fixup_generalILi112ELi8ELi2EEvPfPK15HIP_vector_typeIfLj2EEiiiiS1_IjLj3EES5_S5_S5_.kd
    .uniform_work_group_size: 1
    .uses_dynamic_stack: false
    .vgpr_count:     18
    .vgpr_spill_count: 0
    .wavefront_size: 64
  - .args:
      - .address_space:  global
        .offset:         0
        .size:           8
        .value_kind:     global_buffer
      - .address_space:  global
        .offset:         8
        .size:           8
        .value_kind:     global_buffer
      - .address_space:  global
        .offset:         16
        .size:           8
        .value_kind:     global_buffer
      - .address_space:  global
        .offset:         24
        .size:           8
        .value_kind:     global_buffer
      - .address_space:  global
        .offset:         32
        .size:           8
        .value_kind:     global_buffer
      - .address_space:  global
        .offset:         40
        .size:           8
        .value_kind:     global_buffer
      - .address_space:  global
        .offset:         48
        .size:           8
        .value_kind:     global_buffer
      - .address_space:  global
        .offset:         56
        .size:           8
        .value_kind:     global_buffer
      - .offset:         64
        .size:           4
        .value_kind:     by_value
      - .offset:         68
        .size:           4
        .value_kind:     by_value
      - .offset:         72
        .size:           4
        .value_kind:     by_value
      - .offset:         76
        .size:           4
        .value_kind:     by_value
      - .offset:         80
        .size:           4
        .value_kind:     by_value
      - .offset:         84
        .size:           4
        .value_kind:     by_value
      - .offset:         88
        .size:           4
        .value_kind:     by_value
      - .offset:         92
        .size:           12
        .value_kind:     by_value
      - .offset:         104
        .size:           4
        .value_kind:     by_value
      - .offset:         108
        .size:           4
        .value_kind:     by_value
      - .offset:         112
        .size:           4
        .value_kind:     by_value
      - .offset:         116
        .size:           4
        .value_kind:     by_value
      - .offset:         120
        .size:           4
        .value_kind:     by_value
      - .offset:         124
        .size:           4
        .value_kind:     by_value
      - .offset:         128
        .size:           4
        .value_kind:     by_value
      - .offset:         132
        .size:           4
        .value_kind:     by_value
      - .offset:         136
        .size:           4
        .value_kind:     by_value
      - .offset:         140
        .size:           4
        .value_kind:     by_value
      - .offset:         144
        .size:           4
        .value_kind:     by_value
      - .offset:         152
        .size:           8
        .value_kind:     by_value
      - .offset:         160
        .size:           4
        .value_kind:     by_value
      - .offset:         164
        .size:           4
        .value_kind:     by_value
      - .offset:         168
        .size:           8
        .value_kind:     by_value
      - .offset:         176
        .size:           4
        .value_kind:     by_value
      - .offset:         180
        .size:           4
        .value_kind:     by_value
      - .offset:         184
        .size:           4
        .value_kind:     by_value
      - .offset:         188
        .size:           4
        .value_kind:     by_value
      - .offset:         192
        .size:           4
        .value_kind:     by_value
      - .offset:         200
        .size:           8
        .value_kind:     by_value
      - .offset:         208
        .size:           4
        .value_kind:     hidden_block_count_x
      - .offset:         212
        .size:           4
        .value_kind:     hidden_block_count_y
      - .offset:         216
        .size:           4
        .value_kind:     hidden_block_count_z
      - .offset:         220
        .size:           2
        .value_kind:     hidden_group_size_x
      - .offset:         222
        .size:           2
        .value_kind:     hidden_group_size_y
      - .offset:         224
        .size:           2
        .value_kind:     hidden_group_size_z
      - .offset:         226
        .size:           2
        .value_kind:     hidden_remainder_x
      - .offset:         228
        .size:           2
        .value_kind:     hidden_remainder_y
      - .offset:         230
        .size:           2
        .value_kind:     hidden_remainder_z
      - .offset:         248
        .size:           8
        .value_kind:     hidden_global_offset_x
      - .offset:         256
        .size:           8
        .value_kind:     hidden_global_offset_y
      - .offset:         264
        .size:           8
        .value_kind:     hidden_global_offset_z
      - .offset:         272
        .size:           2
        .value_kind:     hidden_grid_dims
    .group_segment_fixed_size: 6464
    .kernarg_segment_align: 8
    .kernarg_segment_size: 464
    .language:       OpenCL C
    .language_version:
      - 2
      - 0
    .max_flat_workgroup_size: 256
    .name:           _ZL15flash_attn_tileILi112ELi112ELi4ELi2ELb0EEvPKcS1_S1_S1_S1_PKiPfP15HIP_vector_typeIfLj2EEffffjfiS5_IjLj3EEiiiiiiiiiiiliiliiiiil
    .private_segment_fixed_size: 0
    .sgpr_count:     57
    .sgpr_spill_count: 0
    .symbol:         _ZL15flash_attn_tileILi112ELi112ELi4ELi2ELb0EEvPKcS1_S1_S1_S1_PKiPfP15HIP_vector_typeIfLj2EEffffjfiS5_IjLj3EEiiiiiiiiiiiliiliiiiil.kd
    .uniform_work_group_size: 1
    .uses_dynamic_stack: false
    .vgpr_count:     94
    .vgpr_spill_count: 0
    .wavefront_size: 64
  - .args:
      - .address_space:  global
        .offset:         0
        .size:           8
        .value_kind:     global_buffer
      - .address_space:  global
        .offset:         8
        .size:           8
        .value_kind:     global_buffer
      - .offset:         16
        .size:           4
        .value_kind:     by_value
      - .offset:         20
        .size:           4
        .value_kind:     by_value
      - .offset:         24
        .size:           4
        .value_kind:     by_value
      - .offset:         28
        .size:           4
        .value_kind:     by_value
      - .offset:         32
        .size:           4
        .value_kind:     by_value
      - .offset:         36
        .size:           4
        .value_kind:     by_value
      - .offset:         40
        .size:           12
        .value_kind:     by_value
      - .offset:         52
        .size:           12
        .value_kind:     by_value
      - .offset:         64
        .size:           12
        .value_kind:     by_value
    .group_segment_fixed_size: 0
    .kernarg_segment_align: 8
    .kernarg_segment_size: 76
    .language:       OpenCL C
    .language_version:
      - 2
      - 0
    .max_flat_workgroup_size: 112
    .name:           _ZL33flash_attn_stream_k_fixup_uniformILi112ELi4ELi2EEvPfPK15HIP_vector_typeIfLj2EEiiiiiiS1_IjLj3EES5_S5_
    .private_segment_fixed_size: 0
    .sgpr_count:     24
    .sgpr_spill_count: 0
    .symbol:         _ZL33flash_attn_stream_k_fixup_uniformILi112ELi4ELi2EEvPfPK15HIP_vector_typeIfLj2EEiiiiiiS1_IjLj3EES5_S5_.kd
    .uniform_work_group_size: 1
    .uses_dynamic_stack: false
    .vgpr_count:     17
    .vgpr_spill_count: 0
    .wavefront_size: 64
  - .args:
      - .address_space:  global
        .offset:         0
        .size:           8
        .value_kind:     global_buffer
      - .address_space:  global
        .offset:         8
        .size:           8
        .value_kind:     global_buffer
      - .offset:         16
        .size:           4
        .value_kind:     by_value
      - .offset:         20
        .size:           4
        .value_kind:     by_value
      - .offset:         24
        .size:           4
        .value_kind:     by_value
      - .offset:         28
        .size:           4
        .value_kind:     by_value
      - .offset:         32
        .size:           12
        .value_kind:     by_value
      - .offset:         44
        .size:           12
        .value_kind:     by_value
      - .offset:         56
        .size:           12
        .value_kind:     by_value
      - .offset:         68
        .size:           12
        .value_kind:     by_value
      - .offset:         80
        .size:           4
        .value_kind:     hidden_block_count_x
      - .offset:         84
        .size:           4
        .value_kind:     hidden_block_count_y
      - .offset:         88
        .size:           4
        .value_kind:     hidden_block_count_z
      - .offset:         92
        .size:           2
        .value_kind:     hidden_group_size_x
      - .offset:         94
        .size:           2
        .value_kind:     hidden_group_size_y
      - .offset:         96
        .size:           2
        .value_kind:     hidden_group_size_z
      - .offset:         98
        .size:           2
        .value_kind:     hidden_remainder_x
      - .offset:         100
        .size:           2
        .value_kind:     hidden_remainder_y
      - .offset:         102
        .size:           2
        .value_kind:     hidden_remainder_z
      - .offset:         120
        .size:           8
        .value_kind:     hidden_global_offset_x
      - .offset:         128
        .size:           8
        .value_kind:     hidden_global_offset_y
      - .offset:         136
        .size:           8
        .value_kind:     hidden_global_offset_z
      - .offset:         144
        .size:           2
        .value_kind:     hidden_grid_dims
    .group_segment_fixed_size: 0
    .kernarg_segment_align: 8
    .kernarg_segment_size: 336
    .language:       OpenCL C
    .language_version:
      - 2
      - 0
    .max_flat_workgroup_size: 112
    .name:           _ZL33flash_attn_stream_k_fixup_generalILi112ELi4ELi2EEvPfPK15HIP_vector_typeIfLj2EEiiiiS1_IjLj3EES5_S5_S5_
    .private_segment_fixed_size: 0
    .sgpr_count:     40
    .sgpr_spill_count: 0
    .symbol:         _ZL33flash_attn_stream_k_fixup_generalILi112ELi4ELi2EEvPfPK15HIP_vector_typeIfLj2EEiiiiS1_IjLj3EES5_S5_S5_.kd
    .uniform_work_group_size: 1
    .uses_dynamic_stack: false
    .vgpr_count:     18
    .vgpr_spill_count: 0
    .wavefront_size: 64
  - .args:
      - .address_space:  global
        .offset:         0
        .size:           8
        .value_kind:     global_buffer
      - .address_space:  global
        .offset:         8
        .size:           8
        .value_kind:     global_buffer
      - .address_space:  global
        .offset:         16
        .size:           8
        .value_kind:     global_buffer
      - .address_space:  global
        .offset:         24
        .size:           8
        .value_kind:     global_buffer
      - .address_space:  global
        .offset:         32
        .size:           8
        .value_kind:     global_buffer
      - .address_space:  global
        .offset:         40
        .size:           8
        .value_kind:     global_buffer
      - .address_space:  global
        .offset:         48
        .size:           8
        .value_kind:     global_buffer
      - .address_space:  global
        .offset:         56
        .size:           8
        .value_kind:     global_buffer
      - .offset:         64
        .size:           4
        .value_kind:     by_value
      - .offset:         68
        .size:           4
        .value_kind:     by_value
      - .offset:         72
        .size:           4
        .value_kind:     by_value
      - .offset:         76
        .size:           4
        .value_kind:     by_value
      - .offset:         80
        .size:           4
        .value_kind:     by_value
      - .offset:         84
        .size:           4
        .value_kind:     by_value
      - .offset:         88
        .size:           4
        .value_kind:     by_value
      - .offset:         92
        .size:           12
        .value_kind:     by_value
      - .offset:         104
        .size:           4
        .value_kind:     by_value
      - .offset:         108
        .size:           4
        .value_kind:     by_value
      - .offset:         112
        .size:           4
        .value_kind:     by_value
      - .offset:         116
        .size:           4
        .value_kind:     by_value
      - .offset:         120
        .size:           4
        .value_kind:     by_value
      - .offset:         124
        .size:           4
        .value_kind:     by_value
      - .offset:         128
        .size:           4
        .value_kind:     by_value
      - .offset:         132
        .size:           4
        .value_kind:     by_value
      - .offset:         136
        .size:           4
        .value_kind:     by_value
      - .offset:         140
        .size:           4
        .value_kind:     by_value
      - .offset:         144
        .size:           4
        .value_kind:     by_value
      - .offset:         152
        .size:           8
        .value_kind:     by_value
      - .offset:         160
        .size:           4
        .value_kind:     by_value
      - .offset:         164
        .size:           4
        .value_kind:     by_value
      - .offset:         168
        .size:           8
        .value_kind:     by_value
      - .offset:         176
        .size:           4
        .value_kind:     by_value
      - .offset:         180
        .size:           4
        .value_kind:     by_value
      - .offset:         184
        .size:           4
        .value_kind:     by_value
      - .offset:         188
        .size:           4
        .value_kind:     by_value
      - .offset:         192
        .size:           4
        .value_kind:     by_value
      - .offset:         200
        .size:           8
        .value_kind:     by_value
      - .offset:         208
        .size:           4
        .value_kind:     hidden_block_count_x
      - .offset:         212
        .size:           4
        .value_kind:     hidden_block_count_y
      - .offset:         216
        .size:           4
        .value_kind:     hidden_block_count_z
      - .offset:         220
        .size:           2
        .value_kind:     hidden_group_size_x
      - .offset:         222
        .size:           2
        .value_kind:     hidden_group_size_y
      - .offset:         224
        .size:           2
        .value_kind:     hidden_group_size_z
      - .offset:         226
        .size:           2
        .value_kind:     hidden_remainder_x
      - .offset:         228
        .size:           2
        .value_kind:     hidden_remainder_y
      - .offset:         230
        .size:           2
        .value_kind:     hidden_remainder_z
      - .offset:         248
        .size:           8
        .value_kind:     hidden_global_offset_x
      - .offset:         256
        .size:           8
        .value_kind:     hidden_global_offset_y
      - .offset:         264
        .size:           8
        .value_kind:     hidden_global_offset_z
      - .offset:         272
        .size:           2
        .value_kind:     hidden_grid_dims
    .group_segment_fixed_size: 5312
    .kernarg_segment_align: 8
    .kernarg_segment_size: 464
    .language:       OpenCL C
    .language_version:
      - 2
      - 0
    .max_flat_workgroup_size: 128
    .name:           _ZL15flash_attn_tileILi112ELi112ELi2ELi2ELb0EEvPKcS1_S1_S1_S1_PKiPfP15HIP_vector_typeIfLj2EEffffjfiS5_IjLj3EEiiiiiiiiiiiliiliiiiil
    .private_segment_fixed_size: 0
    .sgpr_count:     53
    .sgpr_spill_count: 0
    .symbol:         _ZL15flash_attn_tileILi112ELi112ELi2ELi2ELb0EEvPKcS1_S1_S1_S1_PKiPfP15HIP_vector_typeIfLj2EEffffjfiS5_IjLj3EEiiiiiiiiiiiliiliiiiil.kd
    .uniform_work_group_size: 1
    .uses_dynamic_stack: false
    .vgpr_count:     99
    .vgpr_spill_count: 0
    .wavefront_size: 64
  - .args:
      - .address_space:  global
        .offset:         0
        .size:           8
        .value_kind:     global_buffer
      - .address_space:  global
        .offset:         8
        .size:           8
        .value_kind:     global_buffer
      - .offset:         16
        .size:           4
        .value_kind:     by_value
      - .offset:         20
        .size:           4
        .value_kind:     by_value
      - .offset:         24
        .size:           4
        .value_kind:     by_value
      - .offset:         28
        .size:           4
        .value_kind:     by_value
      - .offset:         32
        .size:           4
        .value_kind:     by_value
      - .offset:         36
        .size:           4
        .value_kind:     by_value
      - .offset:         40
        .size:           12
        .value_kind:     by_value
      - .offset:         52
        .size:           12
        .value_kind:     by_value
      - .offset:         64
        .size:           12
        .value_kind:     by_value
    .group_segment_fixed_size: 0
    .kernarg_segment_align: 8
    .kernarg_segment_size: 76
    .language:       OpenCL C
    .language_version:
      - 2
      - 0
    .max_flat_workgroup_size: 112
    .name:           _ZL33flash_attn_stream_k_fixup_uniformILi112ELi2ELi2EEvPfPK15HIP_vector_typeIfLj2EEiiiiiiS1_IjLj3EES5_S5_
    .private_segment_fixed_size: 0
    .sgpr_count:     24
    .sgpr_spill_count: 0
    .symbol:         _ZL33flash_attn_stream_k_fixup_uniformILi112ELi2ELi2EEvPfPK15HIP_vector_typeIfLj2EEiiiiiiS1_IjLj3EES5_S5_.kd
    .uniform_work_group_size: 1
    .uses_dynamic_stack: false
    .vgpr_count:     17
    .vgpr_spill_count: 0
    .wavefront_size: 64
  - .args:
      - .address_space:  global
        .offset:         0
        .size:           8
        .value_kind:     global_buffer
      - .address_space:  global
        .offset:         8
        .size:           8
        .value_kind:     global_buffer
      - .offset:         16
        .size:           4
        .value_kind:     by_value
      - .offset:         20
        .size:           4
        .value_kind:     by_value
      - .offset:         24
        .size:           4
        .value_kind:     by_value
      - .offset:         28
        .size:           4
        .value_kind:     by_value
      - .offset:         32
        .size:           12
        .value_kind:     by_value
      - .offset:         44
        .size:           12
        .value_kind:     by_value
      - .offset:         56
        .size:           12
        .value_kind:     by_value
      - .offset:         68
        .size:           12
        .value_kind:     by_value
      - .offset:         80
        .size:           4
        .value_kind:     hidden_block_count_x
      - .offset:         84
        .size:           4
        .value_kind:     hidden_block_count_y
      - .offset:         88
        .size:           4
        .value_kind:     hidden_block_count_z
      - .offset:         92
        .size:           2
        .value_kind:     hidden_group_size_x
      - .offset:         94
        .size:           2
        .value_kind:     hidden_group_size_y
      - .offset:         96
        .size:           2
        .value_kind:     hidden_group_size_z
      - .offset:         98
        .size:           2
        .value_kind:     hidden_remainder_x
      - .offset:         100
        .size:           2
        .value_kind:     hidden_remainder_y
      - .offset:         102
        .size:           2
        .value_kind:     hidden_remainder_z
      - .offset:         120
        .size:           8
        .value_kind:     hidden_global_offset_x
      - .offset:         128
        .size:           8
        .value_kind:     hidden_global_offset_y
      - .offset:         136
        .size:           8
        .value_kind:     hidden_global_offset_z
      - .offset:         144
        .size:           2
        .value_kind:     hidden_grid_dims
    .group_segment_fixed_size: 0
    .kernarg_segment_align: 8
    .kernarg_segment_size: 336
    .language:       OpenCL C
    .language_version:
      - 2
      - 0
    .max_flat_workgroup_size: 112
    .name:           _ZL33flash_attn_stream_k_fixup_generalILi112ELi2ELi2EEvPfPK15HIP_vector_typeIfLj2EEiiiiS1_IjLj3EES5_S5_S5_
    .private_segment_fixed_size: 0
    .sgpr_count:     40
    .sgpr_spill_count: 0
    .symbol:         _ZL33flash_attn_stream_k_fixup_generalILi112ELi2ELi2EEvPfPK15HIP_vector_typeIfLj2EEiiiiS1_IjLj3EES5_S5_S5_.kd
    .uniform_work_group_size: 1
    .uses_dynamic_stack: false
    .vgpr_count:     18
    .vgpr_spill_count: 0
    .wavefront_size: 64
  - .args:
      - .address_space:  global
        .offset:         0
        .size:           8
        .value_kind:     global_buffer
      - .address_space:  global
        .offset:         8
        .size:           8
        .value_kind:     global_buffer
      - .address_space:  global
        .offset:         16
        .size:           8
        .value_kind:     global_buffer
      - .address_space:  global
        .offset:         24
        .size:           8
        .value_kind:     global_buffer
      - .address_space:  global
        .offset:         32
        .size:           8
        .value_kind:     global_buffer
      - .address_space:  global
        .offset:         40
        .size:           8
        .value_kind:     global_buffer
      - .address_space:  global
        .offset:         48
        .size:           8
        .value_kind:     global_buffer
      - .address_space:  global
        .offset:         56
        .size:           8
        .value_kind:     global_buffer
      - .offset:         64
        .size:           4
        .value_kind:     by_value
      - .offset:         68
        .size:           4
        .value_kind:     by_value
      - .offset:         72
        .size:           4
        .value_kind:     by_value
      - .offset:         76
        .size:           4
        .value_kind:     by_value
      - .offset:         80
        .size:           4
        .value_kind:     by_value
      - .offset:         84
        .size:           4
        .value_kind:     by_value
      - .offset:         88
        .size:           4
        .value_kind:     by_value
      - .offset:         92
        .size:           12
        .value_kind:     by_value
      - .offset:         104
        .size:           4
        .value_kind:     by_value
      - .offset:         108
        .size:           4
        .value_kind:     by_value
      - .offset:         112
        .size:           4
        .value_kind:     by_value
      - .offset:         116
        .size:           4
        .value_kind:     by_value
      - .offset:         120
        .size:           4
        .value_kind:     by_value
      - .offset:         124
        .size:           4
        .value_kind:     by_value
      - .offset:         128
        .size:           4
        .value_kind:     by_value
      - .offset:         132
        .size:           4
        .value_kind:     by_value
      - .offset:         136
        .size:           4
        .value_kind:     by_value
      - .offset:         140
        .size:           4
        .value_kind:     by_value
      - .offset:         144
        .size:           4
        .value_kind:     by_value
      - .offset:         152
        .size:           8
        .value_kind:     by_value
      - .offset:         160
        .size:           4
        .value_kind:     by_value
      - .offset:         164
        .size:           4
        .value_kind:     by_value
      - .offset:         168
        .size:           8
        .value_kind:     by_value
      - .offset:         176
        .size:           4
        .value_kind:     by_value
      - .offset:         180
        .size:           4
        .value_kind:     by_value
      - .offset:         184
        .size:           4
        .value_kind:     by_value
      - .offset:         188
        .size:           4
        .value_kind:     by_value
      - .offset:         192
        .size:           4
        .value_kind:     by_value
      - .offset:         200
        .size:           8
        .value_kind:     by_value
      - .offset:         208
        .size:           4
        .value_kind:     hidden_block_count_x
      - .offset:         212
        .size:           4
        .value_kind:     hidden_block_count_y
      - .offset:         216
        .size:           4
        .value_kind:     hidden_block_count_z
      - .offset:         220
        .size:           2
        .value_kind:     hidden_group_size_x
      - .offset:         222
        .size:           2
        .value_kind:     hidden_group_size_y
      - .offset:         224
        .size:           2
        .value_kind:     hidden_group_size_z
      - .offset:         226
        .size:           2
        .value_kind:     hidden_remainder_x
      - .offset:         228
        .size:           2
        .value_kind:     hidden_remainder_y
      - .offset:         230
        .size:           2
        .value_kind:     hidden_remainder_z
      - .offset:         248
        .size:           8
        .value_kind:     hidden_global_offset_x
      - .offset:         256
        .size:           8
        .value_kind:     hidden_global_offset_y
      - .offset:         264
        .size:           8
        .value_kind:     hidden_global_offset_z
      - .offset:         272
        .size:           2
        .value_kind:     hidden_grid_dims
    .group_segment_fixed_size: 4736
    .kernarg_segment_align: 8
    .kernarg_segment_size: 464
    .language:       OpenCL C
    .language_version:
      - 2
      - 0
    .max_flat_workgroup_size: 64
    .name:           _ZL15flash_attn_tileILi112ELi112ELi1ELi2ELb0EEvPKcS1_S1_S1_S1_PKiPfP15HIP_vector_typeIfLj2EEffffjfiS5_IjLj3EEiiiiiiiiiiiliiliiiiil
    .private_segment_fixed_size: 0
    .sgpr_count:     49
    .sgpr_spill_count: 0
    .symbol:         _ZL15flash_attn_tileILi112ELi112ELi1ELi2ELb0EEvPKcS1_S1_S1_S1_PKiPfP15HIP_vector_typeIfLj2EEffffjfiS5_IjLj3EEiiiiiiiiiiiliiliiiiil.kd
    .uniform_work_group_size: 1
    .uses_dynamic_stack: false
    .vgpr_count:     112
    .vgpr_spill_count: 0
    .wavefront_size: 64
  - .args:
      - .address_space:  global
        .offset:         0
        .size:           8
        .value_kind:     global_buffer
      - .address_space:  global
        .offset:         8
        .size:           8
        .value_kind:     global_buffer
      - .offset:         16
        .size:           4
        .value_kind:     by_value
      - .offset:         20
        .size:           4
        .value_kind:     by_value
      - .offset:         24
        .size:           4
        .value_kind:     by_value
      - .offset:         28
        .size:           4
        .value_kind:     by_value
      - .offset:         32
        .size:           4
        .value_kind:     by_value
      - .offset:         36
        .size:           4
        .value_kind:     by_value
      - .offset:         40
        .size:           12
        .value_kind:     by_value
      - .offset:         52
        .size:           12
        .value_kind:     by_value
      - .offset:         64
        .size:           12
        .value_kind:     by_value
    .group_segment_fixed_size: 0
    .kernarg_segment_align: 8
    .kernarg_segment_size: 76
    .language:       OpenCL C
    .language_version:
      - 2
      - 0
    .max_flat_workgroup_size: 112
    .name:           _ZL33flash_attn_stream_k_fixup_uniformILi112ELi1ELi2EEvPfPK15HIP_vector_typeIfLj2EEiiiiiiS1_IjLj3EES5_S5_
    .private_segment_fixed_size: 0
    .sgpr_count:     24
    .sgpr_spill_count: 0
    .symbol:         _ZL33flash_attn_stream_k_fixup_uniformILi112ELi1ELi2EEvPfPK15HIP_vector_typeIfLj2EEiiiiiiS1_IjLj3EES5_S5_.kd
    .uniform_work_group_size: 1
    .uses_dynamic_stack: false
    .vgpr_count:     17
    .vgpr_spill_count: 0
    .wavefront_size: 64
  - .args:
      - .address_space:  global
        .offset:         0
        .size:           8
        .value_kind:     global_buffer
      - .address_space:  global
        .offset:         8
        .size:           8
        .value_kind:     global_buffer
      - .offset:         16
        .size:           4
        .value_kind:     by_value
      - .offset:         20
        .size:           4
        .value_kind:     by_value
      - .offset:         24
        .size:           4
        .value_kind:     by_value
      - .offset:         28
        .size:           4
        .value_kind:     by_value
      - .offset:         32
        .size:           12
        .value_kind:     by_value
      - .offset:         44
        .size:           12
        .value_kind:     by_value
      - .offset:         56
        .size:           12
        .value_kind:     by_value
      - .offset:         68
        .size:           12
        .value_kind:     by_value
      - .offset:         80
        .size:           4
        .value_kind:     hidden_block_count_x
      - .offset:         84
        .size:           4
        .value_kind:     hidden_block_count_y
      - .offset:         88
        .size:           4
        .value_kind:     hidden_block_count_z
      - .offset:         92
        .size:           2
        .value_kind:     hidden_group_size_x
      - .offset:         94
        .size:           2
        .value_kind:     hidden_group_size_y
      - .offset:         96
        .size:           2
        .value_kind:     hidden_group_size_z
      - .offset:         98
        .size:           2
        .value_kind:     hidden_remainder_x
      - .offset:         100
        .size:           2
        .value_kind:     hidden_remainder_y
      - .offset:         102
        .size:           2
        .value_kind:     hidden_remainder_z
      - .offset:         120
        .size:           8
        .value_kind:     hidden_global_offset_x
      - .offset:         128
        .size:           8
        .value_kind:     hidden_global_offset_y
      - .offset:         136
        .size:           8
        .value_kind:     hidden_global_offset_z
      - .offset:         144
        .size:           2
        .value_kind:     hidden_grid_dims
    .group_segment_fixed_size: 0
    .kernarg_segment_align: 8
    .kernarg_segment_size: 336
    .language:       OpenCL C
    .language_version:
      - 2
      - 0
    .max_flat_workgroup_size: 112
    .name:           _ZL33flash_attn_stream_k_fixup_generalILi112ELi1ELi2EEvPfPK15HIP_vector_typeIfLj2EEiiiiS1_IjLj3EES5_S5_S5_
    .private_segment_fixed_size: 0
    .sgpr_count:     41
    .sgpr_spill_count: 0
    .symbol:         _ZL33flash_attn_stream_k_fixup_generalILi112ELi1ELi2EEvPfPK15HIP_vector_typeIfLj2EEiiiiS1_IjLj3EES5_S5_S5_.kd
    .uniform_work_group_size: 1
    .uses_dynamic_stack: false
    .vgpr_count:     18
    .vgpr_spill_count: 0
    .wavefront_size: 64
  - .args:
      - .address_space:  global
        .offset:         0
        .size:           8
        .value_kind:     global_buffer
      - .address_space:  global
        .offset:         8
        .size:           8
        .value_kind:     global_buffer
      - .address_space:  global
        .offset:         16
        .size:           8
        .value_kind:     global_buffer
      - .address_space:  global
        .offset:         24
        .size:           8
        .value_kind:     global_buffer
      - .address_space:  global
        .offset:         32
        .size:           8
        .value_kind:     global_buffer
      - .address_space:  global
        .offset:         40
        .size:           8
        .value_kind:     global_buffer
      - .address_space:  global
        .offset:         48
        .size:           8
        .value_kind:     global_buffer
      - .address_space:  global
        .offset:         56
        .size:           8
        .value_kind:     global_buffer
      - .offset:         64
        .size:           4
        .value_kind:     by_value
      - .offset:         68
        .size:           4
        .value_kind:     by_value
      - .offset:         72
        .size:           4
        .value_kind:     by_value
      - .offset:         76
        .size:           4
        .value_kind:     by_value
      - .offset:         80
        .size:           4
        .value_kind:     by_value
      - .offset:         84
        .size:           4
        .value_kind:     by_value
      - .offset:         88
        .size:           4
        .value_kind:     by_value
      - .offset:         92
        .size:           12
        .value_kind:     by_value
      - .offset:         104
        .size:           4
        .value_kind:     by_value
      - .offset:         108
        .size:           4
        .value_kind:     by_value
      - .offset:         112
        .size:           4
        .value_kind:     by_value
      - .offset:         116
        .size:           4
        .value_kind:     by_value
      - .offset:         120
        .size:           4
        .value_kind:     by_value
      - .offset:         124
        .size:           4
        .value_kind:     by_value
      - .offset:         128
        .size:           4
        .value_kind:     by_value
      - .offset:         132
        .size:           4
        .value_kind:     by_value
      - .offset:         136
        .size:           4
        .value_kind:     by_value
      - .offset:         140
        .size:           4
        .value_kind:     by_value
      - .offset:         144
        .size:           4
        .value_kind:     by_value
      - .offset:         152
        .size:           8
        .value_kind:     by_value
      - .offset:         160
        .size:           4
        .value_kind:     by_value
      - .offset:         164
        .size:           4
        .value_kind:     by_value
      - .offset:         168
        .size:           8
        .value_kind:     by_value
      - .offset:         176
        .size:           4
        .value_kind:     by_value
      - .offset:         180
        .size:           4
        .value_kind:     by_value
      - .offset:         184
        .size:           4
        .value_kind:     by_value
      - .offset:         188
        .size:           4
        .value_kind:     by_value
      - .offset:         192
        .size:           4
        .value_kind:     by_value
      - .offset:         200
        .size:           8
        .value_kind:     by_value
      - .offset:         208
        .size:           4
        .value_kind:     hidden_block_count_x
      - .offset:         212
        .size:           4
        .value_kind:     hidden_block_count_y
      - .offset:         216
        .size:           4
        .value_kind:     hidden_block_count_z
      - .offset:         220
        .size:           2
        .value_kind:     hidden_group_size_x
      - .offset:         222
        .size:           2
        .value_kind:     hidden_group_size_y
      - .offset:         224
        .size:           2
        .value_kind:     hidden_group_size_z
      - .offset:         226
        .size:           2
        .value_kind:     hidden_remainder_x
      - .offset:         228
        .size:           2
        .value_kind:     hidden_remainder_y
      - .offset:         230
        .size:           2
        .value_kind:     hidden_remainder_z
      - .offset:         248
        .size:           8
        .value_kind:     hidden_global_offset_x
      - .offset:         256
        .size:           8
        .value_kind:     hidden_global_offset_y
      - .offset:         264
        .size:           8
        .value_kind:     hidden_global_offset_z
      - .offset:         272
        .size:           2
        .value_kind:     hidden_grid_dims
    .group_segment_fixed_size: 22592
    .kernarg_segment_align: 8
    .kernarg_segment_size: 464
    .language:       OpenCL C
    .language_version:
      - 2
      - 0
    .max_flat_workgroup_size: 256
    .name:           _ZL15flash_attn_tileILi112ELi112ELi64ELi1ELb0EEvPKcS1_S1_S1_S1_PKiPfP15HIP_vector_typeIfLj2EEffffjfiS5_IjLj3EEiiiiiiiiiiiliiliiiiil
    .private_segment_fixed_size: 672
    .sgpr_count:     98
    .sgpr_spill_count: 0
    .symbol:         _ZL15flash_attn_tileILi112ELi112ELi64ELi1ELb0EEvPKcS1_S1_S1_S1_PKiPfP15HIP_vector_typeIfLj2EEffffjfiS5_IjLj3EEiiiiiiiiiiiliiliiiiil.kd
    .uniform_work_group_size: 1
    .uses_dynamic_stack: false
    .vgpr_count:     128
    .vgpr_spill_count: 249
    .wavefront_size: 64
  - .args:
      - .actual_access:  read_only
        .address_space:  global
        .offset:         0
        .size:           8
        .value_kind:     global_buffer
      - .actual_access:  write_only
        .address_space:  global
        .offset:         8
        .size:           8
        .value_kind:     global_buffer
      - .offset:         16
        .size:           4
        .value_kind:     by_value
      - .offset:         20
        .size:           4
        .value_kind:     by_value
      - .offset:         24
        .size:           4
        .value_kind:     by_value
      - .offset:         32
        .size:           4
        .value_kind:     hidden_block_count_x
      - .offset:         36
        .size:           4
        .value_kind:     hidden_block_count_y
      - .offset:         40
        .size:           4
        .value_kind:     hidden_block_count_z
      - .offset:         44
        .size:           2
        .value_kind:     hidden_group_size_x
      - .offset:         46
        .size:           2
        .value_kind:     hidden_group_size_y
      - .offset:         48
        .size:           2
        .value_kind:     hidden_group_size_z
      - .offset:         50
        .size:           2
        .value_kind:     hidden_remainder_x
      - .offset:         52
        .size:           2
        .value_kind:     hidden_remainder_y
      - .offset:         54
        .size:           2
        .value_kind:     hidden_remainder_z
      - .offset:         72
        .size:           8
        .value_kind:     hidden_global_offset_x
      - .offset:         80
        .size:           8
        .value_kind:     hidden_global_offset_y
      - .offset:         88
        .size:           8
        .value_kind:     hidden_global_offset_z
      - .offset:         96
        .size:           2
        .value_kind:     hidden_grid_dims
    .group_segment_fixed_size: 128
    .kernarg_segment_align: 8
    .kernarg_segment_size: 288
    .language:       OpenCL C
    .language_version:
      - 2
      - 0
    .max_flat_workgroup_size: 128
    .name:           _ZL25flash_attn_mask_to_KV_maxILi64EEvPK7__half2Piiii
    .private_segment_fixed_size: 0
    .sgpr_count:     100
    .sgpr_spill_count: 174
    .symbol:         _ZL25flash_attn_mask_to_KV_maxILi64EEvPK7__half2Piiii.kd
    .uniform_work_group_size: 1
    .uses_dynamic_stack: false
    .vgpr_count:     15
    .vgpr_spill_count: 0
    .wavefront_size: 64
  - .args:
      - .address_space:  global
        .offset:         0
        .size:           8
        .value_kind:     global_buffer
      - .address_space:  global
        .offset:         8
        .size:           8
        .value_kind:     global_buffer
      - .offset:         16
        .size:           4
        .value_kind:     by_value
      - .offset:         20
        .size:           4
        .value_kind:     by_value
      - .offset:         24
        .size:           4
        .value_kind:     by_value
      - .offset:         28
        .size:           4
        .value_kind:     by_value
      - .offset:         32
        .size:           4
        .value_kind:     by_value
      - .offset:         36
        .size:           4
        .value_kind:     by_value
      - .offset:         40
        .size:           12
        .value_kind:     by_value
      - .offset:         52
        .size:           12
        .value_kind:     by_value
      - .offset:         64
        .size:           12
        .value_kind:     by_value
    .group_segment_fixed_size: 0
    .kernarg_segment_align: 8
    .kernarg_segment_size: 76
    .language:       OpenCL C
    .language_version:
      - 2
      - 0
    .max_flat_workgroup_size: 112
    .name:           _ZL33flash_attn_stream_k_fixup_uniformILi112ELi64ELi1EEvPfPK15HIP_vector_typeIfLj2EEiiiiiiS1_IjLj3EES5_S5_
    .private_segment_fixed_size: 0
    .sgpr_count:     24
    .sgpr_spill_count: 0
    .symbol:         _ZL33flash_attn_stream_k_fixup_uniformILi112ELi64ELi1EEvPfPK15HIP_vector_typeIfLj2EEiiiiiiS1_IjLj3EES5_S5_.kd
    .uniform_work_group_size: 1
    .uses_dynamic_stack: false
    .vgpr_count:     17
    .vgpr_spill_count: 0
    .wavefront_size: 64
  - .args:
      - .address_space:  global
        .offset:         0
        .size:           8
        .value_kind:     global_buffer
      - .address_space:  global
        .offset:         8
        .size:           8
        .value_kind:     global_buffer
      - .offset:         16
        .size:           4
        .value_kind:     by_value
      - .offset:         20
        .size:           4
        .value_kind:     by_value
      - .offset:         24
        .size:           4
        .value_kind:     by_value
      - .offset:         28
        .size:           4
        .value_kind:     by_value
      - .offset:         32
        .size:           12
        .value_kind:     by_value
      - .offset:         44
        .size:           12
        .value_kind:     by_value
      - .offset:         56
        .size:           12
        .value_kind:     by_value
      - .offset:         68
        .size:           12
        .value_kind:     by_value
      - .offset:         80
        .size:           4
        .value_kind:     hidden_block_count_x
      - .offset:         84
        .size:           4
        .value_kind:     hidden_block_count_y
      - .offset:         88
        .size:           4
        .value_kind:     hidden_block_count_z
      - .offset:         92
        .size:           2
        .value_kind:     hidden_group_size_x
      - .offset:         94
        .size:           2
        .value_kind:     hidden_group_size_y
      - .offset:         96
        .size:           2
        .value_kind:     hidden_group_size_z
      - .offset:         98
        .size:           2
        .value_kind:     hidden_remainder_x
      - .offset:         100
        .size:           2
        .value_kind:     hidden_remainder_y
      - .offset:         102
        .size:           2
        .value_kind:     hidden_remainder_z
      - .offset:         120
        .size:           8
        .value_kind:     hidden_global_offset_x
      - .offset:         128
        .size:           8
        .value_kind:     hidden_global_offset_y
      - .offset:         136
        .size:           8
        .value_kind:     hidden_global_offset_z
      - .offset:         144
        .size:           2
        .value_kind:     hidden_grid_dims
    .group_segment_fixed_size: 0
    .kernarg_segment_align: 8
    .kernarg_segment_size: 336
    .language:       OpenCL C
    .language_version:
      - 2
      - 0
    .max_flat_workgroup_size: 112
    .name:           _ZL33flash_attn_stream_k_fixup_generalILi112ELi64ELi1EEvPfPK15HIP_vector_typeIfLj2EEiiiiS1_IjLj3EES5_S5_S5_
    .private_segment_fixed_size: 0
    .sgpr_count:     40
    .sgpr_spill_count: 0
    .symbol:         _ZL33flash_attn_stream_k_fixup_generalILi112ELi64ELi1EEvPfPK15HIP_vector_typeIfLj2EEiiiiS1_IjLj3EES5_S5_S5_.kd
    .uniform_work_group_size: 1
    .uses_dynamic_stack: false
    .vgpr_count:     18
    .vgpr_spill_count: 0
    .wavefront_size: 64
  - .args:
      - .address_space:  global
        .offset:         0
        .size:           8
        .value_kind:     global_buffer
      - .address_space:  global
        .offset:         8
        .size:           8
        .value_kind:     global_buffer
      - .address_space:  global
        .offset:         16
        .size:           8
        .value_kind:     global_buffer
      - .address_space:  global
        .offset:         24
        .size:           8
        .value_kind:     global_buffer
      - .address_space:  global
        .offset:         32
        .size:           8
        .value_kind:     global_buffer
      - .address_space:  global
        .offset:         40
        .size:           8
        .value_kind:     global_buffer
      - .address_space:  global
        .offset:         48
        .size:           8
        .value_kind:     global_buffer
      - .address_space:  global
        .offset:         56
        .size:           8
        .value_kind:     global_buffer
      - .offset:         64
        .size:           4
        .value_kind:     by_value
      - .offset:         68
        .size:           4
        .value_kind:     by_value
      - .offset:         72
        .size:           4
        .value_kind:     by_value
      - .offset:         76
        .size:           4
        .value_kind:     by_value
      - .offset:         80
        .size:           4
        .value_kind:     by_value
      - .offset:         84
        .size:           4
        .value_kind:     by_value
      - .offset:         88
        .size:           4
        .value_kind:     by_value
      - .offset:         92
        .size:           12
        .value_kind:     by_value
      - .offset:         104
        .size:           4
        .value_kind:     by_value
      - .offset:         108
        .size:           4
        .value_kind:     by_value
      - .offset:         112
        .size:           4
        .value_kind:     by_value
      - .offset:         116
        .size:           4
        .value_kind:     by_value
      - .offset:         120
        .size:           4
        .value_kind:     by_value
      - .offset:         124
        .size:           4
        .value_kind:     by_value
      - .offset:         128
        .size:           4
        .value_kind:     by_value
      - .offset:         132
        .size:           4
        .value_kind:     by_value
      - .offset:         136
        .size:           4
        .value_kind:     by_value
      - .offset:         140
        .size:           4
        .value_kind:     by_value
      - .offset:         144
        .size:           4
        .value_kind:     by_value
      - .offset:         152
        .size:           8
        .value_kind:     by_value
      - .offset:         160
        .size:           4
        .value_kind:     by_value
      - .offset:         164
        .size:           4
        .value_kind:     by_value
      - .offset:         168
        .size:           8
        .value_kind:     by_value
      - .offset:         176
        .size:           4
        .value_kind:     by_value
      - .offset:         180
        .size:           4
        .value_kind:     by_value
      - .offset:         184
        .size:           4
        .value_kind:     by_value
      - .offset:         188
        .size:           4
        .value_kind:     by_value
      - .offset:         192
        .size:           4
        .value_kind:     by_value
      - .offset:         200
        .size:           8
        .value_kind:     by_value
      - .offset:         208
        .size:           4
        .value_kind:     hidden_block_count_x
      - .offset:         212
        .size:           4
        .value_kind:     hidden_block_count_y
      - .offset:         216
        .size:           4
        .value_kind:     hidden_block_count_z
      - .offset:         220
        .size:           2
        .value_kind:     hidden_group_size_x
      - .offset:         222
        .size:           2
        .value_kind:     hidden_group_size_y
      - .offset:         224
        .size:           2
        .value_kind:     hidden_group_size_z
      - .offset:         226
        .size:           2
        .value_kind:     hidden_remainder_x
      - .offset:         228
        .size:           2
        .value_kind:     hidden_remainder_y
      - .offset:         230
        .size:           2
        .value_kind:     hidden_remainder_z
      - .offset:         248
        .size:           8
        .value_kind:     hidden_global_offset_x
      - .offset:         256
        .size:           8
        .value_kind:     hidden_global_offset_y
      - .offset:         264
        .size:           8
        .value_kind:     hidden_global_offset_z
      - .offset:         272
        .size:           2
        .value_kind:     hidden_grid_dims
    .group_segment_fixed_size: 13376
    .kernarg_segment_align: 8
    .kernarg_segment_size: 464
    .language:       OpenCL C
    .language_version:
      - 2
      - 0
    .max_flat_workgroup_size: 256
    .name:           _ZL15flash_attn_tileILi112ELi112ELi32ELi1ELb0EEvPKcS1_S1_S1_S1_PKiPfP15HIP_vector_typeIfLj2EEffffjfiS5_IjLj3EEiiiiiiiiiiiliiliiiiil
    .private_segment_fixed_size: 208
    .sgpr_count:     82
    .sgpr_spill_count: 0
    .symbol:         _ZL15flash_attn_tileILi112ELi112ELi32ELi1ELb0EEvPKcS1_S1_S1_S1_PKiPfP15HIP_vector_typeIfLj2EEffffjfiS5_IjLj3EEiiiiiiiiiiiliiliiiiil.kd
    .uniform_work_group_size: 1
    .uses_dynamic_stack: false
    .vgpr_count:     128
    .vgpr_spill_count: 58
    .wavefront_size: 64
  - .args:
      - .address_space:  global
        .offset:         0
        .size:           8
        .value_kind:     global_buffer
      - .address_space:  global
        .offset:         8
        .size:           8
        .value_kind:     global_buffer
      - .offset:         16
        .size:           4
        .value_kind:     by_value
      - .offset:         20
        .size:           4
        .value_kind:     by_value
      - .offset:         24
        .size:           4
        .value_kind:     by_value
      - .offset:         28
        .size:           4
        .value_kind:     by_value
      - .offset:         32
        .size:           4
        .value_kind:     by_value
      - .offset:         36
        .size:           4
        .value_kind:     by_value
      - .offset:         40
        .size:           12
        .value_kind:     by_value
      - .offset:         52
        .size:           12
        .value_kind:     by_value
      - .offset:         64
        .size:           12
        .value_kind:     by_value
    .group_segment_fixed_size: 0
    .kernarg_segment_align: 8
    .kernarg_segment_size: 76
    .language:       OpenCL C
    .language_version:
      - 2
      - 0
    .max_flat_workgroup_size: 112
    .name:           _ZL33flash_attn_stream_k_fixup_uniformILi112ELi32ELi1EEvPfPK15HIP_vector_typeIfLj2EEiiiiiiS1_IjLj3EES5_S5_
    .private_segment_fixed_size: 0
    .sgpr_count:     24
    .sgpr_spill_count: 0
    .symbol:         _ZL33flash_attn_stream_k_fixup_uniformILi112ELi32ELi1EEvPfPK15HIP_vector_typeIfLj2EEiiiiiiS1_IjLj3EES5_S5_.kd
    .uniform_work_group_size: 1
    .uses_dynamic_stack: false
    .vgpr_count:     17
    .vgpr_spill_count: 0
    .wavefront_size: 64
  - .args:
      - .address_space:  global
        .offset:         0
        .size:           8
        .value_kind:     global_buffer
      - .address_space:  global
        .offset:         8
        .size:           8
        .value_kind:     global_buffer
      - .offset:         16
        .size:           4
        .value_kind:     by_value
      - .offset:         20
        .size:           4
        .value_kind:     by_value
      - .offset:         24
        .size:           4
        .value_kind:     by_value
      - .offset:         28
        .size:           4
        .value_kind:     by_value
      - .offset:         32
        .size:           12
        .value_kind:     by_value
      - .offset:         44
        .size:           12
        .value_kind:     by_value
      - .offset:         56
        .size:           12
        .value_kind:     by_value
      - .offset:         68
        .size:           12
        .value_kind:     by_value
      - .offset:         80
        .size:           4
        .value_kind:     hidden_block_count_x
      - .offset:         84
        .size:           4
        .value_kind:     hidden_block_count_y
      - .offset:         88
        .size:           4
        .value_kind:     hidden_block_count_z
      - .offset:         92
        .size:           2
        .value_kind:     hidden_group_size_x
      - .offset:         94
        .size:           2
        .value_kind:     hidden_group_size_y
      - .offset:         96
        .size:           2
        .value_kind:     hidden_group_size_z
      - .offset:         98
        .size:           2
        .value_kind:     hidden_remainder_x
      - .offset:         100
        .size:           2
        .value_kind:     hidden_remainder_y
      - .offset:         102
        .size:           2
        .value_kind:     hidden_remainder_z
      - .offset:         120
        .size:           8
        .value_kind:     hidden_global_offset_x
      - .offset:         128
        .size:           8
        .value_kind:     hidden_global_offset_y
      - .offset:         136
        .size:           8
        .value_kind:     hidden_global_offset_z
      - .offset:         144
        .size:           2
        .value_kind:     hidden_grid_dims
    .group_segment_fixed_size: 0
    .kernarg_segment_align: 8
    .kernarg_segment_size: 336
    .language:       OpenCL C
    .language_version:
      - 2
      - 0
    .max_flat_workgroup_size: 112
    .name:           _ZL33flash_attn_stream_k_fixup_generalILi112ELi32ELi1EEvPfPK15HIP_vector_typeIfLj2EEiiiiS1_IjLj3EES5_S5_S5_
    .private_segment_fixed_size: 0
    .sgpr_count:     40
    .sgpr_spill_count: 0
    .symbol:         _ZL33flash_attn_stream_k_fixup_generalILi112ELi32ELi1EEvPfPK15HIP_vector_typeIfLj2EEiiiiS1_IjLj3EES5_S5_S5_.kd
    .uniform_work_group_size: 1
    .uses_dynamic_stack: false
    .vgpr_count:     18
    .vgpr_spill_count: 0
    .wavefront_size: 64
  - .args:
      - .address_space:  global
        .offset:         0
        .size:           8
        .value_kind:     global_buffer
      - .address_space:  global
        .offset:         8
        .size:           8
        .value_kind:     global_buffer
      - .address_space:  global
        .offset:         16
        .size:           8
        .value_kind:     global_buffer
      - .address_space:  global
        .offset:         24
        .size:           8
        .value_kind:     global_buffer
      - .address_space:  global
        .offset:         32
        .size:           8
        .value_kind:     global_buffer
      - .address_space:  global
        .offset:         40
        .size:           8
        .value_kind:     global_buffer
      - .address_space:  global
        .offset:         48
        .size:           8
        .value_kind:     global_buffer
      - .address_space:  global
        .offset:         56
        .size:           8
        .value_kind:     global_buffer
      - .offset:         64
        .size:           4
        .value_kind:     by_value
      - .offset:         68
        .size:           4
        .value_kind:     by_value
      - .offset:         72
        .size:           4
        .value_kind:     by_value
      - .offset:         76
        .size:           4
        .value_kind:     by_value
      - .offset:         80
        .size:           4
        .value_kind:     by_value
      - .offset:         84
        .size:           4
        .value_kind:     by_value
      - .offset:         88
        .size:           4
        .value_kind:     by_value
      - .offset:         92
        .size:           12
        .value_kind:     by_value
      - .offset:         104
        .size:           4
        .value_kind:     by_value
      - .offset:         108
        .size:           4
        .value_kind:     by_value
      - .offset:         112
        .size:           4
        .value_kind:     by_value
      - .offset:         116
        .size:           4
        .value_kind:     by_value
      - .offset:         120
        .size:           4
        .value_kind:     by_value
      - .offset:         124
        .size:           4
        .value_kind:     by_value
      - .offset:         128
        .size:           4
        .value_kind:     by_value
      - .offset:         132
        .size:           4
        .value_kind:     by_value
      - .offset:         136
        .size:           4
        .value_kind:     by_value
      - .offset:         140
        .size:           4
        .value_kind:     by_value
      - .offset:         144
        .size:           4
        .value_kind:     by_value
      - .offset:         152
        .size:           8
        .value_kind:     by_value
      - .offset:         160
        .size:           4
        .value_kind:     by_value
      - .offset:         164
        .size:           4
        .value_kind:     by_value
      - .offset:         168
        .size:           8
        .value_kind:     by_value
      - .offset:         176
        .size:           4
        .value_kind:     by_value
      - .offset:         180
        .size:           4
        .value_kind:     by_value
      - .offset:         184
        .size:           4
        .value_kind:     by_value
      - .offset:         188
        .size:           4
        .value_kind:     by_value
      - .offset:         192
        .size:           4
        .value_kind:     by_value
      - .offset:         200
        .size:           8
        .value_kind:     by_value
      - .offset:         208
        .size:           4
        .value_kind:     hidden_block_count_x
      - .offset:         212
        .size:           4
        .value_kind:     hidden_block_count_y
      - .offset:         216
        .size:           4
        .value_kind:     hidden_block_count_z
      - .offset:         220
        .size:           2
        .value_kind:     hidden_group_size_x
      - .offset:         222
        .size:           2
        .value_kind:     hidden_group_size_y
      - .offset:         224
        .size:           2
        .value_kind:     hidden_group_size_z
      - .offset:         226
        .size:           2
        .value_kind:     hidden_remainder_x
      - .offset:         228
        .size:           2
        .value_kind:     hidden_remainder_y
      - .offset:         230
        .size:           2
        .value_kind:     hidden_remainder_z
      - .offset:         248
        .size:           8
        .value_kind:     hidden_global_offset_x
      - .offset:         256
        .size:           8
        .value_kind:     hidden_global_offset_y
      - .offset:         264
        .size:           8
        .value_kind:     hidden_global_offset_z
      - .offset:         272
        .size:           2
        .value_kind:     hidden_grid_dims
    .group_segment_fixed_size: 8768
    .kernarg_segment_align: 8
    .kernarg_segment_size: 464
    .language:       OpenCL C
    .language_version:
      - 2
      - 0
    .max_flat_workgroup_size: 256
    .name:           _ZL15flash_attn_tileILi112ELi112ELi16ELi1ELb0EEvPKcS1_S1_S1_S1_PKiPfP15HIP_vector_typeIfLj2EEffffjfiS5_IjLj3EEiiiiiiiiiiiliiliiiiil
    .private_segment_fixed_size: 32
    .sgpr_count:     74
    .sgpr_spill_count: 0
    .symbol:         _ZL15flash_attn_tileILi112ELi112ELi16ELi1ELb0EEvPKcS1_S1_S1_S1_PKiPfP15HIP_vector_typeIfLj2EEffffjfiS5_IjLj3EEiiiiiiiiiiiliiliiiiil.kd
    .uniform_work_group_size: 1
    .uses_dynamic_stack: false
    .vgpr_count:     120
    .vgpr_spill_count: 0
    .wavefront_size: 64
  - .args:
      - .address_space:  global
        .offset:         0
        .size:           8
        .value_kind:     global_buffer
      - .address_space:  global
        .offset:         8
        .size:           8
        .value_kind:     global_buffer
      - .offset:         16
        .size:           4
        .value_kind:     by_value
      - .offset:         20
        .size:           4
        .value_kind:     by_value
      - .offset:         24
        .size:           4
        .value_kind:     by_value
      - .offset:         28
        .size:           4
        .value_kind:     by_value
      - .offset:         32
        .size:           4
        .value_kind:     by_value
      - .offset:         36
        .size:           4
        .value_kind:     by_value
      - .offset:         40
        .size:           12
        .value_kind:     by_value
      - .offset:         52
        .size:           12
        .value_kind:     by_value
      - .offset:         64
        .size:           12
        .value_kind:     by_value
    .group_segment_fixed_size: 0
    .kernarg_segment_align: 8
    .kernarg_segment_size: 76
    .language:       OpenCL C
    .language_version:
      - 2
      - 0
    .max_flat_workgroup_size: 112
    .name:           _ZL33flash_attn_stream_k_fixup_uniformILi112ELi16ELi1EEvPfPK15HIP_vector_typeIfLj2EEiiiiiiS1_IjLj3EES5_S5_
    .private_segment_fixed_size: 0
    .sgpr_count:     24
    .sgpr_spill_count: 0
    .symbol:         _ZL33flash_attn_stream_k_fixup_uniformILi112ELi16ELi1EEvPfPK15HIP_vector_typeIfLj2EEiiiiiiS1_IjLj3EES5_S5_.kd
    .uniform_work_group_size: 1
    .uses_dynamic_stack: false
    .vgpr_count:     17
    .vgpr_spill_count: 0
    .wavefront_size: 64
  - .args:
      - .address_space:  global
        .offset:         0
        .size:           8
        .value_kind:     global_buffer
      - .address_space:  global
        .offset:         8
        .size:           8
        .value_kind:     global_buffer
      - .offset:         16
        .size:           4
        .value_kind:     by_value
      - .offset:         20
        .size:           4
        .value_kind:     by_value
      - .offset:         24
        .size:           4
        .value_kind:     by_value
      - .offset:         28
        .size:           4
        .value_kind:     by_value
      - .offset:         32
        .size:           12
        .value_kind:     by_value
      - .offset:         44
        .size:           12
        .value_kind:     by_value
      - .offset:         56
        .size:           12
        .value_kind:     by_value
      - .offset:         68
        .size:           12
        .value_kind:     by_value
      - .offset:         80
        .size:           4
        .value_kind:     hidden_block_count_x
      - .offset:         84
        .size:           4
        .value_kind:     hidden_block_count_y
      - .offset:         88
        .size:           4
        .value_kind:     hidden_block_count_z
      - .offset:         92
        .size:           2
        .value_kind:     hidden_group_size_x
      - .offset:         94
        .size:           2
        .value_kind:     hidden_group_size_y
      - .offset:         96
        .size:           2
        .value_kind:     hidden_group_size_z
      - .offset:         98
        .size:           2
        .value_kind:     hidden_remainder_x
      - .offset:         100
        .size:           2
        .value_kind:     hidden_remainder_y
      - .offset:         102
        .size:           2
        .value_kind:     hidden_remainder_z
      - .offset:         120
        .size:           8
        .value_kind:     hidden_global_offset_x
      - .offset:         128
        .size:           8
        .value_kind:     hidden_global_offset_y
      - .offset:         136
        .size:           8
        .value_kind:     hidden_global_offset_z
      - .offset:         144
        .size:           2
        .value_kind:     hidden_grid_dims
    .group_segment_fixed_size: 0
    .kernarg_segment_align: 8
    .kernarg_segment_size: 336
    .language:       OpenCL C
    .language_version:
      - 2
      - 0
    .max_flat_workgroup_size: 112
    .name:           _ZL33flash_attn_stream_k_fixup_generalILi112ELi16ELi1EEvPfPK15HIP_vector_typeIfLj2EEiiiiS1_IjLj3EES5_S5_S5_
    .private_segment_fixed_size: 0
    .sgpr_count:     40
    .sgpr_spill_count: 0
    .symbol:         _ZL33flash_attn_stream_k_fixup_generalILi112ELi16ELi1EEvPfPK15HIP_vector_typeIfLj2EEiiiiS1_IjLj3EES5_S5_S5_.kd
    .uniform_work_group_size: 1
    .uses_dynamic_stack: false
    .vgpr_count:     18
    .vgpr_spill_count: 0
    .wavefront_size: 64
  - .args:
      - .address_space:  global
        .offset:         0
        .size:           8
        .value_kind:     global_buffer
      - .address_space:  global
        .offset:         8
        .size:           8
        .value_kind:     global_buffer
      - .address_space:  global
        .offset:         16
        .size:           8
        .value_kind:     global_buffer
      - .address_space:  global
        .offset:         24
        .size:           8
        .value_kind:     global_buffer
      - .address_space:  global
        .offset:         32
        .size:           8
        .value_kind:     global_buffer
      - .address_space:  global
        .offset:         40
        .size:           8
        .value_kind:     global_buffer
      - .address_space:  global
        .offset:         48
        .size:           8
        .value_kind:     global_buffer
      - .address_space:  global
        .offset:         56
        .size:           8
        .value_kind:     global_buffer
      - .offset:         64
        .size:           4
        .value_kind:     by_value
      - .offset:         68
        .size:           4
        .value_kind:     by_value
      - .offset:         72
        .size:           4
        .value_kind:     by_value
      - .offset:         76
        .size:           4
        .value_kind:     by_value
      - .offset:         80
        .size:           4
        .value_kind:     by_value
      - .offset:         84
        .size:           4
        .value_kind:     by_value
      - .offset:         88
        .size:           4
        .value_kind:     by_value
      - .offset:         92
        .size:           12
        .value_kind:     by_value
      - .offset:         104
        .size:           4
        .value_kind:     by_value
      - .offset:         108
        .size:           4
        .value_kind:     by_value
      - .offset:         112
        .size:           4
        .value_kind:     by_value
      - .offset:         116
        .size:           4
        .value_kind:     by_value
      - .offset:         120
        .size:           4
        .value_kind:     by_value
      - .offset:         124
        .size:           4
        .value_kind:     by_value
      - .offset:         128
        .size:           4
        .value_kind:     by_value
      - .offset:         132
        .size:           4
        .value_kind:     by_value
      - .offset:         136
        .size:           4
        .value_kind:     by_value
      - .offset:         140
        .size:           4
        .value_kind:     by_value
      - .offset:         144
        .size:           4
        .value_kind:     by_value
      - .offset:         152
        .size:           8
        .value_kind:     by_value
      - .offset:         160
        .size:           4
        .value_kind:     by_value
      - .offset:         164
        .size:           4
        .value_kind:     by_value
      - .offset:         168
        .size:           8
        .value_kind:     by_value
      - .offset:         176
        .size:           4
        .value_kind:     by_value
      - .offset:         180
        .size:           4
        .value_kind:     by_value
      - .offset:         184
        .size:           4
        .value_kind:     by_value
      - .offset:         188
        .size:           4
        .value_kind:     by_value
      - .offset:         192
        .size:           4
        .value_kind:     by_value
      - .offset:         200
        .size:           8
        .value_kind:     by_value
      - .offset:         208
        .size:           4
        .value_kind:     hidden_block_count_x
      - .offset:         212
        .size:           4
        .value_kind:     hidden_block_count_y
      - .offset:         216
        .size:           4
        .value_kind:     hidden_block_count_z
      - .offset:         220
        .size:           2
        .value_kind:     hidden_group_size_x
      - .offset:         222
        .size:           2
        .value_kind:     hidden_group_size_y
      - .offset:         224
        .size:           2
        .value_kind:     hidden_group_size_z
      - .offset:         226
        .size:           2
        .value_kind:     hidden_remainder_x
      - .offset:         228
        .size:           2
        .value_kind:     hidden_remainder_y
      - .offset:         230
        .size:           2
        .value_kind:     hidden_remainder_z
      - .offset:         248
        .size:           8
        .value_kind:     hidden_global_offset_x
      - .offset:         256
        .size:           8
        .value_kind:     hidden_global_offset_y
      - .offset:         264
        .size:           8
        .value_kind:     hidden_global_offset_z
      - .offset:         272
        .size:           2
        .value_kind:     hidden_grid_dims
    .group_segment_fixed_size: 6464
    .kernarg_segment_align: 8
    .kernarg_segment_size: 464
    .language:       OpenCL C
    .language_version:
      - 2
      - 0
    .max_flat_workgroup_size: 256
    .name:           _ZL15flash_attn_tileILi112ELi112ELi8ELi1ELb0EEvPKcS1_S1_S1_S1_PKiPfP15HIP_vector_typeIfLj2EEffffjfiS5_IjLj3EEiiiiiiiiiiiliiliiiiil
    .private_segment_fixed_size: 32
    .sgpr_count:     69
    .sgpr_spill_count: 0
    .symbol:         _ZL15flash_attn_tileILi112ELi112ELi8ELi1ELb0EEvPKcS1_S1_S1_S1_PKiPfP15HIP_vector_typeIfLj2EEffffjfiS5_IjLj3EEiiiiiiiiiiiliiliiiiil.kd
    .uniform_work_group_size: 1
    .uses_dynamic_stack: false
    .vgpr_count:     95
    .vgpr_spill_count: 0
    .wavefront_size: 64
  - .args:
      - .address_space:  global
        .offset:         0
        .size:           8
        .value_kind:     global_buffer
      - .address_space:  global
        .offset:         8
        .size:           8
        .value_kind:     global_buffer
      - .offset:         16
        .size:           4
        .value_kind:     by_value
      - .offset:         20
        .size:           4
        .value_kind:     by_value
      - .offset:         24
        .size:           4
        .value_kind:     by_value
      - .offset:         28
        .size:           4
        .value_kind:     by_value
      - .offset:         32
        .size:           4
        .value_kind:     by_value
      - .offset:         36
        .size:           4
        .value_kind:     by_value
      - .offset:         40
        .size:           12
        .value_kind:     by_value
      - .offset:         52
        .size:           12
        .value_kind:     by_value
      - .offset:         64
        .size:           12
        .value_kind:     by_value
    .group_segment_fixed_size: 0
    .kernarg_segment_align: 8
    .kernarg_segment_size: 76
    .language:       OpenCL C
    .language_version:
      - 2
      - 0
    .max_flat_workgroup_size: 112
    .name:           _ZL33flash_attn_stream_k_fixup_uniformILi112ELi8ELi1EEvPfPK15HIP_vector_typeIfLj2EEiiiiiiS1_IjLj3EES5_S5_
    .private_segment_fixed_size: 0
    .sgpr_count:     24
    .sgpr_spill_count: 0
    .symbol:         _ZL33flash_attn_stream_k_fixup_uniformILi112ELi8ELi1EEvPfPK15HIP_vector_typeIfLj2EEiiiiiiS1_IjLj3EES5_S5_.kd
    .uniform_work_group_size: 1
    .uses_dynamic_stack: false
    .vgpr_count:     17
    .vgpr_spill_count: 0
    .wavefront_size: 64
  - .args:
      - .address_space:  global
        .offset:         0
        .size:           8
        .value_kind:     global_buffer
      - .address_space:  global
        .offset:         8
        .size:           8
        .value_kind:     global_buffer
      - .offset:         16
        .size:           4
        .value_kind:     by_value
      - .offset:         20
        .size:           4
        .value_kind:     by_value
      - .offset:         24
        .size:           4
        .value_kind:     by_value
      - .offset:         28
        .size:           4
        .value_kind:     by_value
      - .offset:         32
        .size:           12
        .value_kind:     by_value
      - .offset:         44
        .size:           12
        .value_kind:     by_value
      - .offset:         56
        .size:           12
        .value_kind:     by_value
      - .offset:         68
        .size:           12
        .value_kind:     by_value
      - .offset:         80
        .size:           4
        .value_kind:     hidden_block_count_x
      - .offset:         84
        .size:           4
        .value_kind:     hidden_block_count_y
      - .offset:         88
        .size:           4
        .value_kind:     hidden_block_count_z
      - .offset:         92
        .size:           2
        .value_kind:     hidden_group_size_x
      - .offset:         94
        .size:           2
        .value_kind:     hidden_group_size_y
      - .offset:         96
        .size:           2
        .value_kind:     hidden_group_size_z
      - .offset:         98
        .size:           2
        .value_kind:     hidden_remainder_x
      - .offset:         100
        .size:           2
        .value_kind:     hidden_remainder_y
      - .offset:         102
        .size:           2
        .value_kind:     hidden_remainder_z
      - .offset:         120
        .size:           8
        .value_kind:     hidden_global_offset_x
      - .offset:         128
        .size:           8
        .value_kind:     hidden_global_offset_y
      - .offset:         136
        .size:           8
        .value_kind:     hidden_global_offset_z
      - .offset:         144
        .size:           2
        .value_kind:     hidden_grid_dims
    .group_segment_fixed_size: 0
    .kernarg_segment_align: 8
    .kernarg_segment_size: 336
    .language:       OpenCL C
    .language_version:
      - 2
      - 0
    .max_flat_workgroup_size: 112
    .name:           _ZL33flash_attn_stream_k_fixup_generalILi112ELi8ELi1EEvPfPK15HIP_vector_typeIfLj2EEiiiiS1_IjLj3EES5_S5_S5_
    .private_segment_fixed_size: 0
    .sgpr_count:     40
    .sgpr_spill_count: 0
    .symbol:         _ZL33flash_attn_stream_k_fixup_generalILi112ELi8ELi1EEvPfPK15HIP_vector_typeIfLj2EEiiiiS1_IjLj3EES5_S5_S5_.kd
    .uniform_work_group_size: 1
    .uses_dynamic_stack: false
    .vgpr_count:     18
    .vgpr_spill_count: 0
    .wavefront_size: 64
  - .args:
      - .address_space:  global
        .offset:         0
        .size:           8
        .value_kind:     global_buffer
      - .address_space:  global
        .offset:         8
        .size:           8
        .value_kind:     global_buffer
      - .address_space:  global
        .offset:         16
        .size:           8
        .value_kind:     global_buffer
      - .address_space:  global
        .offset:         24
        .size:           8
        .value_kind:     global_buffer
      - .address_space:  global
        .offset:         32
        .size:           8
        .value_kind:     global_buffer
      - .address_space:  global
        .offset:         40
        .size:           8
        .value_kind:     global_buffer
      - .address_space:  global
        .offset:         48
        .size:           8
        .value_kind:     global_buffer
      - .address_space:  global
        .offset:         56
        .size:           8
        .value_kind:     global_buffer
      - .offset:         64
        .size:           4
        .value_kind:     by_value
      - .offset:         68
        .size:           4
        .value_kind:     by_value
      - .offset:         72
        .size:           4
        .value_kind:     by_value
      - .offset:         76
        .size:           4
        .value_kind:     by_value
      - .offset:         80
        .size:           4
        .value_kind:     by_value
      - .offset:         84
        .size:           4
        .value_kind:     by_value
      - .offset:         88
        .size:           4
        .value_kind:     by_value
      - .offset:         92
        .size:           12
        .value_kind:     by_value
      - .offset:         104
        .size:           4
        .value_kind:     by_value
      - .offset:         108
        .size:           4
        .value_kind:     by_value
      - .offset:         112
        .size:           4
        .value_kind:     by_value
      - .offset:         116
        .size:           4
        .value_kind:     by_value
      - .offset:         120
        .size:           4
        .value_kind:     by_value
      - .offset:         124
        .size:           4
        .value_kind:     by_value
      - .offset:         128
        .size:           4
        .value_kind:     by_value
      - .offset:         132
        .size:           4
        .value_kind:     by_value
      - .offset:         136
        .size:           4
        .value_kind:     by_value
      - .offset:         140
        .size:           4
        .value_kind:     by_value
      - .offset:         144
        .size:           4
        .value_kind:     by_value
      - .offset:         152
        .size:           8
        .value_kind:     by_value
      - .offset:         160
        .size:           4
        .value_kind:     by_value
      - .offset:         164
        .size:           4
        .value_kind:     by_value
      - .offset:         168
        .size:           8
        .value_kind:     by_value
      - .offset:         176
        .size:           4
        .value_kind:     by_value
      - .offset:         180
        .size:           4
        .value_kind:     by_value
      - .offset:         184
        .size:           4
        .value_kind:     by_value
      - .offset:         188
        .size:           4
        .value_kind:     by_value
      - .offset:         192
        .size:           4
        .value_kind:     by_value
      - .offset:         200
        .size:           8
        .value_kind:     by_value
      - .offset:         208
        .size:           4
        .value_kind:     hidden_block_count_x
      - .offset:         212
        .size:           4
        .value_kind:     hidden_block_count_y
      - .offset:         216
        .size:           4
        .value_kind:     hidden_block_count_z
      - .offset:         220
        .size:           2
        .value_kind:     hidden_group_size_x
      - .offset:         222
        .size:           2
        .value_kind:     hidden_group_size_y
      - .offset:         224
        .size:           2
        .value_kind:     hidden_group_size_z
      - .offset:         226
        .size:           2
        .value_kind:     hidden_remainder_x
      - .offset:         228
        .size:           2
        .value_kind:     hidden_remainder_y
      - .offset:         230
        .size:           2
        .value_kind:     hidden_remainder_z
      - .offset:         248
        .size:           8
        .value_kind:     hidden_global_offset_x
      - .offset:         256
        .size:           8
        .value_kind:     hidden_global_offset_y
      - .offset:         264
        .size:           8
        .value_kind:     hidden_global_offset_z
      - .offset:         272
        .size:           2
        .value_kind:     hidden_grid_dims
    .group_segment_fixed_size: 5312
    .kernarg_segment_align: 8
    .kernarg_segment_size: 464
    .language:       OpenCL C
    .language_version:
      - 2
      - 0
    .max_flat_workgroup_size: 128
    .name:           _ZL15flash_attn_tileILi112ELi112ELi4ELi1ELb0EEvPKcS1_S1_S1_S1_PKiPfP15HIP_vector_typeIfLj2EEffffjfiS5_IjLj3EEiiiiiiiiiiiliiliiiiil
    .private_segment_fixed_size: 32
    .sgpr_count:     65
    .sgpr_spill_count: 0
    .symbol:         _ZL15flash_attn_tileILi112ELi112ELi4ELi1ELb0EEvPKcS1_S1_S1_S1_PKiPfP15HIP_vector_typeIfLj2EEffffjfiS5_IjLj3EEiiiiiiiiiiiliiliiiiil.kd
    .uniform_work_group_size: 1
    .uses_dynamic_stack: false
    .vgpr_count:     100
    .vgpr_spill_count: 0
    .wavefront_size: 64
  - .args:
      - .address_space:  global
        .offset:         0
        .size:           8
        .value_kind:     global_buffer
      - .address_space:  global
        .offset:         8
        .size:           8
        .value_kind:     global_buffer
      - .offset:         16
        .size:           4
        .value_kind:     by_value
      - .offset:         20
        .size:           4
        .value_kind:     by_value
      - .offset:         24
        .size:           4
        .value_kind:     by_value
      - .offset:         28
        .size:           4
        .value_kind:     by_value
      - .offset:         32
        .size:           4
        .value_kind:     by_value
      - .offset:         36
        .size:           4
        .value_kind:     by_value
      - .offset:         40
        .size:           12
        .value_kind:     by_value
      - .offset:         52
        .size:           12
        .value_kind:     by_value
      - .offset:         64
        .size:           12
        .value_kind:     by_value
    .group_segment_fixed_size: 0
    .kernarg_segment_align: 8
    .kernarg_segment_size: 76
    .language:       OpenCL C
    .language_version:
      - 2
      - 0
    .max_flat_workgroup_size: 112
    .name:           _ZL33flash_attn_stream_k_fixup_uniformILi112ELi4ELi1EEvPfPK15HIP_vector_typeIfLj2EEiiiiiiS1_IjLj3EES5_S5_
    .private_segment_fixed_size: 0
    .sgpr_count:     24
    .sgpr_spill_count: 0
    .symbol:         _ZL33flash_attn_stream_k_fixup_uniformILi112ELi4ELi1EEvPfPK15HIP_vector_typeIfLj2EEiiiiiiS1_IjLj3EES5_S5_.kd
    .uniform_work_group_size: 1
    .uses_dynamic_stack: false
    .vgpr_count:     17
    .vgpr_spill_count: 0
    .wavefront_size: 64
  - .args:
      - .address_space:  global
        .offset:         0
        .size:           8
        .value_kind:     global_buffer
      - .address_space:  global
        .offset:         8
        .size:           8
        .value_kind:     global_buffer
      - .offset:         16
        .size:           4
        .value_kind:     by_value
      - .offset:         20
        .size:           4
        .value_kind:     by_value
      - .offset:         24
        .size:           4
        .value_kind:     by_value
      - .offset:         28
        .size:           4
        .value_kind:     by_value
      - .offset:         32
        .size:           12
        .value_kind:     by_value
      - .offset:         44
        .size:           12
        .value_kind:     by_value
      - .offset:         56
        .size:           12
        .value_kind:     by_value
      - .offset:         68
        .size:           12
        .value_kind:     by_value
      - .offset:         80
        .size:           4
        .value_kind:     hidden_block_count_x
      - .offset:         84
        .size:           4
        .value_kind:     hidden_block_count_y
      - .offset:         88
        .size:           4
        .value_kind:     hidden_block_count_z
      - .offset:         92
        .size:           2
        .value_kind:     hidden_group_size_x
      - .offset:         94
        .size:           2
        .value_kind:     hidden_group_size_y
      - .offset:         96
        .size:           2
        .value_kind:     hidden_group_size_z
      - .offset:         98
        .size:           2
        .value_kind:     hidden_remainder_x
      - .offset:         100
        .size:           2
        .value_kind:     hidden_remainder_y
      - .offset:         102
        .size:           2
        .value_kind:     hidden_remainder_z
      - .offset:         120
        .size:           8
        .value_kind:     hidden_global_offset_x
      - .offset:         128
        .size:           8
        .value_kind:     hidden_global_offset_y
      - .offset:         136
        .size:           8
        .value_kind:     hidden_global_offset_z
      - .offset:         144
        .size:           2
        .value_kind:     hidden_grid_dims
    .group_segment_fixed_size: 0
    .kernarg_segment_align: 8
    .kernarg_segment_size: 336
    .language:       OpenCL C
    .language_version:
      - 2
      - 0
    .max_flat_workgroup_size: 112
    .name:           _ZL33flash_attn_stream_k_fixup_generalILi112ELi4ELi1EEvPfPK15HIP_vector_typeIfLj2EEiiiiS1_IjLj3EES5_S5_S5_
    .private_segment_fixed_size: 0
    .sgpr_count:     40
    .sgpr_spill_count: 0
    .symbol:         _ZL33flash_attn_stream_k_fixup_generalILi112ELi4ELi1EEvPfPK15HIP_vector_typeIfLj2EEiiiiS1_IjLj3EES5_S5_S5_.kd
    .uniform_work_group_size: 1
    .uses_dynamic_stack: false
    .vgpr_count:     18
    .vgpr_spill_count: 0
    .wavefront_size: 64
  - .args:
      - .address_space:  global
        .offset:         0
        .size:           8
        .value_kind:     global_buffer
      - .address_space:  global
        .offset:         8
        .size:           8
        .value_kind:     global_buffer
      - .address_space:  global
        .offset:         16
        .size:           8
        .value_kind:     global_buffer
      - .address_space:  global
        .offset:         24
        .size:           8
        .value_kind:     global_buffer
      - .address_space:  global
        .offset:         32
        .size:           8
        .value_kind:     global_buffer
      - .address_space:  global
        .offset:         40
        .size:           8
        .value_kind:     global_buffer
      - .address_space:  global
        .offset:         48
        .size:           8
        .value_kind:     global_buffer
      - .address_space:  global
        .offset:         56
        .size:           8
        .value_kind:     global_buffer
      - .offset:         64
        .size:           4
        .value_kind:     by_value
      - .offset:         68
        .size:           4
        .value_kind:     by_value
      - .offset:         72
        .size:           4
        .value_kind:     by_value
      - .offset:         76
        .size:           4
        .value_kind:     by_value
      - .offset:         80
        .size:           4
        .value_kind:     by_value
      - .offset:         84
        .size:           4
        .value_kind:     by_value
      - .offset:         88
        .size:           4
        .value_kind:     by_value
      - .offset:         92
        .size:           12
        .value_kind:     by_value
      - .offset:         104
        .size:           4
        .value_kind:     by_value
      - .offset:         108
        .size:           4
        .value_kind:     by_value
      - .offset:         112
        .size:           4
        .value_kind:     by_value
      - .offset:         116
        .size:           4
        .value_kind:     by_value
      - .offset:         120
        .size:           4
        .value_kind:     by_value
      - .offset:         124
        .size:           4
        .value_kind:     by_value
      - .offset:         128
        .size:           4
        .value_kind:     by_value
      - .offset:         132
        .size:           4
        .value_kind:     by_value
      - .offset:         136
        .size:           4
        .value_kind:     by_value
      - .offset:         140
        .size:           4
        .value_kind:     by_value
      - .offset:         144
        .size:           4
        .value_kind:     by_value
      - .offset:         152
        .size:           8
        .value_kind:     by_value
      - .offset:         160
        .size:           4
        .value_kind:     by_value
      - .offset:         164
        .size:           4
        .value_kind:     by_value
      - .offset:         168
        .size:           8
        .value_kind:     by_value
      - .offset:         176
        .size:           4
        .value_kind:     by_value
      - .offset:         180
        .size:           4
        .value_kind:     by_value
      - .offset:         184
        .size:           4
        .value_kind:     by_value
      - .offset:         188
        .size:           4
        .value_kind:     by_value
      - .offset:         192
        .size:           4
        .value_kind:     by_value
      - .offset:         200
        .size:           8
        .value_kind:     by_value
      - .offset:         208
        .size:           4
        .value_kind:     hidden_block_count_x
      - .offset:         212
        .size:           4
        .value_kind:     hidden_block_count_y
      - .offset:         216
        .size:           4
        .value_kind:     hidden_block_count_z
      - .offset:         220
        .size:           2
        .value_kind:     hidden_group_size_x
      - .offset:         222
        .size:           2
        .value_kind:     hidden_group_size_y
      - .offset:         224
        .size:           2
        .value_kind:     hidden_group_size_z
      - .offset:         226
        .size:           2
        .value_kind:     hidden_remainder_x
      - .offset:         228
        .size:           2
        .value_kind:     hidden_remainder_y
      - .offset:         230
        .size:           2
        .value_kind:     hidden_remainder_z
      - .offset:         248
        .size:           8
        .value_kind:     hidden_global_offset_x
      - .offset:         256
        .size:           8
        .value_kind:     hidden_global_offset_y
      - .offset:         264
        .size:           8
        .value_kind:     hidden_global_offset_z
      - .offset:         272
        .size:           2
        .value_kind:     hidden_grid_dims
    .group_segment_fixed_size: 4736
    .kernarg_segment_align: 8
    .kernarg_segment_size: 464
    .language:       OpenCL C
    .language_version:
      - 2
      - 0
    .max_flat_workgroup_size: 64
    .name:           _ZL15flash_attn_tileILi112ELi112ELi2ELi1ELb0EEvPKcS1_S1_S1_S1_PKiPfP15HIP_vector_typeIfLj2EEffffjfiS5_IjLj3EEiiiiiiiiiiiliiliiiiil
    .private_segment_fixed_size: 32
    .sgpr_count:     61
    .sgpr_spill_count: 0
    .symbol:         _ZL15flash_attn_tileILi112ELi112ELi2ELi1ELb0EEvPKcS1_S1_S1_S1_PKiPfP15HIP_vector_typeIfLj2EEffffjfiS5_IjLj3EEiiiiiiiiiiiliiliiiiil.kd
    .uniform_work_group_size: 1
    .uses_dynamic_stack: false
    .vgpr_count:     113
    .vgpr_spill_count: 0
    .wavefront_size: 64
  - .args:
      - .address_space:  global
        .offset:         0
        .size:           8
        .value_kind:     global_buffer
      - .address_space:  global
        .offset:         8
        .size:           8
        .value_kind:     global_buffer
      - .offset:         16
        .size:           4
        .value_kind:     by_value
      - .offset:         20
        .size:           4
        .value_kind:     by_value
      - .offset:         24
        .size:           4
        .value_kind:     by_value
      - .offset:         28
        .size:           4
        .value_kind:     by_value
      - .offset:         32
        .size:           4
        .value_kind:     by_value
      - .offset:         36
        .size:           4
        .value_kind:     by_value
      - .offset:         40
        .size:           12
        .value_kind:     by_value
      - .offset:         52
        .size:           12
        .value_kind:     by_value
      - .offset:         64
        .size:           12
        .value_kind:     by_value
    .group_segment_fixed_size: 0
    .kernarg_segment_align: 8
    .kernarg_segment_size: 76
    .language:       OpenCL C
    .language_version:
      - 2
      - 0
    .max_flat_workgroup_size: 112
    .name:           _ZL33flash_attn_stream_k_fixup_uniformILi112ELi2ELi1EEvPfPK15HIP_vector_typeIfLj2EEiiiiiiS1_IjLj3EES5_S5_
    .private_segment_fixed_size: 0
    .sgpr_count:     24
    .sgpr_spill_count: 0
    .symbol:         _ZL33flash_attn_stream_k_fixup_uniformILi112ELi2ELi1EEvPfPK15HIP_vector_typeIfLj2EEiiiiiiS1_IjLj3EES5_S5_.kd
    .uniform_work_group_size: 1
    .uses_dynamic_stack: false
    .vgpr_count:     17
    .vgpr_spill_count: 0
    .wavefront_size: 64
  - .args:
      - .address_space:  global
        .offset:         0
        .size:           8
        .value_kind:     global_buffer
      - .address_space:  global
        .offset:         8
        .size:           8
        .value_kind:     global_buffer
      - .offset:         16
        .size:           4
        .value_kind:     by_value
      - .offset:         20
        .size:           4
        .value_kind:     by_value
      - .offset:         24
        .size:           4
        .value_kind:     by_value
      - .offset:         28
        .size:           4
        .value_kind:     by_value
      - .offset:         32
        .size:           12
        .value_kind:     by_value
      - .offset:         44
        .size:           12
        .value_kind:     by_value
      - .offset:         56
        .size:           12
        .value_kind:     by_value
      - .offset:         68
        .size:           12
        .value_kind:     by_value
      - .offset:         80
        .size:           4
        .value_kind:     hidden_block_count_x
      - .offset:         84
        .size:           4
        .value_kind:     hidden_block_count_y
      - .offset:         88
        .size:           4
        .value_kind:     hidden_block_count_z
      - .offset:         92
        .size:           2
        .value_kind:     hidden_group_size_x
      - .offset:         94
        .size:           2
        .value_kind:     hidden_group_size_y
      - .offset:         96
        .size:           2
        .value_kind:     hidden_group_size_z
      - .offset:         98
        .size:           2
        .value_kind:     hidden_remainder_x
      - .offset:         100
        .size:           2
        .value_kind:     hidden_remainder_y
      - .offset:         102
        .size:           2
        .value_kind:     hidden_remainder_z
      - .offset:         120
        .size:           8
        .value_kind:     hidden_global_offset_x
      - .offset:         128
        .size:           8
        .value_kind:     hidden_global_offset_y
      - .offset:         136
        .size:           8
        .value_kind:     hidden_global_offset_z
      - .offset:         144
        .size:           2
        .value_kind:     hidden_grid_dims
    .group_segment_fixed_size: 0
    .kernarg_segment_align: 8
    .kernarg_segment_size: 336
    .language:       OpenCL C
    .language_version:
      - 2
      - 0
    .max_flat_workgroup_size: 112
    .name:           _ZL33flash_attn_stream_k_fixup_generalILi112ELi2ELi1EEvPfPK15HIP_vector_typeIfLj2EEiiiiS1_IjLj3EES5_S5_S5_
    .private_segment_fixed_size: 0
    .sgpr_count:     40
    .sgpr_spill_count: 0
    .symbol:         _ZL33flash_attn_stream_k_fixup_generalILi112ELi2ELi1EEvPfPK15HIP_vector_typeIfLj2EEiiiiS1_IjLj3EES5_S5_S5_.kd
    .uniform_work_group_size: 1
    .uses_dynamic_stack: false
    .vgpr_count:     18
    .vgpr_spill_count: 0
    .wavefront_size: 64
  - .args:
      - .address_space:  global
        .offset:         0
        .size:           8
        .value_kind:     global_buffer
      - .address_space:  global
        .offset:         8
        .size:           8
        .value_kind:     global_buffer
      - .address_space:  global
        .offset:         16
        .size:           8
        .value_kind:     global_buffer
      - .address_space:  global
        .offset:         24
        .size:           8
        .value_kind:     global_buffer
      - .address_space:  global
        .offset:         32
        .size:           8
        .value_kind:     global_buffer
      - .address_space:  global
        .offset:         40
        .size:           8
        .value_kind:     global_buffer
      - .address_space:  global
        .offset:         48
        .size:           8
        .value_kind:     global_buffer
      - .address_space:  global
        .offset:         56
        .size:           8
        .value_kind:     global_buffer
      - .offset:         64
        .size:           4
        .value_kind:     by_value
      - .offset:         68
        .size:           4
        .value_kind:     by_value
      - .offset:         72
        .size:           4
        .value_kind:     by_value
      - .offset:         76
        .size:           4
        .value_kind:     by_value
      - .offset:         80
        .size:           4
        .value_kind:     by_value
      - .offset:         84
        .size:           4
        .value_kind:     by_value
      - .offset:         88
        .size:           4
        .value_kind:     by_value
      - .offset:         92
        .size:           12
        .value_kind:     by_value
      - .offset:         104
        .size:           4
        .value_kind:     by_value
      - .offset:         108
        .size:           4
        .value_kind:     by_value
      - .offset:         112
        .size:           4
        .value_kind:     by_value
      - .offset:         116
        .size:           4
        .value_kind:     by_value
      - .offset:         120
        .size:           4
        .value_kind:     by_value
      - .offset:         124
        .size:           4
        .value_kind:     by_value
      - .offset:         128
        .size:           4
        .value_kind:     by_value
      - .offset:         132
        .size:           4
        .value_kind:     by_value
      - .offset:         136
        .size:           4
        .value_kind:     by_value
      - .offset:         140
        .size:           4
        .value_kind:     by_value
      - .offset:         144
        .size:           4
        .value_kind:     by_value
      - .offset:         152
        .size:           8
        .value_kind:     by_value
      - .offset:         160
        .size:           4
        .value_kind:     by_value
      - .offset:         164
        .size:           4
        .value_kind:     by_value
      - .offset:         168
        .size:           8
        .value_kind:     by_value
      - .offset:         176
        .size:           4
        .value_kind:     by_value
      - .offset:         180
        .size:           4
        .value_kind:     by_value
      - .offset:         184
        .size:           4
        .value_kind:     by_value
      - .offset:         188
        .size:           4
        .value_kind:     by_value
      - .offset:         192
        .size:           4
        .value_kind:     by_value
      - .offset:         200
        .size:           8
        .value_kind:     by_value
      - .offset:         208
        .size:           4
        .value_kind:     hidden_block_count_x
      - .offset:         212
        .size:           4
        .value_kind:     hidden_block_count_y
      - .offset:         216
        .size:           4
        .value_kind:     hidden_block_count_z
      - .offset:         220
        .size:           2
        .value_kind:     hidden_group_size_x
      - .offset:         222
        .size:           2
        .value_kind:     hidden_group_size_y
      - .offset:         224
        .size:           2
        .value_kind:     hidden_group_size_z
      - .offset:         226
        .size:           2
        .value_kind:     hidden_remainder_x
      - .offset:         228
        .size:           2
        .value_kind:     hidden_remainder_y
      - .offset:         230
        .size:           2
        .value_kind:     hidden_remainder_z
      - .offset:         248
        .size:           8
        .value_kind:     hidden_global_offset_x
      - .offset:         256
        .size:           8
        .value_kind:     hidden_global_offset_y
      - .offset:         264
        .size:           8
        .value_kind:     hidden_global_offset_z
      - .offset:         272
        .size:           2
        .value_kind:     hidden_grid_dims
      - .offset:         288
        .size:           8
        .value_kind:     hidden_hostcall_buffer
    .group_segment_fixed_size: 0
    .kernarg_segment_align: 8
    .kernarg_segment_size: 464
    .language:       OpenCL C
    .language_version:
      - 2
      - 0
    .max_flat_workgroup_size: 256
    .name:           _ZL15flash_attn_tileILi112ELi112ELi8ELi8ELb1EEvPKcS1_S1_S1_S1_PKiPfP15HIP_vector_typeIfLj2EEffffjfiS5_IjLj3EEiiiiiiiiiiiliiliiiiil
    .private_segment_fixed_size: 16
    .sgpr_count:     38
    .sgpr_spill_count: 0
    .symbol:         _ZL15flash_attn_tileILi112ELi112ELi8ELi8ELb1EEvPKcS1_S1_S1_S1_PKiPfP15HIP_vector_typeIfLj2EEffffjfiS5_IjLj3EEiiiiiiiiiiiliiliiiiil.kd
    .uniform_work_group_size: 1
    .uses_dynamic_stack: false
    .vgpr_count:     41
    .vgpr_spill_count: 0
    .wavefront_size: 64
  - .args:
      - .address_space:  global
        .offset:         0
        .size:           8
        .value_kind:     global_buffer
      - .address_space:  global
        .offset:         8
        .size:           8
        .value_kind:     global_buffer
      - .address_space:  global
        .offset:         16
        .size:           8
        .value_kind:     global_buffer
      - .address_space:  global
        .offset:         24
        .size:           8
        .value_kind:     global_buffer
      - .address_space:  global
        .offset:         32
        .size:           8
        .value_kind:     global_buffer
      - .address_space:  global
        .offset:         40
        .size:           8
        .value_kind:     global_buffer
      - .address_space:  global
        .offset:         48
        .size:           8
        .value_kind:     global_buffer
      - .address_space:  global
        .offset:         56
        .size:           8
        .value_kind:     global_buffer
      - .offset:         64
        .size:           4
        .value_kind:     by_value
      - .offset:         68
        .size:           4
        .value_kind:     by_value
      - .offset:         72
        .size:           4
        .value_kind:     by_value
      - .offset:         76
        .size:           4
        .value_kind:     by_value
      - .offset:         80
        .size:           4
        .value_kind:     by_value
      - .offset:         84
        .size:           4
        .value_kind:     by_value
      - .offset:         88
        .size:           4
        .value_kind:     by_value
      - .offset:         92
        .size:           12
        .value_kind:     by_value
      - .offset:         104
        .size:           4
        .value_kind:     by_value
      - .offset:         108
        .size:           4
        .value_kind:     by_value
      - .offset:         112
        .size:           4
        .value_kind:     by_value
      - .offset:         116
        .size:           4
        .value_kind:     by_value
      - .offset:         120
        .size:           4
        .value_kind:     by_value
      - .offset:         124
        .size:           4
        .value_kind:     by_value
      - .offset:         128
        .size:           4
        .value_kind:     by_value
      - .offset:         132
        .size:           4
        .value_kind:     by_value
      - .offset:         136
        .size:           4
        .value_kind:     by_value
      - .offset:         140
        .size:           4
        .value_kind:     by_value
      - .offset:         144
        .size:           4
        .value_kind:     by_value
      - .offset:         152
        .size:           8
        .value_kind:     by_value
      - .offset:         160
        .size:           4
        .value_kind:     by_value
      - .offset:         164
        .size:           4
        .value_kind:     by_value
      - .offset:         168
        .size:           8
        .value_kind:     by_value
      - .offset:         176
        .size:           4
        .value_kind:     by_value
      - .offset:         180
        .size:           4
        .value_kind:     by_value
      - .offset:         184
        .size:           4
        .value_kind:     by_value
      - .offset:         188
        .size:           4
        .value_kind:     by_value
      - .offset:         192
        .size:           4
        .value_kind:     by_value
      - .offset:         200
        .size:           8
        .value_kind:     by_value
      - .offset:         208
        .size:           4
        .value_kind:     hidden_block_count_x
      - .offset:         212
        .size:           4
        .value_kind:     hidden_block_count_y
      - .offset:         216
        .size:           4
        .value_kind:     hidden_block_count_z
      - .offset:         220
        .size:           2
        .value_kind:     hidden_group_size_x
      - .offset:         222
        .size:           2
        .value_kind:     hidden_group_size_y
      - .offset:         224
        .size:           2
        .value_kind:     hidden_group_size_z
      - .offset:         226
        .size:           2
        .value_kind:     hidden_remainder_x
      - .offset:         228
        .size:           2
        .value_kind:     hidden_remainder_y
      - .offset:         230
        .size:           2
        .value_kind:     hidden_remainder_z
      - .offset:         248
        .size:           8
        .value_kind:     hidden_global_offset_x
      - .offset:         256
        .size:           8
        .value_kind:     hidden_global_offset_y
      - .offset:         264
        .size:           8
        .value_kind:     hidden_global_offset_z
      - .offset:         272
        .size:           2
        .value_kind:     hidden_grid_dims
      - .offset:         288
        .size:           8
        .value_kind:     hidden_hostcall_buffer
    .group_segment_fixed_size: 0
    .kernarg_segment_align: 8
    .kernarg_segment_size: 464
    .language:       OpenCL C
    .language_version:
      - 2
      - 0
    .max_flat_workgroup_size: 256
    .name:           _ZL15flash_attn_tileILi112ELi112ELi4ELi8ELb1EEvPKcS1_S1_S1_S1_PKiPfP15HIP_vector_typeIfLj2EEffffjfiS5_IjLj3EEiiiiiiiiiiiliiliiiiil
    .private_segment_fixed_size: 16
    .sgpr_count:     38
    .sgpr_spill_count: 0
    .symbol:         _ZL15flash_attn_tileILi112ELi112ELi4ELi8ELb1EEvPKcS1_S1_S1_S1_PKiPfP15HIP_vector_typeIfLj2EEffffjfiS5_IjLj3EEiiiiiiiiiiiliiliiiiil.kd
    .uniform_work_group_size: 1
    .uses_dynamic_stack: false
    .vgpr_count:     41
    .vgpr_spill_count: 0
    .wavefront_size: 64
  - .args:
      - .address_space:  global
        .offset:         0
        .size:           8
        .value_kind:     global_buffer
      - .address_space:  global
        .offset:         8
        .size:           8
        .value_kind:     global_buffer
      - .address_space:  global
        .offset:         16
        .size:           8
        .value_kind:     global_buffer
      - .address_space:  global
        .offset:         24
        .size:           8
        .value_kind:     global_buffer
      - .address_space:  global
        .offset:         32
        .size:           8
        .value_kind:     global_buffer
      - .address_space:  global
        .offset:         40
        .size:           8
        .value_kind:     global_buffer
      - .address_space:  global
        .offset:         48
        .size:           8
        .value_kind:     global_buffer
      - .address_space:  global
        .offset:         56
        .size:           8
        .value_kind:     global_buffer
      - .offset:         64
        .size:           4
        .value_kind:     by_value
      - .offset:         68
        .size:           4
        .value_kind:     by_value
      - .offset:         72
        .size:           4
        .value_kind:     by_value
      - .offset:         76
        .size:           4
        .value_kind:     by_value
      - .offset:         80
        .size:           4
        .value_kind:     by_value
      - .offset:         84
        .size:           4
        .value_kind:     by_value
      - .offset:         88
        .size:           4
        .value_kind:     by_value
      - .offset:         92
        .size:           12
        .value_kind:     by_value
      - .offset:         104
        .size:           4
        .value_kind:     by_value
      - .offset:         108
        .size:           4
        .value_kind:     by_value
      - .offset:         112
        .size:           4
        .value_kind:     by_value
      - .offset:         116
        .size:           4
        .value_kind:     by_value
      - .offset:         120
        .size:           4
        .value_kind:     by_value
      - .offset:         124
        .size:           4
        .value_kind:     by_value
      - .offset:         128
        .size:           4
        .value_kind:     by_value
      - .offset:         132
        .size:           4
        .value_kind:     by_value
      - .offset:         136
        .size:           4
        .value_kind:     by_value
      - .offset:         140
        .size:           4
        .value_kind:     by_value
      - .offset:         144
        .size:           4
        .value_kind:     by_value
      - .offset:         152
        .size:           8
        .value_kind:     by_value
      - .offset:         160
        .size:           4
        .value_kind:     by_value
      - .offset:         164
        .size:           4
        .value_kind:     by_value
      - .offset:         168
        .size:           8
        .value_kind:     by_value
      - .offset:         176
        .size:           4
        .value_kind:     by_value
      - .offset:         180
        .size:           4
        .value_kind:     by_value
      - .offset:         184
        .size:           4
        .value_kind:     by_value
      - .offset:         188
        .size:           4
        .value_kind:     by_value
      - .offset:         192
        .size:           4
        .value_kind:     by_value
      - .offset:         200
        .size:           8
        .value_kind:     by_value
      - .offset:         208
        .size:           4
        .value_kind:     hidden_block_count_x
      - .offset:         212
        .size:           4
        .value_kind:     hidden_block_count_y
      - .offset:         216
        .size:           4
        .value_kind:     hidden_block_count_z
      - .offset:         220
        .size:           2
        .value_kind:     hidden_group_size_x
      - .offset:         222
        .size:           2
        .value_kind:     hidden_group_size_y
      - .offset:         224
        .size:           2
        .value_kind:     hidden_group_size_z
      - .offset:         226
        .size:           2
        .value_kind:     hidden_remainder_x
      - .offset:         228
        .size:           2
        .value_kind:     hidden_remainder_y
      - .offset:         230
        .size:           2
        .value_kind:     hidden_remainder_z
      - .offset:         248
        .size:           8
        .value_kind:     hidden_global_offset_x
      - .offset:         256
        .size:           8
        .value_kind:     hidden_global_offset_y
      - .offset:         264
        .size:           8
        .value_kind:     hidden_global_offset_z
      - .offset:         272
        .size:           2
        .value_kind:     hidden_grid_dims
      - .offset:         288
        .size:           8
        .value_kind:     hidden_hostcall_buffer
    .group_segment_fixed_size: 0
    .kernarg_segment_align: 8
    .kernarg_segment_size: 464
    .language:       OpenCL C
    .language_version:
      - 2
      - 0
    .max_flat_workgroup_size: 256
    .name:           _ZL15flash_attn_tileILi112ELi112ELi2ELi8ELb1EEvPKcS1_S1_S1_S1_PKiPfP15HIP_vector_typeIfLj2EEffffjfiS5_IjLj3EEiiiiiiiiiiiliiliiiiil
    .private_segment_fixed_size: 16
    .sgpr_count:     38
    .sgpr_spill_count: 0
    .symbol:         _ZL15flash_attn_tileILi112ELi112ELi2ELi8ELb1EEvPKcS1_S1_S1_S1_PKiPfP15HIP_vector_typeIfLj2EEffffjfiS5_IjLj3EEiiiiiiiiiiiliiliiiiil.kd
    .uniform_work_group_size: 1
    .uses_dynamic_stack: false
    .vgpr_count:     41
    .vgpr_spill_count: 0
    .wavefront_size: 64
  - .args:
      - .address_space:  global
        .offset:         0
        .size:           8
        .value_kind:     global_buffer
      - .address_space:  global
        .offset:         8
        .size:           8
        .value_kind:     global_buffer
      - .address_space:  global
        .offset:         16
        .size:           8
        .value_kind:     global_buffer
      - .address_space:  global
        .offset:         24
        .size:           8
        .value_kind:     global_buffer
      - .address_space:  global
        .offset:         32
        .size:           8
        .value_kind:     global_buffer
      - .address_space:  global
        .offset:         40
        .size:           8
        .value_kind:     global_buffer
      - .address_space:  global
        .offset:         48
        .size:           8
        .value_kind:     global_buffer
      - .address_space:  global
        .offset:         56
        .size:           8
        .value_kind:     global_buffer
      - .offset:         64
        .size:           4
        .value_kind:     by_value
      - .offset:         68
        .size:           4
        .value_kind:     by_value
      - .offset:         72
        .size:           4
        .value_kind:     by_value
      - .offset:         76
        .size:           4
        .value_kind:     by_value
      - .offset:         80
        .size:           4
        .value_kind:     by_value
      - .offset:         84
        .size:           4
        .value_kind:     by_value
      - .offset:         88
        .size:           4
        .value_kind:     by_value
      - .offset:         92
        .size:           12
        .value_kind:     by_value
      - .offset:         104
        .size:           4
        .value_kind:     by_value
      - .offset:         108
        .size:           4
        .value_kind:     by_value
      - .offset:         112
        .size:           4
        .value_kind:     by_value
      - .offset:         116
        .size:           4
        .value_kind:     by_value
      - .offset:         120
        .size:           4
        .value_kind:     by_value
      - .offset:         124
        .size:           4
        .value_kind:     by_value
      - .offset:         128
        .size:           4
        .value_kind:     by_value
      - .offset:         132
        .size:           4
        .value_kind:     by_value
      - .offset:         136
        .size:           4
        .value_kind:     by_value
      - .offset:         140
        .size:           4
        .value_kind:     by_value
      - .offset:         144
        .size:           4
        .value_kind:     by_value
      - .offset:         152
        .size:           8
        .value_kind:     by_value
      - .offset:         160
        .size:           4
        .value_kind:     by_value
      - .offset:         164
        .size:           4
        .value_kind:     by_value
      - .offset:         168
        .size:           8
        .value_kind:     by_value
      - .offset:         176
        .size:           4
        .value_kind:     by_value
      - .offset:         180
        .size:           4
        .value_kind:     by_value
      - .offset:         184
        .size:           4
        .value_kind:     by_value
      - .offset:         188
        .size:           4
        .value_kind:     by_value
      - .offset:         192
        .size:           4
        .value_kind:     by_value
      - .offset:         200
        .size:           8
        .value_kind:     by_value
      - .offset:         208
        .size:           4
        .value_kind:     hidden_block_count_x
      - .offset:         212
        .size:           4
        .value_kind:     hidden_block_count_y
      - .offset:         216
        .size:           4
        .value_kind:     hidden_block_count_z
      - .offset:         220
        .size:           2
        .value_kind:     hidden_group_size_x
      - .offset:         222
        .size:           2
        .value_kind:     hidden_group_size_y
      - .offset:         224
        .size:           2
        .value_kind:     hidden_group_size_z
      - .offset:         226
        .size:           2
        .value_kind:     hidden_remainder_x
      - .offset:         228
        .size:           2
        .value_kind:     hidden_remainder_y
      - .offset:         230
        .size:           2
        .value_kind:     hidden_remainder_z
      - .offset:         248
        .size:           8
        .value_kind:     hidden_global_offset_x
      - .offset:         256
        .size:           8
        .value_kind:     hidden_global_offset_y
      - .offset:         264
        .size:           8
        .value_kind:     hidden_global_offset_z
      - .offset:         272
        .size:           2
        .value_kind:     hidden_grid_dims
      - .offset:         288
        .size:           8
        .value_kind:     hidden_hostcall_buffer
    .group_segment_fixed_size: 0
    .kernarg_segment_align: 8
    .kernarg_segment_size: 464
    .language:       OpenCL C
    .language_version:
      - 2
      - 0
    .max_flat_workgroup_size: 256
    .name:           _ZL15flash_attn_tileILi112ELi112ELi1ELi8ELb1EEvPKcS1_S1_S1_S1_PKiPfP15HIP_vector_typeIfLj2EEffffjfiS5_IjLj3EEiiiiiiiiiiiliiliiiiil
    .private_segment_fixed_size: 16
    .sgpr_count:     38
    .sgpr_spill_count: 0
    .symbol:         _ZL15flash_attn_tileILi112ELi112ELi1ELi8ELb1EEvPKcS1_S1_S1_S1_PKiPfP15HIP_vector_typeIfLj2EEffffjfiS5_IjLj3EEiiiiiiiiiiiliiliiiiil.kd
    .uniform_work_group_size: 1
    .uses_dynamic_stack: false
    .vgpr_count:     41
    .vgpr_spill_count: 0
    .wavefront_size: 64
  - .args:
      - .address_space:  global
        .offset:         0
        .size:           8
        .value_kind:     global_buffer
      - .address_space:  global
        .offset:         8
        .size:           8
        .value_kind:     global_buffer
      - .address_space:  global
        .offset:         16
        .size:           8
        .value_kind:     global_buffer
      - .address_space:  global
        .offset:         24
        .size:           8
        .value_kind:     global_buffer
      - .address_space:  global
        .offset:         32
        .size:           8
        .value_kind:     global_buffer
      - .address_space:  global
        .offset:         40
        .size:           8
        .value_kind:     global_buffer
      - .address_space:  global
        .offset:         48
        .size:           8
        .value_kind:     global_buffer
      - .address_space:  global
        .offset:         56
        .size:           8
        .value_kind:     global_buffer
      - .offset:         64
        .size:           4
        .value_kind:     by_value
      - .offset:         68
        .size:           4
        .value_kind:     by_value
      - .offset:         72
        .size:           4
        .value_kind:     by_value
      - .offset:         76
        .size:           4
        .value_kind:     by_value
      - .offset:         80
        .size:           4
        .value_kind:     by_value
      - .offset:         84
        .size:           4
        .value_kind:     by_value
      - .offset:         88
        .size:           4
        .value_kind:     by_value
      - .offset:         92
        .size:           12
        .value_kind:     by_value
      - .offset:         104
        .size:           4
        .value_kind:     by_value
      - .offset:         108
        .size:           4
        .value_kind:     by_value
      - .offset:         112
        .size:           4
        .value_kind:     by_value
      - .offset:         116
        .size:           4
        .value_kind:     by_value
      - .offset:         120
        .size:           4
        .value_kind:     by_value
      - .offset:         124
        .size:           4
        .value_kind:     by_value
      - .offset:         128
        .size:           4
        .value_kind:     by_value
      - .offset:         132
        .size:           4
        .value_kind:     by_value
      - .offset:         136
        .size:           4
        .value_kind:     by_value
      - .offset:         140
        .size:           4
        .value_kind:     by_value
      - .offset:         144
        .size:           4
        .value_kind:     by_value
      - .offset:         152
        .size:           8
        .value_kind:     by_value
      - .offset:         160
        .size:           4
        .value_kind:     by_value
      - .offset:         164
        .size:           4
        .value_kind:     by_value
      - .offset:         168
        .size:           8
        .value_kind:     by_value
      - .offset:         176
        .size:           4
        .value_kind:     by_value
      - .offset:         180
        .size:           4
        .value_kind:     by_value
      - .offset:         184
        .size:           4
        .value_kind:     by_value
      - .offset:         188
        .size:           4
        .value_kind:     by_value
      - .offset:         192
        .size:           4
        .value_kind:     by_value
      - .offset:         200
        .size:           8
        .value_kind:     by_value
      - .offset:         208
        .size:           4
        .value_kind:     hidden_block_count_x
      - .offset:         212
        .size:           4
        .value_kind:     hidden_block_count_y
      - .offset:         216
        .size:           4
        .value_kind:     hidden_block_count_z
      - .offset:         220
        .size:           2
        .value_kind:     hidden_group_size_x
      - .offset:         222
        .size:           2
        .value_kind:     hidden_group_size_y
      - .offset:         224
        .size:           2
        .value_kind:     hidden_group_size_z
      - .offset:         226
        .size:           2
        .value_kind:     hidden_remainder_x
      - .offset:         228
        .size:           2
        .value_kind:     hidden_remainder_y
      - .offset:         230
        .size:           2
        .value_kind:     hidden_remainder_z
      - .offset:         248
        .size:           8
        .value_kind:     hidden_global_offset_x
      - .offset:         256
        .size:           8
        .value_kind:     hidden_global_offset_y
      - .offset:         264
        .size:           8
        .value_kind:     hidden_global_offset_z
      - .offset:         272
        .size:           2
        .value_kind:     hidden_grid_dims
      - .offset:         288
        .size:           8
        .value_kind:     hidden_hostcall_buffer
    .group_segment_fixed_size: 0
    .kernarg_segment_align: 8
    .kernarg_segment_size: 464
    .language:       OpenCL C
    .language_version:
      - 2
      - 0
    .max_flat_workgroup_size: 256
    .name:           _ZL15flash_attn_tileILi112ELi112ELi16ELi4ELb1EEvPKcS1_S1_S1_S1_PKiPfP15HIP_vector_typeIfLj2EEffffjfiS5_IjLj3EEiiiiiiiiiiiliiliiiiil
    .private_segment_fixed_size: 16
    .sgpr_count:     38
    .sgpr_spill_count: 0
    .symbol:         _ZL15flash_attn_tileILi112ELi112ELi16ELi4ELb1EEvPKcS1_S1_S1_S1_PKiPfP15HIP_vector_typeIfLj2EEffffjfiS5_IjLj3EEiiiiiiiiiiiliiliiiiil.kd
    .uniform_work_group_size: 1
    .uses_dynamic_stack: false
    .vgpr_count:     41
    .vgpr_spill_count: 0
    .wavefront_size: 64
  - .args:
      - .address_space:  global
        .offset:         0
        .size:           8
        .value_kind:     global_buffer
      - .address_space:  global
        .offset:         8
        .size:           8
        .value_kind:     global_buffer
      - .address_space:  global
        .offset:         16
        .size:           8
        .value_kind:     global_buffer
      - .address_space:  global
        .offset:         24
        .size:           8
        .value_kind:     global_buffer
      - .address_space:  global
        .offset:         32
        .size:           8
        .value_kind:     global_buffer
      - .address_space:  global
        .offset:         40
        .size:           8
        .value_kind:     global_buffer
      - .address_space:  global
        .offset:         48
        .size:           8
        .value_kind:     global_buffer
      - .address_space:  global
        .offset:         56
        .size:           8
        .value_kind:     global_buffer
      - .offset:         64
        .size:           4
        .value_kind:     by_value
      - .offset:         68
        .size:           4
        .value_kind:     by_value
      - .offset:         72
        .size:           4
        .value_kind:     by_value
      - .offset:         76
        .size:           4
        .value_kind:     by_value
      - .offset:         80
        .size:           4
        .value_kind:     by_value
      - .offset:         84
        .size:           4
        .value_kind:     by_value
      - .offset:         88
        .size:           4
        .value_kind:     by_value
      - .offset:         92
        .size:           12
        .value_kind:     by_value
      - .offset:         104
        .size:           4
        .value_kind:     by_value
      - .offset:         108
        .size:           4
        .value_kind:     by_value
      - .offset:         112
        .size:           4
        .value_kind:     by_value
      - .offset:         116
        .size:           4
        .value_kind:     by_value
      - .offset:         120
        .size:           4
        .value_kind:     by_value
      - .offset:         124
        .size:           4
        .value_kind:     by_value
      - .offset:         128
        .size:           4
        .value_kind:     by_value
      - .offset:         132
        .size:           4
        .value_kind:     by_value
      - .offset:         136
        .size:           4
        .value_kind:     by_value
      - .offset:         140
        .size:           4
        .value_kind:     by_value
      - .offset:         144
        .size:           4
        .value_kind:     by_value
      - .offset:         152
        .size:           8
        .value_kind:     by_value
      - .offset:         160
        .size:           4
        .value_kind:     by_value
      - .offset:         164
        .size:           4
        .value_kind:     by_value
      - .offset:         168
        .size:           8
        .value_kind:     by_value
      - .offset:         176
        .size:           4
        .value_kind:     by_value
      - .offset:         180
        .size:           4
        .value_kind:     by_value
      - .offset:         184
        .size:           4
        .value_kind:     by_value
      - .offset:         188
        .size:           4
        .value_kind:     by_value
      - .offset:         192
        .size:           4
        .value_kind:     by_value
      - .offset:         200
        .size:           8
        .value_kind:     by_value
      - .offset:         208
        .size:           4
        .value_kind:     hidden_block_count_x
      - .offset:         212
        .size:           4
        .value_kind:     hidden_block_count_y
      - .offset:         216
        .size:           4
        .value_kind:     hidden_block_count_z
      - .offset:         220
        .size:           2
        .value_kind:     hidden_group_size_x
      - .offset:         222
        .size:           2
        .value_kind:     hidden_group_size_y
      - .offset:         224
        .size:           2
        .value_kind:     hidden_group_size_z
      - .offset:         226
        .size:           2
        .value_kind:     hidden_remainder_x
      - .offset:         228
        .size:           2
        .value_kind:     hidden_remainder_y
      - .offset:         230
        .size:           2
        .value_kind:     hidden_remainder_z
      - .offset:         248
        .size:           8
        .value_kind:     hidden_global_offset_x
      - .offset:         256
        .size:           8
        .value_kind:     hidden_global_offset_y
      - .offset:         264
        .size:           8
        .value_kind:     hidden_global_offset_z
      - .offset:         272
        .size:           2
        .value_kind:     hidden_grid_dims
      - .offset:         288
        .size:           8
        .value_kind:     hidden_hostcall_buffer
    .group_segment_fixed_size: 0
    .kernarg_segment_align: 8
    .kernarg_segment_size: 464
    .language:       OpenCL C
    .language_version:
      - 2
      - 0
    .max_flat_workgroup_size: 256
    .name:           _ZL15flash_attn_tileILi112ELi112ELi8ELi4ELb1EEvPKcS1_S1_S1_S1_PKiPfP15HIP_vector_typeIfLj2EEffffjfiS5_IjLj3EEiiiiiiiiiiiliiliiiiil
    .private_segment_fixed_size: 16
    .sgpr_count:     38
    .sgpr_spill_count: 0
    .symbol:         _ZL15flash_attn_tileILi112ELi112ELi8ELi4ELb1EEvPKcS1_S1_S1_S1_PKiPfP15HIP_vector_typeIfLj2EEffffjfiS5_IjLj3EEiiiiiiiiiiiliiliiiiil.kd
    .uniform_work_group_size: 1
    .uses_dynamic_stack: false
    .vgpr_count:     41
    .vgpr_spill_count: 0
    .wavefront_size: 64
  - .args:
      - .address_space:  global
        .offset:         0
        .size:           8
        .value_kind:     global_buffer
      - .address_space:  global
        .offset:         8
        .size:           8
        .value_kind:     global_buffer
      - .address_space:  global
        .offset:         16
        .size:           8
        .value_kind:     global_buffer
      - .address_space:  global
        .offset:         24
        .size:           8
        .value_kind:     global_buffer
      - .address_space:  global
        .offset:         32
        .size:           8
        .value_kind:     global_buffer
      - .address_space:  global
        .offset:         40
        .size:           8
        .value_kind:     global_buffer
      - .address_space:  global
        .offset:         48
        .size:           8
        .value_kind:     global_buffer
      - .address_space:  global
        .offset:         56
        .size:           8
        .value_kind:     global_buffer
      - .offset:         64
        .size:           4
        .value_kind:     by_value
      - .offset:         68
        .size:           4
        .value_kind:     by_value
      - .offset:         72
        .size:           4
        .value_kind:     by_value
      - .offset:         76
        .size:           4
        .value_kind:     by_value
      - .offset:         80
        .size:           4
        .value_kind:     by_value
      - .offset:         84
        .size:           4
        .value_kind:     by_value
      - .offset:         88
        .size:           4
        .value_kind:     by_value
      - .offset:         92
        .size:           12
        .value_kind:     by_value
      - .offset:         104
        .size:           4
        .value_kind:     by_value
      - .offset:         108
        .size:           4
        .value_kind:     by_value
      - .offset:         112
        .size:           4
        .value_kind:     by_value
      - .offset:         116
        .size:           4
        .value_kind:     by_value
      - .offset:         120
        .size:           4
        .value_kind:     by_value
      - .offset:         124
        .size:           4
        .value_kind:     by_value
      - .offset:         128
        .size:           4
        .value_kind:     by_value
      - .offset:         132
        .size:           4
        .value_kind:     by_value
      - .offset:         136
        .size:           4
        .value_kind:     by_value
      - .offset:         140
        .size:           4
        .value_kind:     by_value
      - .offset:         144
        .size:           4
        .value_kind:     by_value
      - .offset:         152
        .size:           8
        .value_kind:     by_value
      - .offset:         160
        .size:           4
        .value_kind:     by_value
      - .offset:         164
        .size:           4
        .value_kind:     by_value
      - .offset:         168
        .size:           8
        .value_kind:     by_value
      - .offset:         176
        .size:           4
        .value_kind:     by_value
      - .offset:         180
        .size:           4
        .value_kind:     by_value
      - .offset:         184
        .size:           4
        .value_kind:     by_value
      - .offset:         188
        .size:           4
        .value_kind:     by_value
      - .offset:         192
        .size:           4
        .value_kind:     by_value
      - .offset:         200
        .size:           8
        .value_kind:     by_value
      - .offset:         208
        .size:           4
        .value_kind:     hidden_block_count_x
      - .offset:         212
        .size:           4
        .value_kind:     hidden_block_count_y
      - .offset:         216
        .size:           4
        .value_kind:     hidden_block_count_z
      - .offset:         220
        .size:           2
        .value_kind:     hidden_group_size_x
      - .offset:         222
        .size:           2
        .value_kind:     hidden_group_size_y
      - .offset:         224
        .size:           2
        .value_kind:     hidden_group_size_z
      - .offset:         226
        .size:           2
        .value_kind:     hidden_remainder_x
      - .offset:         228
        .size:           2
        .value_kind:     hidden_remainder_y
      - .offset:         230
        .size:           2
        .value_kind:     hidden_remainder_z
      - .offset:         248
        .size:           8
        .value_kind:     hidden_global_offset_x
      - .offset:         256
        .size:           8
        .value_kind:     hidden_global_offset_y
      - .offset:         264
        .size:           8
        .value_kind:     hidden_global_offset_z
      - .offset:         272
        .size:           2
        .value_kind:     hidden_grid_dims
      - .offset:         288
        .size:           8
        .value_kind:     hidden_hostcall_buffer
    .group_segment_fixed_size: 0
    .kernarg_segment_align: 8
    .kernarg_segment_size: 464
    .language:       OpenCL C
    .language_version:
      - 2
      - 0
    .max_flat_workgroup_size: 256
    .name:           _ZL15flash_attn_tileILi112ELi112ELi4ELi4ELb1EEvPKcS1_S1_S1_S1_PKiPfP15HIP_vector_typeIfLj2EEffffjfiS5_IjLj3EEiiiiiiiiiiiliiliiiiil
    .private_segment_fixed_size: 16
    .sgpr_count:     38
    .sgpr_spill_count: 0
    .symbol:         _ZL15flash_attn_tileILi112ELi112ELi4ELi4ELb1EEvPKcS1_S1_S1_S1_PKiPfP15HIP_vector_typeIfLj2EEffffjfiS5_IjLj3EEiiiiiiiiiiiliiliiiiil.kd
    .uniform_work_group_size: 1
    .uses_dynamic_stack: false
    .vgpr_count:     41
    .vgpr_spill_count: 0
    .wavefront_size: 64
  - .args:
      - .address_space:  global
        .offset:         0
        .size:           8
        .value_kind:     global_buffer
      - .address_space:  global
        .offset:         8
        .size:           8
        .value_kind:     global_buffer
      - .address_space:  global
        .offset:         16
        .size:           8
        .value_kind:     global_buffer
      - .address_space:  global
        .offset:         24
        .size:           8
        .value_kind:     global_buffer
      - .address_space:  global
        .offset:         32
        .size:           8
        .value_kind:     global_buffer
      - .address_space:  global
        .offset:         40
        .size:           8
        .value_kind:     global_buffer
      - .address_space:  global
        .offset:         48
        .size:           8
        .value_kind:     global_buffer
      - .address_space:  global
        .offset:         56
        .size:           8
        .value_kind:     global_buffer
      - .offset:         64
        .size:           4
        .value_kind:     by_value
      - .offset:         68
        .size:           4
        .value_kind:     by_value
      - .offset:         72
        .size:           4
        .value_kind:     by_value
      - .offset:         76
        .size:           4
        .value_kind:     by_value
      - .offset:         80
        .size:           4
        .value_kind:     by_value
      - .offset:         84
        .size:           4
        .value_kind:     by_value
      - .offset:         88
        .size:           4
        .value_kind:     by_value
      - .offset:         92
        .size:           12
        .value_kind:     by_value
      - .offset:         104
        .size:           4
        .value_kind:     by_value
      - .offset:         108
        .size:           4
        .value_kind:     by_value
      - .offset:         112
        .size:           4
        .value_kind:     by_value
      - .offset:         116
        .size:           4
        .value_kind:     by_value
      - .offset:         120
        .size:           4
        .value_kind:     by_value
      - .offset:         124
        .size:           4
        .value_kind:     by_value
      - .offset:         128
        .size:           4
        .value_kind:     by_value
      - .offset:         132
        .size:           4
        .value_kind:     by_value
      - .offset:         136
        .size:           4
        .value_kind:     by_value
      - .offset:         140
        .size:           4
        .value_kind:     by_value
      - .offset:         144
        .size:           4
        .value_kind:     by_value
      - .offset:         152
        .size:           8
        .value_kind:     by_value
      - .offset:         160
        .size:           4
        .value_kind:     by_value
      - .offset:         164
        .size:           4
        .value_kind:     by_value
      - .offset:         168
        .size:           8
        .value_kind:     by_value
      - .offset:         176
        .size:           4
        .value_kind:     by_value
      - .offset:         180
        .size:           4
        .value_kind:     by_value
      - .offset:         184
        .size:           4
        .value_kind:     by_value
      - .offset:         188
        .size:           4
        .value_kind:     by_value
      - .offset:         192
        .size:           4
        .value_kind:     by_value
      - .offset:         200
        .size:           8
        .value_kind:     by_value
      - .offset:         208
        .size:           4
        .value_kind:     hidden_block_count_x
      - .offset:         212
        .size:           4
        .value_kind:     hidden_block_count_y
      - .offset:         216
        .size:           4
        .value_kind:     hidden_block_count_z
      - .offset:         220
        .size:           2
        .value_kind:     hidden_group_size_x
      - .offset:         222
        .size:           2
        .value_kind:     hidden_group_size_y
      - .offset:         224
        .size:           2
        .value_kind:     hidden_group_size_z
      - .offset:         226
        .size:           2
        .value_kind:     hidden_remainder_x
      - .offset:         228
        .size:           2
        .value_kind:     hidden_remainder_y
      - .offset:         230
        .size:           2
        .value_kind:     hidden_remainder_z
      - .offset:         248
        .size:           8
        .value_kind:     hidden_global_offset_x
      - .offset:         256
        .size:           8
        .value_kind:     hidden_global_offset_y
      - .offset:         264
        .size:           8
        .value_kind:     hidden_global_offset_z
      - .offset:         272
        .size:           2
        .value_kind:     hidden_grid_dims
      - .offset:         288
        .size:           8
        .value_kind:     hidden_hostcall_buffer
    .group_segment_fixed_size: 0
    .kernarg_segment_align: 8
    .kernarg_segment_size: 464
    .language:       OpenCL C
    .language_version:
      - 2
      - 0
    .max_flat_workgroup_size: 256
    .name:           _ZL15flash_attn_tileILi112ELi112ELi2ELi4ELb1EEvPKcS1_S1_S1_S1_PKiPfP15HIP_vector_typeIfLj2EEffffjfiS5_IjLj3EEiiiiiiiiiiiliiliiiiil
    .private_segment_fixed_size: 16
    .sgpr_count:     38
    .sgpr_spill_count: 0
    .symbol:         _ZL15flash_attn_tileILi112ELi112ELi2ELi4ELb1EEvPKcS1_S1_S1_S1_PKiPfP15HIP_vector_typeIfLj2EEffffjfiS5_IjLj3EEiiiiiiiiiiiliiliiiiil.kd
    .uniform_work_group_size: 1
    .uses_dynamic_stack: false
    .vgpr_count:     41
    .vgpr_spill_count: 0
    .wavefront_size: 64
  - .args:
      - .address_space:  global
        .offset:         0
        .size:           8
        .value_kind:     global_buffer
      - .address_space:  global
        .offset:         8
        .size:           8
        .value_kind:     global_buffer
      - .address_space:  global
        .offset:         16
        .size:           8
        .value_kind:     global_buffer
      - .address_space:  global
        .offset:         24
        .size:           8
        .value_kind:     global_buffer
      - .address_space:  global
        .offset:         32
        .size:           8
        .value_kind:     global_buffer
      - .address_space:  global
        .offset:         40
        .size:           8
        .value_kind:     global_buffer
      - .address_space:  global
        .offset:         48
        .size:           8
        .value_kind:     global_buffer
      - .address_space:  global
        .offset:         56
        .size:           8
        .value_kind:     global_buffer
      - .offset:         64
        .size:           4
        .value_kind:     by_value
      - .offset:         68
        .size:           4
        .value_kind:     by_value
      - .offset:         72
        .size:           4
        .value_kind:     by_value
      - .offset:         76
        .size:           4
        .value_kind:     by_value
      - .offset:         80
        .size:           4
        .value_kind:     by_value
      - .offset:         84
        .size:           4
        .value_kind:     by_value
      - .offset:         88
        .size:           4
        .value_kind:     by_value
      - .offset:         92
        .size:           12
        .value_kind:     by_value
      - .offset:         104
        .size:           4
        .value_kind:     by_value
      - .offset:         108
        .size:           4
        .value_kind:     by_value
      - .offset:         112
        .size:           4
        .value_kind:     by_value
      - .offset:         116
        .size:           4
        .value_kind:     by_value
      - .offset:         120
        .size:           4
        .value_kind:     by_value
      - .offset:         124
        .size:           4
        .value_kind:     by_value
      - .offset:         128
        .size:           4
        .value_kind:     by_value
      - .offset:         132
        .size:           4
        .value_kind:     by_value
      - .offset:         136
        .size:           4
        .value_kind:     by_value
      - .offset:         140
        .size:           4
        .value_kind:     by_value
      - .offset:         144
        .size:           4
        .value_kind:     by_value
      - .offset:         152
        .size:           8
        .value_kind:     by_value
      - .offset:         160
        .size:           4
        .value_kind:     by_value
      - .offset:         164
        .size:           4
        .value_kind:     by_value
      - .offset:         168
        .size:           8
        .value_kind:     by_value
      - .offset:         176
        .size:           4
        .value_kind:     by_value
      - .offset:         180
        .size:           4
        .value_kind:     by_value
      - .offset:         184
        .size:           4
        .value_kind:     by_value
      - .offset:         188
        .size:           4
        .value_kind:     by_value
      - .offset:         192
        .size:           4
        .value_kind:     by_value
      - .offset:         200
        .size:           8
        .value_kind:     by_value
      - .offset:         208
        .size:           4
        .value_kind:     hidden_block_count_x
      - .offset:         212
        .size:           4
        .value_kind:     hidden_block_count_y
      - .offset:         216
        .size:           4
        .value_kind:     hidden_block_count_z
      - .offset:         220
        .size:           2
        .value_kind:     hidden_group_size_x
      - .offset:         222
        .size:           2
        .value_kind:     hidden_group_size_y
      - .offset:         224
        .size:           2
        .value_kind:     hidden_group_size_z
      - .offset:         226
        .size:           2
        .value_kind:     hidden_remainder_x
      - .offset:         228
        .size:           2
        .value_kind:     hidden_remainder_y
      - .offset:         230
        .size:           2
        .value_kind:     hidden_remainder_z
      - .offset:         248
        .size:           8
        .value_kind:     hidden_global_offset_x
      - .offset:         256
        .size:           8
        .value_kind:     hidden_global_offset_y
      - .offset:         264
        .size:           8
        .value_kind:     hidden_global_offset_z
      - .offset:         272
        .size:           2
        .value_kind:     hidden_grid_dims
      - .offset:         288
        .size:           8
        .value_kind:     hidden_hostcall_buffer
    .group_segment_fixed_size: 0
    .kernarg_segment_align: 8
    .kernarg_segment_size: 464
    .language:       OpenCL C
    .language_version:
      - 2
      - 0
    .max_flat_workgroup_size: 128
    .name:           _ZL15flash_attn_tileILi112ELi112ELi1ELi4ELb1EEvPKcS1_S1_S1_S1_PKiPfP15HIP_vector_typeIfLj2EEffffjfiS5_IjLj3EEiiiiiiiiiiiliiliiiiil
    .private_segment_fixed_size: 16
    .sgpr_count:     38
    .sgpr_spill_count: 0
    .symbol:         _ZL15flash_attn_tileILi112ELi112ELi1ELi4ELb1EEvPKcS1_S1_S1_S1_PKiPfP15HIP_vector_typeIfLj2EEffffjfiS5_IjLj3EEiiiiiiiiiiiliiliiiiil.kd
    .uniform_work_group_size: 1
    .uses_dynamic_stack: false
    .vgpr_count:     41
    .vgpr_spill_count: 0
    .wavefront_size: 64
  - .args:
      - .address_space:  global
        .offset:         0
        .size:           8
        .value_kind:     global_buffer
      - .address_space:  global
        .offset:         8
        .size:           8
        .value_kind:     global_buffer
      - .address_space:  global
        .offset:         16
        .size:           8
        .value_kind:     global_buffer
      - .address_space:  global
        .offset:         24
        .size:           8
        .value_kind:     global_buffer
      - .address_space:  global
        .offset:         32
        .size:           8
        .value_kind:     global_buffer
      - .address_space:  global
        .offset:         40
        .size:           8
        .value_kind:     global_buffer
      - .address_space:  global
        .offset:         48
        .size:           8
        .value_kind:     global_buffer
      - .address_space:  global
        .offset:         56
        .size:           8
        .value_kind:     global_buffer
      - .offset:         64
        .size:           4
        .value_kind:     by_value
      - .offset:         68
        .size:           4
        .value_kind:     by_value
      - .offset:         72
        .size:           4
        .value_kind:     by_value
      - .offset:         76
        .size:           4
        .value_kind:     by_value
      - .offset:         80
        .size:           4
        .value_kind:     by_value
      - .offset:         84
        .size:           4
        .value_kind:     by_value
      - .offset:         88
        .size:           4
        .value_kind:     by_value
      - .offset:         92
        .size:           12
        .value_kind:     by_value
      - .offset:         104
        .size:           4
        .value_kind:     by_value
      - .offset:         108
        .size:           4
        .value_kind:     by_value
      - .offset:         112
        .size:           4
        .value_kind:     by_value
      - .offset:         116
        .size:           4
        .value_kind:     by_value
      - .offset:         120
        .size:           4
        .value_kind:     by_value
      - .offset:         124
        .size:           4
        .value_kind:     by_value
      - .offset:         128
        .size:           4
        .value_kind:     by_value
      - .offset:         132
        .size:           4
        .value_kind:     by_value
      - .offset:         136
        .size:           4
        .value_kind:     by_value
      - .offset:         140
        .size:           4
        .value_kind:     by_value
      - .offset:         144
        .size:           4
        .value_kind:     by_value
      - .offset:         152
        .size:           8
        .value_kind:     by_value
      - .offset:         160
        .size:           4
        .value_kind:     by_value
      - .offset:         164
        .size:           4
        .value_kind:     by_value
      - .offset:         168
        .size:           8
        .value_kind:     by_value
      - .offset:         176
        .size:           4
        .value_kind:     by_value
      - .offset:         180
        .size:           4
        .value_kind:     by_value
      - .offset:         184
        .size:           4
        .value_kind:     by_value
      - .offset:         188
        .size:           4
        .value_kind:     by_value
      - .offset:         192
        .size:           4
        .value_kind:     by_value
      - .offset:         200
        .size:           8
        .value_kind:     by_value
      - .offset:         208
        .size:           4
        .value_kind:     hidden_block_count_x
      - .offset:         212
        .size:           4
        .value_kind:     hidden_block_count_y
      - .offset:         216
        .size:           4
        .value_kind:     hidden_block_count_z
      - .offset:         220
        .size:           2
        .value_kind:     hidden_group_size_x
      - .offset:         222
        .size:           2
        .value_kind:     hidden_group_size_y
      - .offset:         224
        .size:           2
        .value_kind:     hidden_group_size_z
      - .offset:         226
        .size:           2
        .value_kind:     hidden_remainder_x
      - .offset:         228
        .size:           2
        .value_kind:     hidden_remainder_y
      - .offset:         230
        .size:           2
        .value_kind:     hidden_remainder_z
      - .offset:         248
        .size:           8
        .value_kind:     hidden_global_offset_x
      - .offset:         256
        .size:           8
        .value_kind:     hidden_global_offset_y
      - .offset:         264
        .size:           8
        .value_kind:     hidden_global_offset_z
      - .offset:         272
        .size:           2
        .value_kind:     hidden_grid_dims
      - .offset:         288
        .size:           8
        .value_kind:     hidden_hostcall_buffer
    .group_segment_fixed_size: 0
    .kernarg_segment_align: 8
    .kernarg_segment_size: 464
    .language:       OpenCL C
    .language_version:
      - 2
      - 0
    .max_flat_workgroup_size: 256
    .name:           _ZL15flash_attn_tileILi112ELi112ELi32ELi2ELb1EEvPKcS1_S1_S1_S1_PKiPfP15HIP_vector_typeIfLj2EEffffjfiS5_IjLj3EEiiiiiiiiiiiliiliiiiil
    .private_segment_fixed_size: 16
    .sgpr_count:     38
    .sgpr_spill_count: 0
    .symbol:         _ZL15flash_attn_tileILi112ELi112ELi32ELi2ELb1EEvPKcS1_S1_S1_S1_PKiPfP15HIP_vector_typeIfLj2EEffffjfiS5_IjLj3EEiiiiiiiiiiiliiliiiiil.kd
    .uniform_work_group_size: 1
    .uses_dynamic_stack: false
    .vgpr_count:     41
    .vgpr_spill_count: 0
    .wavefront_size: 64
  - .args:
      - .address_space:  global
        .offset:         0
        .size:           8
        .value_kind:     global_buffer
      - .address_space:  global
        .offset:         8
        .size:           8
        .value_kind:     global_buffer
      - .address_space:  global
        .offset:         16
        .size:           8
        .value_kind:     global_buffer
      - .address_space:  global
        .offset:         24
        .size:           8
        .value_kind:     global_buffer
      - .address_space:  global
        .offset:         32
        .size:           8
        .value_kind:     global_buffer
      - .address_space:  global
        .offset:         40
        .size:           8
        .value_kind:     global_buffer
      - .address_space:  global
        .offset:         48
        .size:           8
        .value_kind:     global_buffer
      - .address_space:  global
        .offset:         56
        .size:           8
        .value_kind:     global_buffer
      - .offset:         64
        .size:           4
        .value_kind:     by_value
      - .offset:         68
        .size:           4
        .value_kind:     by_value
      - .offset:         72
        .size:           4
        .value_kind:     by_value
      - .offset:         76
        .size:           4
        .value_kind:     by_value
      - .offset:         80
        .size:           4
        .value_kind:     by_value
      - .offset:         84
        .size:           4
        .value_kind:     by_value
      - .offset:         88
        .size:           4
        .value_kind:     by_value
      - .offset:         92
        .size:           12
        .value_kind:     by_value
      - .offset:         104
        .size:           4
        .value_kind:     by_value
      - .offset:         108
        .size:           4
        .value_kind:     by_value
      - .offset:         112
        .size:           4
        .value_kind:     by_value
      - .offset:         116
        .size:           4
        .value_kind:     by_value
      - .offset:         120
        .size:           4
        .value_kind:     by_value
      - .offset:         124
        .size:           4
        .value_kind:     by_value
      - .offset:         128
        .size:           4
        .value_kind:     by_value
      - .offset:         132
        .size:           4
        .value_kind:     by_value
      - .offset:         136
        .size:           4
        .value_kind:     by_value
      - .offset:         140
        .size:           4
        .value_kind:     by_value
      - .offset:         144
        .size:           4
        .value_kind:     by_value
      - .offset:         152
        .size:           8
        .value_kind:     by_value
      - .offset:         160
        .size:           4
        .value_kind:     by_value
      - .offset:         164
        .size:           4
        .value_kind:     by_value
      - .offset:         168
        .size:           8
        .value_kind:     by_value
      - .offset:         176
        .size:           4
        .value_kind:     by_value
      - .offset:         180
        .size:           4
        .value_kind:     by_value
      - .offset:         184
        .size:           4
        .value_kind:     by_value
      - .offset:         188
        .size:           4
        .value_kind:     by_value
      - .offset:         192
        .size:           4
        .value_kind:     by_value
      - .offset:         200
        .size:           8
        .value_kind:     by_value
      - .offset:         208
        .size:           4
        .value_kind:     hidden_block_count_x
      - .offset:         212
        .size:           4
        .value_kind:     hidden_block_count_y
      - .offset:         216
        .size:           4
        .value_kind:     hidden_block_count_z
      - .offset:         220
        .size:           2
        .value_kind:     hidden_group_size_x
      - .offset:         222
        .size:           2
        .value_kind:     hidden_group_size_y
      - .offset:         224
        .size:           2
        .value_kind:     hidden_group_size_z
      - .offset:         226
        .size:           2
        .value_kind:     hidden_remainder_x
      - .offset:         228
        .size:           2
        .value_kind:     hidden_remainder_y
      - .offset:         230
        .size:           2
        .value_kind:     hidden_remainder_z
      - .offset:         248
        .size:           8
        .value_kind:     hidden_global_offset_x
      - .offset:         256
        .size:           8
        .value_kind:     hidden_global_offset_y
      - .offset:         264
        .size:           8
        .value_kind:     hidden_global_offset_z
      - .offset:         272
        .size:           2
        .value_kind:     hidden_grid_dims
      - .offset:         288
        .size:           8
        .value_kind:     hidden_hostcall_buffer
    .group_segment_fixed_size: 0
    .kernarg_segment_align: 8
    .kernarg_segment_size: 464
    .language:       OpenCL C
    .language_version:
      - 2
      - 0
    .max_flat_workgroup_size: 256
    .name:           _ZL15flash_attn_tileILi112ELi112ELi16ELi2ELb1EEvPKcS1_S1_S1_S1_PKiPfP15HIP_vector_typeIfLj2EEffffjfiS5_IjLj3EEiiiiiiiiiiiliiliiiiil
    .private_segment_fixed_size: 16
    .sgpr_count:     38
    .sgpr_spill_count: 0
    .symbol:         _ZL15flash_attn_tileILi112ELi112ELi16ELi2ELb1EEvPKcS1_S1_S1_S1_PKiPfP15HIP_vector_typeIfLj2EEffffjfiS5_IjLj3EEiiiiiiiiiiiliiliiiiil.kd
    .uniform_work_group_size: 1
    .uses_dynamic_stack: false
    .vgpr_count:     41
    .vgpr_spill_count: 0
    .wavefront_size: 64
  - .args:
      - .address_space:  global
        .offset:         0
        .size:           8
        .value_kind:     global_buffer
      - .address_space:  global
        .offset:         8
        .size:           8
        .value_kind:     global_buffer
      - .address_space:  global
        .offset:         16
        .size:           8
        .value_kind:     global_buffer
      - .address_space:  global
        .offset:         24
        .size:           8
        .value_kind:     global_buffer
      - .address_space:  global
        .offset:         32
        .size:           8
        .value_kind:     global_buffer
      - .address_space:  global
        .offset:         40
        .size:           8
        .value_kind:     global_buffer
      - .address_space:  global
        .offset:         48
        .size:           8
        .value_kind:     global_buffer
      - .address_space:  global
        .offset:         56
        .size:           8
        .value_kind:     global_buffer
      - .offset:         64
        .size:           4
        .value_kind:     by_value
      - .offset:         68
        .size:           4
        .value_kind:     by_value
      - .offset:         72
        .size:           4
        .value_kind:     by_value
      - .offset:         76
        .size:           4
        .value_kind:     by_value
      - .offset:         80
        .size:           4
        .value_kind:     by_value
      - .offset:         84
        .size:           4
        .value_kind:     by_value
      - .offset:         88
        .size:           4
        .value_kind:     by_value
      - .offset:         92
        .size:           12
        .value_kind:     by_value
      - .offset:         104
        .size:           4
        .value_kind:     by_value
      - .offset:         108
        .size:           4
        .value_kind:     by_value
      - .offset:         112
        .size:           4
        .value_kind:     by_value
      - .offset:         116
        .size:           4
        .value_kind:     by_value
      - .offset:         120
        .size:           4
        .value_kind:     by_value
      - .offset:         124
        .size:           4
        .value_kind:     by_value
      - .offset:         128
        .size:           4
        .value_kind:     by_value
      - .offset:         132
        .size:           4
        .value_kind:     by_value
      - .offset:         136
        .size:           4
        .value_kind:     by_value
      - .offset:         140
        .size:           4
        .value_kind:     by_value
      - .offset:         144
        .size:           4
        .value_kind:     by_value
      - .offset:         152
        .size:           8
        .value_kind:     by_value
      - .offset:         160
        .size:           4
        .value_kind:     by_value
      - .offset:         164
        .size:           4
        .value_kind:     by_value
      - .offset:         168
        .size:           8
        .value_kind:     by_value
      - .offset:         176
        .size:           4
        .value_kind:     by_value
      - .offset:         180
        .size:           4
        .value_kind:     by_value
      - .offset:         184
        .size:           4
        .value_kind:     by_value
      - .offset:         188
        .size:           4
        .value_kind:     by_value
      - .offset:         192
        .size:           4
        .value_kind:     by_value
      - .offset:         200
        .size:           8
        .value_kind:     by_value
      - .offset:         208
        .size:           4
        .value_kind:     hidden_block_count_x
      - .offset:         212
        .size:           4
        .value_kind:     hidden_block_count_y
      - .offset:         216
        .size:           4
        .value_kind:     hidden_block_count_z
      - .offset:         220
        .size:           2
        .value_kind:     hidden_group_size_x
      - .offset:         222
        .size:           2
        .value_kind:     hidden_group_size_y
      - .offset:         224
        .size:           2
        .value_kind:     hidden_group_size_z
      - .offset:         226
        .size:           2
        .value_kind:     hidden_remainder_x
      - .offset:         228
        .size:           2
        .value_kind:     hidden_remainder_y
      - .offset:         230
        .size:           2
        .value_kind:     hidden_remainder_z
      - .offset:         248
        .size:           8
        .value_kind:     hidden_global_offset_x
      - .offset:         256
        .size:           8
        .value_kind:     hidden_global_offset_y
      - .offset:         264
        .size:           8
        .value_kind:     hidden_global_offset_z
      - .offset:         272
        .size:           2
        .value_kind:     hidden_grid_dims
      - .offset:         288
        .size:           8
        .value_kind:     hidden_hostcall_buffer
    .group_segment_fixed_size: 0
    .kernarg_segment_align: 8
    .kernarg_segment_size: 464
    .language:       OpenCL C
    .language_version:
      - 2
      - 0
    .max_flat_workgroup_size: 256
    .name:           _ZL15flash_attn_tileILi112ELi112ELi8ELi2ELb1EEvPKcS1_S1_S1_S1_PKiPfP15HIP_vector_typeIfLj2EEffffjfiS5_IjLj3EEiiiiiiiiiiiliiliiiiil
    .private_segment_fixed_size: 16
    .sgpr_count:     38
    .sgpr_spill_count: 0
    .symbol:         _ZL15flash_attn_tileILi112ELi112ELi8ELi2ELb1EEvPKcS1_S1_S1_S1_PKiPfP15HIP_vector_typeIfLj2EEffffjfiS5_IjLj3EEiiiiiiiiiiiliiliiiiil.kd
    .uniform_work_group_size: 1
    .uses_dynamic_stack: false
    .vgpr_count:     41
    .vgpr_spill_count: 0
    .wavefront_size: 64
  - .args:
      - .address_space:  global
        .offset:         0
        .size:           8
        .value_kind:     global_buffer
      - .address_space:  global
        .offset:         8
        .size:           8
        .value_kind:     global_buffer
      - .address_space:  global
        .offset:         16
        .size:           8
        .value_kind:     global_buffer
      - .address_space:  global
        .offset:         24
        .size:           8
        .value_kind:     global_buffer
      - .address_space:  global
        .offset:         32
        .size:           8
        .value_kind:     global_buffer
      - .address_space:  global
        .offset:         40
        .size:           8
        .value_kind:     global_buffer
      - .address_space:  global
        .offset:         48
        .size:           8
        .value_kind:     global_buffer
      - .address_space:  global
        .offset:         56
        .size:           8
        .value_kind:     global_buffer
      - .offset:         64
        .size:           4
        .value_kind:     by_value
      - .offset:         68
        .size:           4
        .value_kind:     by_value
      - .offset:         72
        .size:           4
        .value_kind:     by_value
      - .offset:         76
        .size:           4
        .value_kind:     by_value
      - .offset:         80
        .size:           4
        .value_kind:     by_value
      - .offset:         84
        .size:           4
        .value_kind:     by_value
      - .offset:         88
        .size:           4
        .value_kind:     by_value
      - .offset:         92
        .size:           12
        .value_kind:     by_value
      - .offset:         104
        .size:           4
        .value_kind:     by_value
      - .offset:         108
        .size:           4
        .value_kind:     by_value
      - .offset:         112
        .size:           4
        .value_kind:     by_value
      - .offset:         116
        .size:           4
        .value_kind:     by_value
      - .offset:         120
        .size:           4
        .value_kind:     by_value
      - .offset:         124
        .size:           4
        .value_kind:     by_value
      - .offset:         128
        .size:           4
        .value_kind:     by_value
      - .offset:         132
        .size:           4
        .value_kind:     by_value
      - .offset:         136
        .size:           4
        .value_kind:     by_value
      - .offset:         140
        .size:           4
        .value_kind:     by_value
      - .offset:         144
        .size:           4
        .value_kind:     by_value
      - .offset:         152
        .size:           8
        .value_kind:     by_value
      - .offset:         160
        .size:           4
        .value_kind:     by_value
      - .offset:         164
        .size:           4
        .value_kind:     by_value
      - .offset:         168
        .size:           8
        .value_kind:     by_value
      - .offset:         176
        .size:           4
        .value_kind:     by_value
      - .offset:         180
        .size:           4
        .value_kind:     by_value
      - .offset:         184
        .size:           4
        .value_kind:     by_value
      - .offset:         188
        .size:           4
        .value_kind:     by_value
      - .offset:         192
        .size:           4
        .value_kind:     by_value
      - .offset:         200
        .size:           8
        .value_kind:     by_value
      - .offset:         208
        .size:           4
        .value_kind:     hidden_block_count_x
      - .offset:         212
        .size:           4
        .value_kind:     hidden_block_count_y
      - .offset:         216
        .size:           4
        .value_kind:     hidden_block_count_z
      - .offset:         220
        .size:           2
        .value_kind:     hidden_group_size_x
      - .offset:         222
        .size:           2
        .value_kind:     hidden_group_size_y
      - .offset:         224
        .size:           2
        .value_kind:     hidden_group_size_z
      - .offset:         226
        .size:           2
        .value_kind:     hidden_remainder_x
      - .offset:         228
        .size:           2
        .value_kind:     hidden_remainder_y
      - .offset:         230
        .size:           2
        .value_kind:     hidden_remainder_z
      - .offset:         248
        .size:           8
        .value_kind:     hidden_global_offset_x
      - .offset:         256
        .size:           8
        .value_kind:     hidden_global_offset_y
      - .offset:         264
        .size:           8
        .value_kind:     hidden_global_offset_z
      - .offset:         272
        .size:           2
        .value_kind:     hidden_grid_dims
      - .offset:         288
        .size:           8
        .value_kind:     hidden_hostcall_buffer
    .group_segment_fixed_size: 0
    .kernarg_segment_align: 8
    .kernarg_segment_size: 464
    .language:       OpenCL C
    .language_version:
      - 2
      - 0
    .max_flat_workgroup_size: 256
    .name:           _ZL15flash_attn_tileILi112ELi112ELi4ELi2ELb1EEvPKcS1_S1_S1_S1_PKiPfP15HIP_vector_typeIfLj2EEffffjfiS5_IjLj3EEiiiiiiiiiiiliiliiiiil
    .private_segment_fixed_size: 16
    .sgpr_count:     38
    .sgpr_spill_count: 0
    .symbol:         _ZL15flash_attn_tileILi112ELi112ELi4ELi2ELb1EEvPKcS1_S1_S1_S1_PKiPfP15HIP_vector_typeIfLj2EEffffjfiS5_IjLj3EEiiiiiiiiiiiliiliiiiil.kd
    .uniform_work_group_size: 1
    .uses_dynamic_stack: false
    .vgpr_count:     41
    .vgpr_spill_count: 0
    .wavefront_size: 64
  - .args:
      - .address_space:  global
        .offset:         0
        .size:           8
        .value_kind:     global_buffer
      - .address_space:  global
        .offset:         8
        .size:           8
        .value_kind:     global_buffer
      - .address_space:  global
        .offset:         16
        .size:           8
        .value_kind:     global_buffer
      - .address_space:  global
        .offset:         24
        .size:           8
        .value_kind:     global_buffer
      - .address_space:  global
        .offset:         32
        .size:           8
        .value_kind:     global_buffer
      - .address_space:  global
        .offset:         40
        .size:           8
        .value_kind:     global_buffer
      - .address_space:  global
        .offset:         48
        .size:           8
        .value_kind:     global_buffer
      - .address_space:  global
        .offset:         56
        .size:           8
        .value_kind:     global_buffer
      - .offset:         64
        .size:           4
        .value_kind:     by_value
      - .offset:         68
        .size:           4
        .value_kind:     by_value
      - .offset:         72
        .size:           4
        .value_kind:     by_value
      - .offset:         76
        .size:           4
        .value_kind:     by_value
      - .offset:         80
        .size:           4
        .value_kind:     by_value
      - .offset:         84
        .size:           4
        .value_kind:     by_value
      - .offset:         88
        .size:           4
        .value_kind:     by_value
      - .offset:         92
        .size:           12
        .value_kind:     by_value
      - .offset:         104
        .size:           4
        .value_kind:     by_value
      - .offset:         108
        .size:           4
        .value_kind:     by_value
      - .offset:         112
        .size:           4
        .value_kind:     by_value
      - .offset:         116
        .size:           4
        .value_kind:     by_value
      - .offset:         120
        .size:           4
        .value_kind:     by_value
      - .offset:         124
        .size:           4
        .value_kind:     by_value
      - .offset:         128
        .size:           4
        .value_kind:     by_value
      - .offset:         132
        .size:           4
        .value_kind:     by_value
      - .offset:         136
        .size:           4
        .value_kind:     by_value
      - .offset:         140
        .size:           4
        .value_kind:     by_value
      - .offset:         144
        .size:           4
        .value_kind:     by_value
      - .offset:         152
        .size:           8
        .value_kind:     by_value
      - .offset:         160
        .size:           4
        .value_kind:     by_value
      - .offset:         164
        .size:           4
        .value_kind:     by_value
      - .offset:         168
        .size:           8
        .value_kind:     by_value
      - .offset:         176
        .size:           4
        .value_kind:     by_value
      - .offset:         180
        .size:           4
        .value_kind:     by_value
      - .offset:         184
        .size:           4
        .value_kind:     by_value
      - .offset:         188
        .size:           4
        .value_kind:     by_value
      - .offset:         192
        .size:           4
        .value_kind:     by_value
      - .offset:         200
        .size:           8
        .value_kind:     by_value
      - .offset:         208
        .size:           4
        .value_kind:     hidden_block_count_x
      - .offset:         212
        .size:           4
        .value_kind:     hidden_block_count_y
      - .offset:         216
        .size:           4
        .value_kind:     hidden_block_count_z
      - .offset:         220
        .size:           2
        .value_kind:     hidden_group_size_x
      - .offset:         222
        .size:           2
        .value_kind:     hidden_group_size_y
      - .offset:         224
        .size:           2
        .value_kind:     hidden_group_size_z
      - .offset:         226
        .size:           2
        .value_kind:     hidden_remainder_x
      - .offset:         228
        .size:           2
        .value_kind:     hidden_remainder_y
      - .offset:         230
        .size:           2
        .value_kind:     hidden_remainder_z
      - .offset:         248
        .size:           8
        .value_kind:     hidden_global_offset_x
      - .offset:         256
        .size:           8
        .value_kind:     hidden_global_offset_y
      - .offset:         264
        .size:           8
        .value_kind:     hidden_global_offset_z
      - .offset:         272
        .size:           2
        .value_kind:     hidden_grid_dims
      - .offset:         288
        .size:           8
        .value_kind:     hidden_hostcall_buffer
    .group_segment_fixed_size: 0
    .kernarg_segment_align: 8
    .kernarg_segment_size: 464
    .language:       OpenCL C
    .language_version:
      - 2
      - 0
    .max_flat_workgroup_size: 128
    .name:           _ZL15flash_attn_tileILi112ELi112ELi2ELi2ELb1EEvPKcS1_S1_S1_S1_PKiPfP15HIP_vector_typeIfLj2EEffffjfiS5_IjLj3EEiiiiiiiiiiiliiliiiiil
    .private_segment_fixed_size: 16
    .sgpr_count:     38
    .sgpr_spill_count: 0
    .symbol:         _ZL15flash_attn_tileILi112ELi112ELi2ELi2ELb1EEvPKcS1_S1_S1_S1_PKiPfP15HIP_vector_typeIfLj2EEffffjfiS5_IjLj3EEiiiiiiiiiiiliiliiiiil.kd
    .uniform_work_group_size: 1
    .uses_dynamic_stack: false
    .vgpr_count:     41
    .vgpr_spill_count: 0
    .wavefront_size: 64
  - .args:
      - .address_space:  global
        .offset:         0
        .size:           8
        .value_kind:     global_buffer
      - .address_space:  global
        .offset:         8
        .size:           8
        .value_kind:     global_buffer
      - .address_space:  global
        .offset:         16
        .size:           8
        .value_kind:     global_buffer
      - .address_space:  global
        .offset:         24
        .size:           8
        .value_kind:     global_buffer
      - .address_space:  global
        .offset:         32
        .size:           8
        .value_kind:     global_buffer
      - .address_space:  global
        .offset:         40
        .size:           8
        .value_kind:     global_buffer
      - .address_space:  global
        .offset:         48
        .size:           8
        .value_kind:     global_buffer
      - .address_space:  global
        .offset:         56
        .size:           8
        .value_kind:     global_buffer
      - .offset:         64
        .size:           4
        .value_kind:     by_value
      - .offset:         68
        .size:           4
        .value_kind:     by_value
      - .offset:         72
        .size:           4
        .value_kind:     by_value
      - .offset:         76
        .size:           4
        .value_kind:     by_value
      - .offset:         80
        .size:           4
        .value_kind:     by_value
      - .offset:         84
        .size:           4
        .value_kind:     by_value
      - .offset:         88
        .size:           4
        .value_kind:     by_value
      - .offset:         92
        .size:           12
        .value_kind:     by_value
      - .offset:         104
        .size:           4
        .value_kind:     by_value
      - .offset:         108
        .size:           4
        .value_kind:     by_value
      - .offset:         112
        .size:           4
        .value_kind:     by_value
      - .offset:         116
        .size:           4
        .value_kind:     by_value
      - .offset:         120
        .size:           4
        .value_kind:     by_value
      - .offset:         124
        .size:           4
        .value_kind:     by_value
      - .offset:         128
        .size:           4
        .value_kind:     by_value
      - .offset:         132
        .size:           4
        .value_kind:     by_value
      - .offset:         136
        .size:           4
        .value_kind:     by_value
      - .offset:         140
        .size:           4
        .value_kind:     by_value
      - .offset:         144
        .size:           4
        .value_kind:     by_value
      - .offset:         152
        .size:           8
        .value_kind:     by_value
      - .offset:         160
        .size:           4
        .value_kind:     by_value
      - .offset:         164
        .size:           4
        .value_kind:     by_value
      - .offset:         168
        .size:           8
        .value_kind:     by_value
      - .offset:         176
        .size:           4
        .value_kind:     by_value
      - .offset:         180
        .size:           4
        .value_kind:     by_value
      - .offset:         184
        .size:           4
        .value_kind:     by_value
      - .offset:         188
        .size:           4
        .value_kind:     by_value
      - .offset:         192
        .size:           4
        .value_kind:     by_value
      - .offset:         200
        .size:           8
        .value_kind:     by_value
      - .offset:         208
        .size:           4
        .value_kind:     hidden_block_count_x
      - .offset:         212
        .size:           4
        .value_kind:     hidden_block_count_y
      - .offset:         216
        .size:           4
        .value_kind:     hidden_block_count_z
      - .offset:         220
        .size:           2
        .value_kind:     hidden_group_size_x
      - .offset:         222
        .size:           2
        .value_kind:     hidden_group_size_y
      - .offset:         224
        .size:           2
        .value_kind:     hidden_group_size_z
      - .offset:         226
        .size:           2
        .value_kind:     hidden_remainder_x
      - .offset:         228
        .size:           2
        .value_kind:     hidden_remainder_y
      - .offset:         230
        .size:           2
        .value_kind:     hidden_remainder_z
      - .offset:         248
        .size:           8
        .value_kind:     hidden_global_offset_x
      - .offset:         256
        .size:           8
        .value_kind:     hidden_global_offset_y
      - .offset:         264
        .size:           8
        .value_kind:     hidden_global_offset_z
      - .offset:         272
        .size:           2
        .value_kind:     hidden_grid_dims
      - .offset:         288
        .size:           8
        .value_kind:     hidden_hostcall_buffer
    .group_segment_fixed_size: 0
    .kernarg_segment_align: 8
    .kernarg_segment_size: 464
    .language:       OpenCL C
    .language_version:
      - 2
      - 0
    .max_flat_workgroup_size: 64
    .name:           _ZL15flash_attn_tileILi112ELi112ELi1ELi2ELb1EEvPKcS1_S1_S1_S1_PKiPfP15HIP_vector_typeIfLj2EEffffjfiS5_IjLj3EEiiiiiiiiiiiliiliiiiil
    .private_segment_fixed_size: 16
    .sgpr_count:     38
    .sgpr_spill_count: 0
    .symbol:         _ZL15flash_attn_tileILi112ELi112ELi1ELi2ELb1EEvPKcS1_S1_S1_S1_PKiPfP15HIP_vector_typeIfLj2EEffffjfiS5_IjLj3EEiiiiiiiiiiiliiliiiiil.kd
    .uniform_work_group_size: 1
    .uses_dynamic_stack: false
    .vgpr_count:     41
    .vgpr_spill_count: 0
    .wavefront_size: 64
  - .args:
      - .address_space:  global
        .offset:         0
        .size:           8
        .value_kind:     global_buffer
      - .address_space:  global
        .offset:         8
        .size:           8
        .value_kind:     global_buffer
      - .address_space:  global
        .offset:         16
        .size:           8
        .value_kind:     global_buffer
      - .address_space:  global
        .offset:         24
        .size:           8
        .value_kind:     global_buffer
      - .address_space:  global
        .offset:         32
        .size:           8
        .value_kind:     global_buffer
      - .address_space:  global
        .offset:         40
        .size:           8
        .value_kind:     global_buffer
      - .address_space:  global
        .offset:         48
        .size:           8
        .value_kind:     global_buffer
      - .address_space:  global
        .offset:         56
        .size:           8
        .value_kind:     global_buffer
      - .offset:         64
        .size:           4
        .value_kind:     by_value
      - .offset:         68
        .size:           4
        .value_kind:     by_value
      - .offset:         72
        .size:           4
        .value_kind:     by_value
      - .offset:         76
        .size:           4
        .value_kind:     by_value
      - .offset:         80
        .size:           4
        .value_kind:     by_value
      - .offset:         84
        .size:           4
        .value_kind:     by_value
      - .offset:         88
        .size:           4
        .value_kind:     by_value
      - .offset:         92
        .size:           12
        .value_kind:     by_value
      - .offset:         104
        .size:           4
        .value_kind:     by_value
      - .offset:         108
        .size:           4
        .value_kind:     by_value
      - .offset:         112
        .size:           4
        .value_kind:     by_value
      - .offset:         116
        .size:           4
        .value_kind:     by_value
      - .offset:         120
        .size:           4
        .value_kind:     by_value
      - .offset:         124
        .size:           4
        .value_kind:     by_value
      - .offset:         128
        .size:           4
        .value_kind:     by_value
      - .offset:         132
        .size:           4
        .value_kind:     by_value
      - .offset:         136
        .size:           4
        .value_kind:     by_value
      - .offset:         140
        .size:           4
        .value_kind:     by_value
      - .offset:         144
        .size:           4
        .value_kind:     by_value
      - .offset:         152
        .size:           8
        .value_kind:     by_value
      - .offset:         160
        .size:           4
        .value_kind:     by_value
      - .offset:         164
        .size:           4
        .value_kind:     by_value
      - .offset:         168
        .size:           8
        .value_kind:     by_value
      - .offset:         176
        .size:           4
        .value_kind:     by_value
      - .offset:         180
        .size:           4
        .value_kind:     by_value
      - .offset:         184
        .size:           4
        .value_kind:     by_value
      - .offset:         188
        .size:           4
        .value_kind:     by_value
      - .offset:         192
        .size:           4
        .value_kind:     by_value
      - .offset:         200
        .size:           8
        .value_kind:     by_value
      - .offset:         208
        .size:           4
        .value_kind:     hidden_block_count_x
      - .offset:         212
        .size:           4
        .value_kind:     hidden_block_count_y
      - .offset:         216
        .size:           4
        .value_kind:     hidden_block_count_z
      - .offset:         220
        .size:           2
        .value_kind:     hidden_group_size_x
      - .offset:         222
        .size:           2
        .value_kind:     hidden_group_size_y
      - .offset:         224
        .size:           2
        .value_kind:     hidden_group_size_z
      - .offset:         226
        .size:           2
        .value_kind:     hidden_remainder_x
      - .offset:         228
        .size:           2
        .value_kind:     hidden_remainder_y
      - .offset:         230
        .size:           2
        .value_kind:     hidden_remainder_z
      - .offset:         248
        .size:           8
        .value_kind:     hidden_global_offset_x
      - .offset:         256
        .size:           8
        .value_kind:     hidden_global_offset_y
      - .offset:         264
        .size:           8
        .value_kind:     hidden_global_offset_z
      - .offset:         272
        .size:           2
        .value_kind:     hidden_grid_dims
      - .offset:         288
        .size:           8
        .value_kind:     hidden_hostcall_buffer
    .group_segment_fixed_size: 0
    .kernarg_segment_align: 8
    .kernarg_segment_size: 464
    .language:       OpenCL C
    .language_version:
      - 2
      - 0
    .max_flat_workgroup_size: 256
    .name:           _ZL15flash_attn_tileILi112ELi112ELi64ELi1ELb1EEvPKcS1_S1_S1_S1_PKiPfP15HIP_vector_typeIfLj2EEffffjfiS5_IjLj3EEiiiiiiiiiiiliiliiiiil
    .private_segment_fixed_size: 16
    .sgpr_count:     38
    .sgpr_spill_count: 0
    .symbol:         _ZL15flash_attn_tileILi112ELi112ELi64ELi1ELb1EEvPKcS1_S1_S1_S1_PKiPfP15HIP_vector_typeIfLj2EEffffjfiS5_IjLj3EEiiiiiiiiiiiliiliiiiil.kd
    .uniform_work_group_size: 1
    .uses_dynamic_stack: false
    .vgpr_count:     41
    .vgpr_spill_count: 0
    .wavefront_size: 64
  - .args:
      - .address_space:  global
        .offset:         0
        .size:           8
        .value_kind:     global_buffer
      - .address_space:  global
        .offset:         8
        .size:           8
        .value_kind:     global_buffer
      - .address_space:  global
        .offset:         16
        .size:           8
        .value_kind:     global_buffer
      - .address_space:  global
        .offset:         24
        .size:           8
        .value_kind:     global_buffer
      - .address_space:  global
        .offset:         32
        .size:           8
        .value_kind:     global_buffer
      - .address_space:  global
        .offset:         40
        .size:           8
        .value_kind:     global_buffer
      - .address_space:  global
        .offset:         48
        .size:           8
        .value_kind:     global_buffer
      - .address_space:  global
        .offset:         56
        .size:           8
        .value_kind:     global_buffer
      - .offset:         64
        .size:           4
        .value_kind:     by_value
      - .offset:         68
        .size:           4
        .value_kind:     by_value
      - .offset:         72
        .size:           4
        .value_kind:     by_value
      - .offset:         76
        .size:           4
        .value_kind:     by_value
      - .offset:         80
        .size:           4
        .value_kind:     by_value
      - .offset:         84
        .size:           4
        .value_kind:     by_value
      - .offset:         88
        .size:           4
        .value_kind:     by_value
      - .offset:         92
        .size:           12
        .value_kind:     by_value
      - .offset:         104
        .size:           4
        .value_kind:     by_value
      - .offset:         108
        .size:           4
        .value_kind:     by_value
      - .offset:         112
        .size:           4
        .value_kind:     by_value
      - .offset:         116
        .size:           4
        .value_kind:     by_value
      - .offset:         120
        .size:           4
        .value_kind:     by_value
      - .offset:         124
        .size:           4
        .value_kind:     by_value
      - .offset:         128
        .size:           4
        .value_kind:     by_value
      - .offset:         132
        .size:           4
        .value_kind:     by_value
      - .offset:         136
        .size:           4
        .value_kind:     by_value
      - .offset:         140
        .size:           4
        .value_kind:     by_value
      - .offset:         144
        .size:           4
        .value_kind:     by_value
      - .offset:         152
        .size:           8
        .value_kind:     by_value
      - .offset:         160
        .size:           4
        .value_kind:     by_value
      - .offset:         164
        .size:           4
        .value_kind:     by_value
      - .offset:         168
        .size:           8
        .value_kind:     by_value
      - .offset:         176
        .size:           4
        .value_kind:     by_value
      - .offset:         180
        .size:           4
        .value_kind:     by_value
      - .offset:         184
        .size:           4
        .value_kind:     by_value
      - .offset:         188
        .size:           4
        .value_kind:     by_value
      - .offset:         192
        .size:           4
        .value_kind:     by_value
      - .offset:         200
        .size:           8
        .value_kind:     by_value
      - .offset:         208
        .size:           4
        .value_kind:     hidden_block_count_x
      - .offset:         212
        .size:           4
        .value_kind:     hidden_block_count_y
      - .offset:         216
        .size:           4
        .value_kind:     hidden_block_count_z
      - .offset:         220
        .size:           2
        .value_kind:     hidden_group_size_x
      - .offset:         222
        .size:           2
        .value_kind:     hidden_group_size_y
      - .offset:         224
        .size:           2
        .value_kind:     hidden_group_size_z
      - .offset:         226
        .size:           2
        .value_kind:     hidden_remainder_x
      - .offset:         228
        .size:           2
        .value_kind:     hidden_remainder_y
      - .offset:         230
        .size:           2
        .value_kind:     hidden_remainder_z
      - .offset:         248
        .size:           8
        .value_kind:     hidden_global_offset_x
      - .offset:         256
        .size:           8
        .value_kind:     hidden_global_offset_y
      - .offset:         264
        .size:           8
        .value_kind:     hidden_global_offset_z
      - .offset:         272
        .size:           2
        .value_kind:     hidden_grid_dims
      - .offset:         288
        .size:           8
        .value_kind:     hidden_hostcall_buffer
    .group_segment_fixed_size: 0
    .kernarg_segment_align: 8
    .kernarg_segment_size: 464
    .language:       OpenCL C
    .language_version:
      - 2
      - 0
    .max_flat_workgroup_size: 256
    .name:           _ZL15flash_attn_tileILi112ELi112ELi32ELi1ELb1EEvPKcS1_S1_S1_S1_PKiPfP15HIP_vector_typeIfLj2EEffffjfiS5_IjLj3EEiiiiiiiiiiiliiliiiiil
    .private_segment_fixed_size: 16
    .sgpr_count:     38
    .sgpr_spill_count: 0
    .symbol:         _ZL15flash_attn_tileILi112ELi112ELi32ELi1ELb1EEvPKcS1_S1_S1_S1_PKiPfP15HIP_vector_typeIfLj2EEffffjfiS5_IjLj3EEiiiiiiiiiiiliiliiiiil.kd
    .uniform_work_group_size: 1
    .uses_dynamic_stack: false
    .vgpr_count:     41
    .vgpr_spill_count: 0
    .wavefront_size: 64
  - .args:
      - .address_space:  global
        .offset:         0
        .size:           8
        .value_kind:     global_buffer
      - .address_space:  global
        .offset:         8
        .size:           8
        .value_kind:     global_buffer
      - .address_space:  global
        .offset:         16
        .size:           8
        .value_kind:     global_buffer
      - .address_space:  global
        .offset:         24
        .size:           8
        .value_kind:     global_buffer
      - .address_space:  global
        .offset:         32
        .size:           8
        .value_kind:     global_buffer
      - .address_space:  global
        .offset:         40
        .size:           8
        .value_kind:     global_buffer
      - .address_space:  global
        .offset:         48
        .size:           8
        .value_kind:     global_buffer
      - .address_space:  global
        .offset:         56
        .size:           8
        .value_kind:     global_buffer
      - .offset:         64
        .size:           4
        .value_kind:     by_value
      - .offset:         68
        .size:           4
        .value_kind:     by_value
      - .offset:         72
        .size:           4
        .value_kind:     by_value
      - .offset:         76
        .size:           4
        .value_kind:     by_value
      - .offset:         80
        .size:           4
        .value_kind:     by_value
      - .offset:         84
        .size:           4
        .value_kind:     by_value
      - .offset:         88
        .size:           4
        .value_kind:     by_value
      - .offset:         92
        .size:           12
        .value_kind:     by_value
      - .offset:         104
        .size:           4
        .value_kind:     by_value
      - .offset:         108
        .size:           4
        .value_kind:     by_value
      - .offset:         112
        .size:           4
        .value_kind:     by_value
      - .offset:         116
        .size:           4
        .value_kind:     by_value
      - .offset:         120
        .size:           4
        .value_kind:     by_value
      - .offset:         124
        .size:           4
        .value_kind:     by_value
      - .offset:         128
        .size:           4
        .value_kind:     by_value
      - .offset:         132
        .size:           4
        .value_kind:     by_value
      - .offset:         136
        .size:           4
        .value_kind:     by_value
      - .offset:         140
        .size:           4
        .value_kind:     by_value
      - .offset:         144
        .size:           4
        .value_kind:     by_value
      - .offset:         152
        .size:           8
        .value_kind:     by_value
      - .offset:         160
        .size:           4
        .value_kind:     by_value
      - .offset:         164
        .size:           4
        .value_kind:     by_value
      - .offset:         168
        .size:           8
        .value_kind:     by_value
      - .offset:         176
        .size:           4
        .value_kind:     by_value
      - .offset:         180
        .size:           4
        .value_kind:     by_value
      - .offset:         184
        .size:           4
        .value_kind:     by_value
      - .offset:         188
        .size:           4
        .value_kind:     by_value
      - .offset:         192
        .size:           4
        .value_kind:     by_value
      - .offset:         200
        .size:           8
        .value_kind:     by_value
      - .offset:         208
        .size:           4
        .value_kind:     hidden_block_count_x
      - .offset:         212
        .size:           4
        .value_kind:     hidden_block_count_y
      - .offset:         216
        .size:           4
        .value_kind:     hidden_block_count_z
      - .offset:         220
        .size:           2
        .value_kind:     hidden_group_size_x
      - .offset:         222
        .size:           2
        .value_kind:     hidden_group_size_y
      - .offset:         224
        .size:           2
        .value_kind:     hidden_group_size_z
      - .offset:         226
        .size:           2
        .value_kind:     hidden_remainder_x
      - .offset:         228
        .size:           2
        .value_kind:     hidden_remainder_y
      - .offset:         230
        .size:           2
        .value_kind:     hidden_remainder_z
      - .offset:         248
        .size:           8
        .value_kind:     hidden_global_offset_x
      - .offset:         256
        .size:           8
        .value_kind:     hidden_global_offset_y
      - .offset:         264
        .size:           8
        .value_kind:     hidden_global_offset_z
      - .offset:         272
        .size:           2
        .value_kind:     hidden_grid_dims
      - .offset:         288
        .size:           8
        .value_kind:     hidden_hostcall_buffer
    .group_segment_fixed_size: 0
    .kernarg_segment_align: 8
    .kernarg_segment_size: 464
    .language:       OpenCL C
    .language_version:
      - 2
      - 0
    .max_flat_workgroup_size: 256
    .name:           _ZL15flash_attn_tileILi112ELi112ELi16ELi1ELb1EEvPKcS1_S1_S1_S1_PKiPfP15HIP_vector_typeIfLj2EEffffjfiS5_IjLj3EEiiiiiiiiiiiliiliiiiil
    .private_segment_fixed_size: 16
    .sgpr_count:     38
    .sgpr_spill_count: 0
    .symbol:         _ZL15flash_attn_tileILi112ELi112ELi16ELi1ELb1EEvPKcS1_S1_S1_S1_PKiPfP15HIP_vector_typeIfLj2EEffffjfiS5_IjLj3EEiiiiiiiiiiiliiliiiiil.kd
    .uniform_work_group_size: 1
    .uses_dynamic_stack: false
    .vgpr_count:     41
    .vgpr_spill_count: 0
    .wavefront_size: 64
  - .args:
      - .address_space:  global
        .offset:         0
        .size:           8
        .value_kind:     global_buffer
      - .address_space:  global
        .offset:         8
        .size:           8
        .value_kind:     global_buffer
      - .address_space:  global
        .offset:         16
        .size:           8
        .value_kind:     global_buffer
      - .address_space:  global
        .offset:         24
        .size:           8
        .value_kind:     global_buffer
      - .address_space:  global
        .offset:         32
        .size:           8
        .value_kind:     global_buffer
      - .address_space:  global
        .offset:         40
        .size:           8
        .value_kind:     global_buffer
      - .address_space:  global
        .offset:         48
        .size:           8
        .value_kind:     global_buffer
      - .address_space:  global
        .offset:         56
        .size:           8
        .value_kind:     global_buffer
      - .offset:         64
        .size:           4
        .value_kind:     by_value
      - .offset:         68
        .size:           4
        .value_kind:     by_value
      - .offset:         72
        .size:           4
        .value_kind:     by_value
      - .offset:         76
        .size:           4
        .value_kind:     by_value
      - .offset:         80
        .size:           4
        .value_kind:     by_value
      - .offset:         84
        .size:           4
        .value_kind:     by_value
      - .offset:         88
        .size:           4
        .value_kind:     by_value
      - .offset:         92
        .size:           12
        .value_kind:     by_value
      - .offset:         104
        .size:           4
        .value_kind:     by_value
      - .offset:         108
        .size:           4
        .value_kind:     by_value
      - .offset:         112
        .size:           4
        .value_kind:     by_value
      - .offset:         116
        .size:           4
        .value_kind:     by_value
      - .offset:         120
        .size:           4
        .value_kind:     by_value
      - .offset:         124
        .size:           4
        .value_kind:     by_value
      - .offset:         128
        .size:           4
        .value_kind:     by_value
      - .offset:         132
        .size:           4
        .value_kind:     by_value
      - .offset:         136
        .size:           4
        .value_kind:     by_value
      - .offset:         140
        .size:           4
        .value_kind:     by_value
      - .offset:         144
        .size:           4
        .value_kind:     by_value
      - .offset:         152
        .size:           8
        .value_kind:     by_value
      - .offset:         160
        .size:           4
        .value_kind:     by_value
      - .offset:         164
        .size:           4
        .value_kind:     by_value
      - .offset:         168
        .size:           8
        .value_kind:     by_value
      - .offset:         176
        .size:           4
        .value_kind:     by_value
      - .offset:         180
        .size:           4
        .value_kind:     by_value
      - .offset:         184
        .size:           4
        .value_kind:     by_value
      - .offset:         188
        .size:           4
        .value_kind:     by_value
      - .offset:         192
        .size:           4
        .value_kind:     by_value
      - .offset:         200
        .size:           8
        .value_kind:     by_value
      - .offset:         208
        .size:           4
        .value_kind:     hidden_block_count_x
      - .offset:         212
        .size:           4
        .value_kind:     hidden_block_count_y
      - .offset:         216
        .size:           4
        .value_kind:     hidden_block_count_z
      - .offset:         220
        .size:           2
        .value_kind:     hidden_group_size_x
      - .offset:         222
        .size:           2
        .value_kind:     hidden_group_size_y
      - .offset:         224
        .size:           2
        .value_kind:     hidden_group_size_z
      - .offset:         226
        .size:           2
        .value_kind:     hidden_remainder_x
      - .offset:         228
        .size:           2
        .value_kind:     hidden_remainder_y
      - .offset:         230
        .size:           2
        .value_kind:     hidden_remainder_z
      - .offset:         248
        .size:           8
        .value_kind:     hidden_global_offset_x
      - .offset:         256
        .size:           8
        .value_kind:     hidden_global_offset_y
      - .offset:         264
        .size:           8
        .value_kind:     hidden_global_offset_z
      - .offset:         272
        .size:           2
        .value_kind:     hidden_grid_dims
      - .offset:         288
        .size:           8
        .value_kind:     hidden_hostcall_buffer
    .group_segment_fixed_size: 0
    .kernarg_segment_align: 8
    .kernarg_segment_size: 464
    .language:       OpenCL C
    .language_version:
      - 2
      - 0
    .max_flat_workgroup_size: 256
    .name:           _ZL15flash_attn_tileILi112ELi112ELi8ELi1ELb1EEvPKcS1_S1_S1_S1_PKiPfP15HIP_vector_typeIfLj2EEffffjfiS5_IjLj3EEiiiiiiiiiiiliiliiiiil
    .private_segment_fixed_size: 16
    .sgpr_count:     38
    .sgpr_spill_count: 0
    .symbol:         _ZL15flash_attn_tileILi112ELi112ELi8ELi1ELb1EEvPKcS1_S1_S1_S1_PKiPfP15HIP_vector_typeIfLj2EEffffjfiS5_IjLj3EEiiiiiiiiiiiliiliiiiil.kd
    .uniform_work_group_size: 1
    .uses_dynamic_stack: false
    .vgpr_count:     41
    .vgpr_spill_count: 0
    .wavefront_size: 64
  - .args:
      - .address_space:  global
        .offset:         0
        .size:           8
        .value_kind:     global_buffer
      - .address_space:  global
        .offset:         8
        .size:           8
        .value_kind:     global_buffer
      - .address_space:  global
        .offset:         16
        .size:           8
        .value_kind:     global_buffer
      - .address_space:  global
        .offset:         24
        .size:           8
        .value_kind:     global_buffer
      - .address_space:  global
        .offset:         32
        .size:           8
        .value_kind:     global_buffer
      - .address_space:  global
        .offset:         40
        .size:           8
        .value_kind:     global_buffer
      - .address_space:  global
        .offset:         48
        .size:           8
        .value_kind:     global_buffer
      - .address_space:  global
        .offset:         56
        .size:           8
        .value_kind:     global_buffer
      - .offset:         64
        .size:           4
        .value_kind:     by_value
      - .offset:         68
        .size:           4
        .value_kind:     by_value
      - .offset:         72
        .size:           4
        .value_kind:     by_value
      - .offset:         76
        .size:           4
        .value_kind:     by_value
      - .offset:         80
        .size:           4
        .value_kind:     by_value
      - .offset:         84
        .size:           4
        .value_kind:     by_value
      - .offset:         88
        .size:           4
        .value_kind:     by_value
      - .offset:         92
        .size:           12
        .value_kind:     by_value
      - .offset:         104
        .size:           4
        .value_kind:     by_value
      - .offset:         108
        .size:           4
        .value_kind:     by_value
      - .offset:         112
        .size:           4
        .value_kind:     by_value
      - .offset:         116
        .size:           4
        .value_kind:     by_value
      - .offset:         120
        .size:           4
        .value_kind:     by_value
      - .offset:         124
        .size:           4
        .value_kind:     by_value
      - .offset:         128
        .size:           4
        .value_kind:     by_value
      - .offset:         132
        .size:           4
        .value_kind:     by_value
      - .offset:         136
        .size:           4
        .value_kind:     by_value
      - .offset:         140
        .size:           4
        .value_kind:     by_value
      - .offset:         144
        .size:           4
        .value_kind:     by_value
      - .offset:         152
        .size:           8
        .value_kind:     by_value
      - .offset:         160
        .size:           4
        .value_kind:     by_value
      - .offset:         164
        .size:           4
        .value_kind:     by_value
      - .offset:         168
        .size:           8
        .value_kind:     by_value
      - .offset:         176
        .size:           4
        .value_kind:     by_value
      - .offset:         180
        .size:           4
        .value_kind:     by_value
      - .offset:         184
        .size:           4
        .value_kind:     by_value
      - .offset:         188
        .size:           4
        .value_kind:     by_value
      - .offset:         192
        .size:           4
        .value_kind:     by_value
      - .offset:         200
        .size:           8
        .value_kind:     by_value
      - .offset:         208
        .size:           4
        .value_kind:     hidden_block_count_x
      - .offset:         212
        .size:           4
        .value_kind:     hidden_block_count_y
      - .offset:         216
        .size:           4
        .value_kind:     hidden_block_count_z
      - .offset:         220
        .size:           2
        .value_kind:     hidden_group_size_x
      - .offset:         222
        .size:           2
        .value_kind:     hidden_group_size_y
      - .offset:         224
        .size:           2
        .value_kind:     hidden_group_size_z
      - .offset:         226
        .size:           2
        .value_kind:     hidden_remainder_x
      - .offset:         228
        .size:           2
        .value_kind:     hidden_remainder_y
      - .offset:         230
        .size:           2
        .value_kind:     hidden_remainder_z
      - .offset:         248
        .size:           8
        .value_kind:     hidden_global_offset_x
      - .offset:         256
        .size:           8
        .value_kind:     hidden_global_offset_y
      - .offset:         264
        .size:           8
        .value_kind:     hidden_global_offset_z
      - .offset:         272
        .size:           2
        .value_kind:     hidden_grid_dims
      - .offset:         288
        .size:           8
        .value_kind:     hidden_hostcall_buffer
    .group_segment_fixed_size: 0
    .kernarg_segment_align: 8
    .kernarg_segment_size: 464
    .language:       OpenCL C
    .language_version:
      - 2
      - 0
    .max_flat_workgroup_size: 128
    .name:           _ZL15flash_attn_tileILi112ELi112ELi4ELi1ELb1EEvPKcS1_S1_S1_S1_PKiPfP15HIP_vector_typeIfLj2EEffffjfiS5_IjLj3EEiiiiiiiiiiiliiliiiiil
    .private_segment_fixed_size: 16
    .sgpr_count:     38
    .sgpr_spill_count: 0
    .symbol:         _ZL15flash_attn_tileILi112ELi112ELi4ELi1ELb1EEvPKcS1_S1_S1_S1_PKiPfP15HIP_vector_typeIfLj2EEffffjfiS5_IjLj3EEiiiiiiiiiiiliiliiiiil.kd
    .uniform_work_group_size: 1
    .uses_dynamic_stack: false
    .vgpr_count:     41
    .vgpr_spill_count: 0
    .wavefront_size: 64
  - .args:
      - .address_space:  global
        .offset:         0
        .size:           8
        .value_kind:     global_buffer
      - .address_space:  global
        .offset:         8
        .size:           8
        .value_kind:     global_buffer
      - .address_space:  global
        .offset:         16
        .size:           8
        .value_kind:     global_buffer
      - .address_space:  global
        .offset:         24
        .size:           8
        .value_kind:     global_buffer
      - .address_space:  global
        .offset:         32
        .size:           8
        .value_kind:     global_buffer
      - .address_space:  global
        .offset:         40
        .size:           8
        .value_kind:     global_buffer
      - .address_space:  global
        .offset:         48
        .size:           8
        .value_kind:     global_buffer
      - .address_space:  global
        .offset:         56
        .size:           8
        .value_kind:     global_buffer
      - .offset:         64
        .size:           4
        .value_kind:     by_value
      - .offset:         68
        .size:           4
        .value_kind:     by_value
      - .offset:         72
        .size:           4
        .value_kind:     by_value
      - .offset:         76
        .size:           4
        .value_kind:     by_value
      - .offset:         80
        .size:           4
        .value_kind:     by_value
      - .offset:         84
        .size:           4
        .value_kind:     by_value
      - .offset:         88
        .size:           4
        .value_kind:     by_value
      - .offset:         92
        .size:           12
        .value_kind:     by_value
      - .offset:         104
        .size:           4
        .value_kind:     by_value
      - .offset:         108
        .size:           4
        .value_kind:     by_value
      - .offset:         112
        .size:           4
        .value_kind:     by_value
      - .offset:         116
        .size:           4
        .value_kind:     by_value
      - .offset:         120
        .size:           4
        .value_kind:     by_value
      - .offset:         124
        .size:           4
        .value_kind:     by_value
      - .offset:         128
        .size:           4
        .value_kind:     by_value
      - .offset:         132
        .size:           4
        .value_kind:     by_value
      - .offset:         136
        .size:           4
        .value_kind:     by_value
      - .offset:         140
        .size:           4
        .value_kind:     by_value
      - .offset:         144
        .size:           4
        .value_kind:     by_value
      - .offset:         152
        .size:           8
        .value_kind:     by_value
      - .offset:         160
        .size:           4
        .value_kind:     by_value
      - .offset:         164
        .size:           4
        .value_kind:     by_value
      - .offset:         168
        .size:           8
        .value_kind:     by_value
      - .offset:         176
        .size:           4
        .value_kind:     by_value
      - .offset:         180
        .size:           4
        .value_kind:     by_value
      - .offset:         184
        .size:           4
        .value_kind:     by_value
      - .offset:         188
        .size:           4
        .value_kind:     by_value
      - .offset:         192
        .size:           4
        .value_kind:     by_value
      - .offset:         200
        .size:           8
        .value_kind:     by_value
      - .offset:         208
        .size:           4
        .value_kind:     hidden_block_count_x
      - .offset:         212
        .size:           4
        .value_kind:     hidden_block_count_y
      - .offset:         216
        .size:           4
        .value_kind:     hidden_block_count_z
      - .offset:         220
        .size:           2
        .value_kind:     hidden_group_size_x
      - .offset:         222
        .size:           2
        .value_kind:     hidden_group_size_y
      - .offset:         224
        .size:           2
        .value_kind:     hidden_group_size_z
      - .offset:         226
        .size:           2
        .value_kind:     hidden_remainder_x
      - .offset:         228
        .size:           2
        .value_kind:     hidden_remainder_y
      - .offset:         230
        .size:           2
        .value_kind:     hidden_remainder_z
      - .offset:         248
        .size:           8
        .value_kind:     hidden_global_offset_x
      - .offset:         256
        .size:           8
        .value_kind:     hidden_global_offset_y
      - .offset:         264
        .size:           8
        .value_kind:     hidden_global_offset_z
      - .offset:         272
        .size:           2
        .value_kind:     hidden_grid_dims
      - .offset:         288
        .size:           8
        .value_kind:     hidden_hostcall_buffer
    .group_segment_fixed_size: 0
    .kernarg_segment_align: 8
    .kernarg_segment_size: 464
    .language:       OpenCL C
    .language_version:
      - 2
      - 0
    .max_flat_workgroup_size: 64
    .name:           _ZL15flash_attn_tileILi112ELi112ELi2ELi1ELb1EEvPKcS1_S1_S1_S1_PKiPfP15HIP_vector_typeIfLj2EEffffjfiS5_IjLj3EEiiiiiiiiiiiliiliiiiil
    .private_segment_fixed_size: 16
    .sgpr_count:     38
    .sgpr_spill_count: 0
    .symbol:         _ZL15flash_attn_tileILi112ELi112ELi2ELi1ELb1EEvPKcS1_S1_S1_S1_PKiPfP15HIP_vector_typeIfLj2EEffffjfiS5_IjLj3EEiiiiiiiiiiiliiliiiiil.kd
    .uniform_work_group_size: 1
    .uses_dynamic_stack: false
    .vgpr_count:     41
    .vgpr_spill_count: 0
    .wavefront_size: 64
amdhsa.target:   amdgcn-amd-amdhsa--gfx906
amdhsa.version:
  - 1
  - 2
...

	.end_amdgpu_metadata
